;; amdgpu-corpus repo=ggml-org/llama.cpp kind=compiled arch=gfx906 opt=O3
	.amdgcn_target "amdgcn-amd-amdhsa--gfx906"
	.amdhsa_code_object_version 6
	.section	.text._ZL15flash_attn_tileILi128ELi128ELi8ELi8ELb0EEvPKcS1_S1_S1_S1_PKiPfP15HIP_vector_typeIfLj2EEffffjfiS5_IjLj3EEiiiiiiiiiiiliiliiiiil,"axG",@progbits,_ZL15flash_attn_tileILi128ELi128ELi8ELi8ELb0EEvPKcS1_S1_S1_S1_PKiPfP15HIP_vector_typeIfLj2EEffffjfiS5_IjLj3EEiiiiiiiiiiiliiliiiiil,comdat
	.globl	_ZL15flash_attn_tileILi128ELi128ELi8ELi8ELb0EEvPKcS1_S1_S1_S1_PKiPfP15HIP_vector_typeIfLj2EEffffjfiS5_IjLj3EEiiiiiiiiiiiliiliiiiil ; -- Begin function _ZL15flash_attn_tileILi128ELi128ELi8ELi8ELb0EEvPKcS1_S1_S1_S1_PKiPfP15HIP_vector_typeIfLj2EEffffjfiS5_IjLj3EEiiiiiiiiiiiliiliiiiil
	.p2align	8
	.type	_ZL15flash_attn_tileILi128ELi128ELi8ELi8ELb0EEvPKcS1_S1_S1_S1_PKiPfP15HIP_vector_typeIfLj2EEffffjfiS5_IjLj3EEiiiiiiiiiiiliiliiiiil,@function
_ZL15flash_attn_tileILi128ELi128ELi8ELi8ELb0EEvPKcS1_S1_S1_S1_PKiPfP15HIP_vector_typeIfLj2EEffffjfiS5_IjLj3EEiiiiiiiiiiiliiliiiiil: ; @_ZL15flash_attn_tileILi128ELi128ELi8ELi8ELb0EEvPKcS1_S1_S1_S1_PKiPfP15HIP_vector_typeIfLj2EEffffjfiS5_IjLj3EEiiiiiiiiiiiliiliiiiil
; %bb.0:
	s_mov_b64 s[42:43], s[2:3]
	s_mov_b64 s[40:41], s[0:1]
	s_load_dwordx4 s[0:3], s[4:5], 0x5c
	s_load_dwordx2 s[30:31], s[4:5], 0x80
	s_add_u32 s40, s40, s9
	s_addc_u32 s41, s41, 0
	v_mov_b32_e32 v51, v0
	s_waitcnt lgkmcnt(0)
	s_ashr_i32 s9, s3, 31
	s_lshr_b32 s9, s9, 29
	s_add_i32 s9, s3, s9
	s_ashr_i32 s9, s9, 3
	v_cvt_f32_u32_e32 v0, s9
	s_sub_i32 s10, 0, s9
	s_load_dwordx2 s[36:37], s[4:5], 0xb8
	s_mov_b64 s[34:35], 0
	v_rcp_iflag_f32_e32 v0, v0
	v_mul_f32_e32 v0, 0x4f7ffffe, v0
	v_cvt_u32_f32_e32 v0, v0
	v_readfirstlane_b32 s11, v0
	s_mul_i32 s10, s10, s11
	s_mul_hi_u32 s10, s11, s10
	s_add_i32 s11, s11, s10
	s_mul_hi_u32 s10, s8, s11
	s_mul_i32 s11, s10, s9
	s_sub_i32 s11, s8, s11
	s_add_i32 s12, s10, 1
	s_sub_i32 s13, s11, s9
	s_cmp_ge_u32 s11, s9
	s_cselect_b32 s10, s12, s10
	s_cselect_b32 s11, s13, s11
	s_add_i32 s12, s10, 1
	s_cmp_ge_u32 s11, s9
	s_cselect_b32 s33, s12, s10
	s_abs_i32 s9, s31
	v_cvt_f32_u32_e32 v0, s9
	s_lshl_b32 s8, s8, 3
	s_mul_i32 s12, s33, s3
	s_sub_i32 s13, 0, s9
	v_rcp_iflag_f32_e32 v0, v0
	s_sub_i32 s28, s8, s12
	s_abs_i32 s11, s3
	s_xor_b32 s10, s3, s31
	v_mul_f32_e32 v0, 0x4f7ffffe, v0
	v_cvt_u32_f32_e32 v0, v0
	s_ashr_i32 s10, s10, 31
	v_readfirstlane_b32 s8, v0
	s_mul_i32 s13, s13, s8
	s_mul_hi_u32 s12, s8, s13
	s_add_i32 s8, s8, s12
	s_mul_hi_u32 s8, s11, s8
	s_mul_i32 s12, s8, s9
	s_sub_i32 s11, s11, s12
	s_add_i32 s13, s8, 1
	s_sub_i32 s12, s11, s9
	s_cmp_ge_u32 s11, s9
	s_cselect_b32 s8, s13, s8
	s_cselect_b32 s11, s12, s11
	s_add_i32 s12, s8, 1
	s_cmp_ge_u32 s11, s9
	s_cselect_b32 s8, s12, s8
	s_xor_b32 s8, s8, s10
	s_sub_i32 s31, s8, s10
	s_abs_i32 s29, s31
	v_cvt_f32_u32_e32 v0, s29
	s_load_dwordx16 s[8:23], s[4:5], 0x0
	v_rcp_iflag_f32_e32 v0, v0
	s_waitcnt lgkmcnt(0)
	s_cmp_eq_u64 s[14:15], 0
	v_mul_f32_e32 v0, 0x4f7ffffe, v0
	v_cvt_u32_f32_e32 v0, v0
	v_readfirstlane_b32 s38, v0
	s_cbranch_scc1 .LBB0_2
; %bb.1:
	s_abs_i32 s26, s36
	v_cvt_f32_u32_e32 v0, s26
	s_sub_i32 s35, 0, s26
	s_abs_i32 s34, s33
	s_ashr_i32 s27, s33, 31
	v_rcp_iflag_f32_e32 v0, v0
	s_load_dwordx2 s[24:25], s[4:5], 0xc8
	v_mul_f32_e32 v0, 0x4f7ffffe, v0
	v_cvt_u32_f32_e32 v0, v0
	v_readfirstlane_b32 s36, v0
	s_mul_i32 s35, s35, s36
	s_mul_hi_u32 s35, s36, s35
	s_add_i32 s36, s36, s35
	s_mul_hi_u32 s35, s34, s36
	s_mul_i32 s35, s35, s26
	s_sub_i32 s34, s34, s35
	s_sub_i32 s35, s34, s26
	s_cmp_ge_u32 s34, s26
	s_cselect_b32 s34, s35, s34
	s_sub_i32 s35, s34, s26
	s_cmp_ge_u32 s34, s26
	s_cselect_b32 s26, s35, s34
	s_xor_b32 s26, s26, s27
	s_sub_i32 s26, s26, s27
	s_ashr_i32 s27, s26, 31
	s_waitcnt lgkmcnt(0)
	s_mul_hi_u32 s34, s24, s26
	s_mul_i32 s27, s24, s27
	s_mul_i32 s25, s25, s26
	s_add_i32 s27, s34, s27
	s_add_i32 s27, s27, s25
	s_mul_i32 s24, s24, s26
	s_add_u32 s34, s14, s24
	s_addc_u32 s35, s15, s27
.LBB0_2:
	s_load_dwordx4 s[24:27], s[4:5], 0x70
	v_lshl_add_u32 v52, s6, 3, v1
	v_mul_hi_u32 v0, s0, v52
	v_lshlrev_b32_e32 v2, 4, v51
	v_lshlrev_b32_e32 v46, 11, v1
	s_waitcnt lgkmcnt(0)
	s_mul_i32 s0, s33, s26
	v_add_u32_e32 v0, v52, v0
	s_ashr_i32 s15, s0, 31
	v_lshrrev_b32_e32 v0, s1, v0
	s_mul_i32 s14, s28, s25
	s_add_u32 s0, s8, s0
	v_mul_lo_u32 v0, v0, s2
	s_addc_u32 s8, s9, s15
	s_ashr_i32 s1, s14, 31
	s_add_u32 s14, s0, s14
	s_addc_u32 s15, s8, s1
	s_ashr_i32 s1, s24, 31
	s_mov_b32 s0, s24
	v_sub_u32_e32 v3, v52, v0
	s_lshr_b64 s[8:9], s[0:1], 2
	v_mad_u64_u32 v[4:5], s[8:9], s8, v3, 0
	s_lshr_b32 s0, s1, 2
	s_ashr_i32 s9, s25, 31
	v_mov_b32_e32 v0, v5
	v_mad_u64_u32 v[5:6], s[0:1], s0, v3, v[0:1]
	v_mov_b32_e32 v0, s15
	s_mov_b32 s8, s25
	v_lshlrev_b64 v[4:5], 2, v[4:5]
	s_lshr_b64 s[0:1], s[8:9], 2
	v_add_co_u32_e32 v4, vcc, s14, v4
	v_addc_co_u32_e32 v0, vcc, v0, v5, vcc
	v_add_co_u32_e32 v29, vcc, v4, v2
	v_addc_co_u32_e32 v30, vcc, 0, v0, vcc
	s_and_b32 s14, s25, -4
	v_mov_b32_e32 v0, s9
	v_add_co_u32_e32 v9, vcc, s14, v29
	global_load_dwordx4 v[5:8], v[29:30], off
	v_addc_co_u32_e32 v10, vcc, v30, v0, vcc
	s_lshl_b64 s[24:25], s[0:1], 3
	global_load_dwordx4 v[9:12], v[9:10], off
	v_mov_b32_e32 v0, s25
	v_add_co_u32_e32 v13, vcc, s24, v29
	v_mad_u64_u32 v[17:18], s[24:25], s0, 12, v[29:30]
	v_addc_co_u32_e32 v14, vcc, v30, v0, vcc
	v_mov_b32_e32 v0, v18
	s_lshr_b32 s26, s9, 2
	global_load_dwordx4 v[13:16], v[13:14], off
	v_mad_u64_u32 v[18:19], s[24:25], s26, 12, v[0:1]
	s_and_b32 s15, s9, 0x3fffffff
	s_lshl_b64 s[8:9], s[14:15], 2
	global_load_dwordx4 v[17:20], v[17:18], off
	v_mov_b32_e32 v0, s9
	v_add_co_u32_e32 v21, vcc, s8, v29
	v_mad_u64_u32 v[25:26], s[8:9], s0, 20, v[29:30]
	v_mad_u64_u32 v[31:32], s[8:9], s0, 24, v[29:30]
	v_addc_co_u32_e32 v22, vcc, v30, v0, vcc
	v_mov_b32_e32 v0, v26
	global_load_dwordx4 v[21:24], v[21:22], off
	v_mad_u64_u32 v[26:27], s[8:9], s26, 20, v[0:1]
	v_mov_b32_e32 v0, v32
	v_mad_u64_u32 v[32:33], s[8:9], s26, 24, v[0:1]
	global_load_dwordx4 v[25:28], v[25:26], off
	v_mad_u64_u32 v[33:34], s[0:1], s0, 28, v[29:30]
	global_load_dwordx4 v[29:32], v[31:32], off
	s_load_dword s8, s[4:5], 0x40
	v_mov_b32_e32 v0, v34
	v_mad_u64_u32 v[34:35], s[0:1], s26, 28, v[0:1]
	v_lshlrev_b32_e32 v4, 3, v51
	v_or_b32_e32 v0, v46, v4
	global_load_dwordx4 v[33:36], v[33:34], off
	s_cmp_eq_u64 s[18:19], 0
	s_waitcnt vmcnt(7) lgkmcnt(0)
	v_fma_mixlo_f16 v5, s8, v5, 0
	v_fma_mixlo_f16 v6, s8, v6, 0
	v_fma_mixlo_f16 v7, s8, v7, 0
	v_fma_mixlo_f16 v8, s8, v8, 0
	v_lshlrev_b32_e32 v6, 16, v6
	v_and_b32_e32 v5, 0xffff, v5
	v_lshlrev_b32_e32 v8, 16, v8
	v_and_b32_e32 v7, 0xffff, v7
	s_waitcnt vmcnt(6)
	v_fma_mixlo_f16 v9, s8, v9, 0
	v_fma_mixlo_f16 v10, s8, v10, 0
	v_or_b32_e32 v5, v6, v5
	v_or3_b32 v6, v8, v7, 0
	v_lshlrev_b32_e32 v7, 16, v10
	v_and_b32_e32 v8, 0xffff, v9
	v_or_b32_e32 v7, v7, v8
	v_fma_mixlo_f16 v8, s8, v11, 0
	v_fma_mixlo_f16 v9, s8, v12, 0
	v_lshlrev_b32_e32 v9, 16, v9
	v_and_b32_e32 v8, 0xffff, v8
	v_or3_b32 v5, 0, 0, v5
	v_or3_b32 v8, v9, v8, 0
	;; [unrolled: 1-line block ×3, first 2 shown]
	ds_write2_b64 v0, v[5:6], v[7:8] offset1:32
	s_waitcnt vmcnt(5)
	v_fma_mixlo_f16 v5, s8, v13, 0
	v_fma_mixlo_f16 v6, s8, v14, 0
	v_lshlrev_b32_e32 v6, 16, v6
	v_and_b32_e32 v5, 0xffff, v5
	v_or_b32_e32 v5, v6, v5
	v_fma_mixlo_f16 v6, s8, v15, 0
	v_fma_mixlo_f16 v7, s8, v16, 0
	v_lshlrev_b32_e32 v7, 16, v7
	v_and_b32_e32 v6, 0xffff, v6
	v_or3_b32 v6, v7, v6, 0
	s_waitcnt vmcnt(4)
	v_fma_mixlo_f16 v7, s8, v17, 0
	v_fma_mixlo_f16 v8, s8, v18, 0
	v_lshlrev_b32_e32 v8, 16, v8
	v_and_b32_e32 v7, 0xffff, v7
	v_or_b32_e32 v7, v8, v7
	v_fma_mixlo_f16 v8, s8, v19, 0
	v_fma_mixlo_f16 v9, s8, v20, 0
	v_lshlrev_b32_e32 v9, 16, v9
	v_and_b32_e32 v8, 0xffff, v8
	v_or3_b32 v5, 0, 0, v5
	v_or3_b32 v8, v9, v8, 0
	v_or3_b32 v7, 0, 0, v7
	ds_write2_b64 v0, v[5:6], v[7:8] offset0:64 offset1:96
	s_waitcnt vmcnt(3)
	v_fma_mixlo_f16 v5, s8, v21, 0
	v_fma_mixlo_f16 v6, s8, v22, 0
	v_lshlrev_b32_e32 v6, 16, v6
	v_and_b32_e32 v5, 0xffff, v5
	v_or_b32_e32 v5, v6, v5
	v_fma_mixlo_f16 v6, s8, v23, 0
	v_fma_mixlo_f16 v7, s8, v24, 0
	v_lshlrev_b32_e32 v7, 16, v7
	v_and_b32_e32 v6, 0xffff, v6
	v_or3_b32 v6, v7, v6, 0
	s_waitcnt vmcnt(2)
	v_fma_mixlo_f16 v7, s8, v25, 0
	v_fma_mixlo_f16 v8, s8, v26, 0
	v_lshlrev_b32_e32 v8, 16, v8
	v_and_b32_e32 v7, 0xffff, v7
	v_or_b32_e32 v7, v8, v7
	v_fma_mixlo_f16 v8, s8, v27, 0
	v_fma_mixlo_f16 v9, s8, v28, 0
	v_lshlrev_b32_e32 v9, 16, v9
	v_and_b32_e32 v8, 0xffff, v8
	v_or3_b32 v5, 0, 0, v5
	v_or3_b32 v8, v9, v8, 0
	v_or3_b32 v7, 0, 0, v7
	ds_write2_b64 v0, v[5:6], v[7:8] offset0:128 offset1:160
	;; [unrolled: 25-line block ×3, first 2 shown]
	s_waitcnt lgkmcnt(0)
	s_barrier
	s_cbranch_scc1 .LBB0_4
; %bb.3:
	s_load_dword s0, s[4:5], 0xd0
	s_mov_b32 s1, 0
	s_waitcnt lgkmcnt(0)
	s_mul_i32 s0, s0, s33
	s_add_i32 s0, s0, s6
	s_lshl_b64 s[0:1], s[0:1], 2
	s_add_u32 s0, s18, s0
	s_addc_u32 s1, s19, s1
	s_load_dword s30, s[0:1], 0x0
.LBB0_4:
	s_lshl_b32 s6, s7, 6
	s_waitcnt lgkmcnt(0)
	s_cmp_lt_i32 s6, s30
	v_mbcnt_lo_u32_b32 v5, -1, 0
	s_cbranch_scc1 .LBB0_7
; %bb.5:
	v_mbcnt_hi_u32_b32 v48, -1, v5
	v_and_b32_e32 v0, 0x60, v48
	v_add_u32_e32 v49, 32, v0
	v_xor_b32_e32 v44, 16, v48
	v_xor_b32_e32 v64, 8, v48
	;; [unrolled: 1-line block ×5, first 2 shown]
	v_lshlrev_b32_e32 v50, 2, v51
	s_cbranch_execz .LBB0_8
; %bb.6:
	v_mov_b32_e32 v82, 0
	v_mov_b32_e32 v47, 0
	;; [unrolled: 1-line block ×32, first 2 shown]
	s_branch .LBB0_11
.LBB0_7:
                                        ; implicit-def: $vgpr48
                                        ; implicit-def: $vgpr49
                                        ; implicit-def: $vgpr44
                                        ; implicit-def: $vgpr64
                                        ; implicit-def: $vgpr127
                                        ; implicit-def: $vgpr0
                                        ; implicit-def: $vgpr45
	v_lshlrev_b32_e32 v50, 2, v51
.LBB0_8:
	s_sub_i32 s0, 0, s29
	s_mul_i32 s0, s0, s38
	buffer_store_dword v52, off, s[40:43], 0 offset:32 ; 4-byte Folded Spill
	s_mul_hi_u32 s0, s38, s0
	s_add_i32 s38, s38, s0
	s_load_dwordx2 s[0:1], s[4:5], 0x8c
	s_load_dwordx4 s[24:27], s[4:5], 0x98
	s_abs_i32 s18, s28
	s_mul_hi_u32 s19, s18, s38
	s_ashr_i32 s36, s28, 31
	s_waitcnt lgkmcnt(0)
	s_ashr_i32 s15, s0, 2
	s_ashr_i32 s0, s33, 31
	;; [unrolled: 1-line block ×4, first 2 shown]
	s_mul_hi_u32 s37, s24, s33
	s_mul_i32 s38, s24, s0
	s_add_i32 s37, s37, s38
	s_mul_i32 s25, s25, s33
	s_ashr_i32 s31, s31, 31
	s_add_i32 s37, s37, s25
	s_mul_i32 s24, s24, s33
	s_add_u32 s10, s10, s24
	s_mul_i32 s25, s19, s29
	s_addc_u32 s11, s11, s37
	s_sub_i32 s18, s18, s25
	s_xor_b32 s24, s36, s31
	s_add_i32 s25, s19, 1
	s_sub_i32 s31, s18, s29
	s_cmp_ge_u32 s18, s29
	s_cselect_b32 s19, s25, s19
	s_cselect_b32 s18, s31, s18
	s_add_i32 s25, s19, 1
	s_cmp_ge_u32 s18, s29
	v_lshrrev_b32_e32 v0, 2, v51
	s_cselect_b32 s18, s25, s19
	v_lshl_add_u32 v0, v1, 3, v0
	s_load_dwordx2 s[8:9], s[4:5], 0xa8
	s_xor_b32 s18, s18, s24
	v_mul_lo_u32 v6, s15, v0
	s_sub_i32 s18, s18, s24
	s_mul_i32 s1, s18, s1
	s_ashr_i32 s19, s1, 31
	v_and_b32_e32 v7, 12, v50
	s_add_u32 s1, s10, s1
	v_mul_u32_u24_e32 v8, 0x50, v0
	v_lshlrev_b32_e32 v0, 2, v7
	v_ashrrev_i32_e32 v7, 31, v6
	s_addc_u32 s10, s11, s19
	s_waitcnt lgkmcnt(0)
	s_mul_hi_u32 s11, s8, s33
	s_mul_i32 s0, s8, s0
	v_lshlrev_b64 v[6:7], 2, v[6:7]
	s_add_i32 s0, s11, s0
	s_mul_i32 s9, s9, s33
	s_movk_i32 s11, 0x6000
	s_add_i32 s0, s0, s9
	s_mul_i32 s8, s8, s33
	v_add3_u32 v66, v8, v0, s11
	v_mov_b32_e32 v8, s10
	v_add_co_u32_e32 v6, vcc, s1, v6
	s_add_u32 s8, s12, s8
	s_mul_i32 s18, s18, s27
	v_addc_co_u32_e32 v7, vcc, v8, v7, vcc
	s_addc_u32 s0, s13, s0
	s_ashr_i32 s9, s18, 31
	v_add_co_u32_e32 v0, vcc, v6, v0
	s_add_u32 s8, s8, s18
	buffer_store_dword v0, off, s[40:43], 0 ; 4-byte Folded Spill
	v_addc_co_u32_e32 v0, vcc, 0, v7, vcc
	s_addc_u32 s9, s0, s9
	s_movk_i32 s0, 0x50
	buffer_store_dword v0, off, s[40:43], 0 offset:4 ; 4-byte Folded Spill
	v_mov_b32_e32 v0, 0x6000
	v_mad_u32_u24 v58, v51, s0, v0
	v_mad_u64_u32 v[6:7], s[0:1], v3, s26, v[51:52]
	v_mov_b32_e32 v0, 0x4000
	v_lshl_add_u32 v59, v1, 10, v0
	v_mov_b32_e32 v0, v51
	buffer_store_dword v6, off, s[40:43], 0 offset:8 ; 4-byte Folded Spill
	s_nop 0
	buffer_store_dword v7, off, s[40:43], 0 offset:12 ; 4-byte Folded Spill
	buffer_store_dword v0, off, s[40:43], 0 offset:24 ; 4-byte Folded Spill
	s_nop 0
	buffer_store_dword v1, off, s[40:43], 0 offset:28 ; 4-byte Folded Spill
	v_lshrrev_b32_e32 v0, 4, v51
	v_and_b32_e32 v3, 60, v50
	v_lshlrev_b32_e32 v3, 2, v3
	v_mov_b32_e32 v6, s9
	v_mbcnt_hi_u32_b32 v48, -1, v5
	v_or_b32_e32 v63, 0x6000, v4
	s_add_u32 s0, s4, 0xd0
	v_add_u32_e32 v2, v59, v2
	v_mov_b32_e32 v13, 0
	s_addc_u32 s1, s5, 0
	v_mov_b32_e32 v68, 0
	v_xor_b32_e32 v44, 16, v48
	v_xor_b32_e32 v64, 8, v48
	;; [unrolled: 1-line block ×4, first 2 shown]
	s_mov_b32 s10, 0x3fb8aa3b
	s_mov_b32 s11, 0xc2ce8ed0
	;; [unrolled: 1-line block ×3, first 2 shown]
	v_mov_b32_e32 v65, 0x7f800000
	s_mov_b32 s13, 0x10001
	buffer_store_dword v2, off, s[40:43], 0 offset:20 ; 4-byte Folded Spill
	v_add_u32_e32 v67, 0x800, v63
	v_mov_b32_e32 v69, 0
	v_mov_b32_e32 v71, 0
	;; [unrolled: 1-line block ×27, first 2 shown]
	v_lshl_add_u32 v1, v1, 1, v0
	v_mul_lo_u32 v0, s14, v1
	v_lshl_or_b32 v1, v1, 8, v3
	v_add_u32_e32 v60, 0x6000, v1
	v_ashrrev_i32_e32 v1, 31, v0
	v_lshlrev_b64 v[0:1], 2, v[0:1]
	v_add_co_u32_e32 v0, vcc, s8, v0
	v_addc_co_u32_e32 v1, vcc, v6, v1, vcc
	v_add_co_u32_e32 v61, vcc, v0, v3
	v_and_b32_e32 v0, 0x60, v48
	v_mov_b32_e32 v3, s35
	v_addc_co_u32_e32 v62, vcc, 0, v1, vcc
	v_mov_b32_e32 v1, 0xfeffffff
	v_add_u32_e32 v49, 32, v0
	v_xor_b32_e32 v0, 2, v48
	buffer_store_dword v3, off, s[40:43], 0 offset:16 ; 4-byte Folded Spill
	v_mov_b32_e32 v3, 0xfeffffff
	v_mov_b32_e32 v6, 0xfeffffff
.LBB0_9:                                ; =>This Inner Loop Header: Depth=1
	v_mov_b32_e32 v98, v1
	buffer_load_dword v1, off, s[40:43], 0  ; 4-byte Folded Reload
	v_mov_b32_e32 v97, v2
	buffer_load_dword v2, off, s[40:43], 0 offset:4 ; 4-byte Folded Reload
	s_mul_hi_i32 s9, s6, s15
	s_mul_i32 s8, s6, s15
	s_lshl_b64 s[8:9], s[8:9], 2
	v_mov_b32_e32 v93, v4
	v_mov_b32_e32 v95, v3
	;; [unrolled: 1-line block ×21, first 2 shown]
	s_waitcnt vmcnt(1)
	v_add_co_u32_e32 v42, vcc, s8, v1
	v_mov_b32_e32 v1, s9
	s_waitcnt vmcnt(0)
	v_addc_co_u32_e32 v43, vcc, v2, v1, vcc
	global_load_dwordx4 v[1:4], v[42:43], off
	v_cmp_lt_i32_e32 vcc, v44, v49
	s_mul_hi_i32 s9, s6, s14
	s_mul_i32 s8, s6, s14
	s_lshl_b64 s[8:9], s[8:9], 2
	s_waitcnt vmcnt(0)
	ds_write_b128 v66, v[1:4]
	s_waitcnt lgkmcnt(0)
	s_barrier
	ds_read_b128 v[37:40], v58
	ds_read_b128 v[1:4], v58 offset:2560
	ds_read_b128 v[33:36], v46
	ds_read_b128 v[29:32], v46 offset:256
	ds_read_b128 v[25:28], v46 offset:512
	;; [unrolled: 1-line block ×7, first 2 shown]
	s_waitcnt lgkmcnt(7)
	;;#ASMSTART
	v_dot2_f32_f16 v99, v37, v33, v99
	;;#ASMEND
	;;#ASMSTART
	v_dot2_f32_f16 v99, v38, v34, v99
	;;#ASMEND
	;;#ASMSTART
	v_dot2_f32_f16 v99, v39, v35, v99
	;;#ASMEND
	;;#ASMSTART
	v_dot2_f32_f16 v99, v40, v36, v99
	;;#ASMEND
	s_waitcnt lgkmcnt(6)
	;;#ASMSTART
	v_dot2_f32_f16 v100, v37, v29, v100
	;;#ASMEND
	;;#ASMSTART
	v_dot2_f32_f16 v100, v38, v30, v100
	;;#ASMEND
	;;#ASMSTART
	v_dot2_f32_f16 v100, v39, v31, v100
	;;#ASMEND
	;;#ASMSTART
	v_dot2_f32_f16 v100, v40, v32, v100
	;;#ASMEND
	;; [unrolled: 13-line block ×7, first 2 shown]
	s_waitcnt lgkmcnt(0)
	;;#ASMSTART
	v_dot2_f32_f16 v106, v37, v5, v106
	;;#ASMEND
	;;#ASMSTART
	v_dot2_f32_f16 v106, v38, v6, v106
	;;#ASMEND
	;;#ASMSTART
	v_dot2_f32_f16 v106, v39, v7, v106
	;;#ASMEND
	v_mov_b32_e32 v37, 0
	;;#ASMSTART
	v_dot2_f32_f16 v106, v40, v8, v106
	;;#ASMEND
	;;#ASMSTART
	v_dot2_f32_f16 v37, v1, v33, v37
	;;#ASMEND
	;;#ASMSTART
	v_dot2_f32_f16 v37, v2, v34, v37
	;;#ASMEND
	;;#ASMSTART
	v_dot2_f32_f16 v37, v3, v35, v37
	;;#ASMEND
	v_mov_b32_e32 v33, 0
	;;#ASMSTART
	v_dot2_f32_f16 v37, v4, v36, v37
	;;#ASMEND
	;; [unrolled: 13-line block ×8, first 2 shown]
	;;#ASMSTART
	v_dot2_f32_f16 v9, v1, v5, v9
	;;#ASMEND
	;;#ASMSTART
	v_dot2_f32_f16 v9, v2, v6, v9
	;;#ASMEND
	;; [unrolled: 3-line block ×4, first 2 shown]
	ds_read_b128 v[1:4], v58 offset:16
	ds_read_b128 v[5:8], v58 offset:2576
	;; [unrolled: 1-line block ×10, first 2 shown]
	s_waitcnt lgkmcnt(7)
	;;#ASMSTART
	v_dot2_f32_f16 v99, v1, v107, v99
	;;#ASMEND
	;;#ASMSTART
	v_dot2_f32_f16 v99, v2, v108, v99
	;;#ASMEND
	;;#ASMSTART
	v_dot2_f32_f16 v99, v3, v109, v99
	;;#ASMEND
	;;#ASMSTART
	v_dot2_f32_f16 v99, v4, v110, v99
	;;#ASMEND
	s_waitcnt lgkmcnt(6)
	;;#ASMSTART
	v_dot2_f32_f16 v100, v1, v111, v100
	;;#ASMEND
	;;#ASMSTART
	v_dot2_f32_f16 v100, v2, v112, v100
	;;#ASMEND
	;;#ASMSTART
	v_dot2_f32_f16 v100, v3, v113, v100
	;;#ASMEND
	;;#ASMSTART
	v_dot2_f32_f16 v100, v4, v114, v100
	;;#ASMEND
	;; [unrolled: 13-line block ×8, first 2 shown]
	;;#ASMSTART
	v_dot2_f32_f16 v37, v5, v107, v37
	;;#ASMEND
	;;#ASMSTART
	v_dot2_f32_f16 v37, v6, v108, v37
	;;#ASMEND
	;; [unrolled: 3-line block ×32, first 2 shown]
	ds_read_b128 v[1:4], v58 offset:32
	ds_read_b128 v[5:8], v58 offset:2592
	ds_read_b128 v[38:41], v46 offset:32
	ds_read_b128 v[50:53], v46 offset:288
	ds_read_b128 v[54:57], v46 offset:544
	ds_read_b128 v[107:110], v46 offset:800
	ds_read_b128 v[111:114], v46 offset:1056
	ds_read_b128 v[115:118], v46 offset:1312
	ds_read_b128 v[119:122], v46 offset:1568
	ds_read_b128 v[123:126], v46 offset:1824
	s_waitcnt lgkmcnt(7)
	;;#ASMSTART
	v_dot2_f32_f16 v99, v1, v38, v99
	;;#ASMEND
	;;#ASMSTART
	v_dot2_f32_f16 v99, v2, v39, v99
	;;#ASMEND
	;;#ASMSTART
	v_dot2_f32_f16 v99, v3, v40, v99
	;;#ASMEND
	;;#ASMSTART
	v_dot2_f32_f16 v99, v4, v41, v99
	;;#ASMEND
	s_waitcnt lgkmcnt(6)
	;;#ASMSTART
	v_dot2_f32_f16 v100, v1, v50, v100
	;;#ASMEND
	;;#ASMSTART
	v_dot2_f32_f16 v100, v2, v51, v100
	;;#ASMEND
	;;#ASMSTART
	v_dot2_f32_f16 v100, v3, v52, v100
	;;#ASMEND
	;;#ASMSTART
	v_dot2_f32_f16 v100, v4, v53, v100
	;;#ASMEND
	;; [unrolled: 13-line block ×8, first 2 shown]
	;;#ASMSTART
	v_dot2_f32_f16 v37, v5, v38, v37
	;;#ASMEND
	;;#ASMSTART
	v_dot2_f32_f16 v37, v6, v39, v37
	;;#ASMEND
	;; [unrolled: 3-line block ×32, first 2 shown]
	ds_read_b128 v[1:4], v58 offset:48
	ds_read_b128 v[5:8], v58 offset:2608
	;; [unrolled: 1-line block ×10, first 2 shown]
	s_waitcnt lgkmcnt(7)
	;;#ASMSTART
	v_dot2_f32_f16 v99, v1, v38, v99
	;;#ASMEND
	;;#ASMSTART
	v_dot2_f32_f16 v99, v2, v39, v99
	;;#ASMEND
	;;#ASMSTART
	v_dot2_f32_f16 v99, v3, v40, v99
	;;#ASMEND
	;;#ASMSTART
	v_dot2_f32_f16 v99, v4, v41, v99
	;;#ASMEND
	s_waitcnt lgkmcnt(6)
	;;#ASMSTART
	v_dot2_f32_f16 v100, v1, v50, v100
	;;#ASMEND
	;;#ASMSTART
	v_dot2_f32_f16 v100, v2, v51, v100
	;;#ASMEND
	;;#ASMSTART
	v_dot2_f32_f16 v100, v3, v52, v100
	;;#ASMEND
	;;#ASMSTART
	v_dot2_f32_f16 v100, v4, v53, v100
	;;#ASMEND
	;; [unrolled: 13-line block ×8, first 2 shown]
	;;#ASMSTART
	v_dot2_f32_f16 v37, v5, v38, v37
	;;#ASMEND
	;;#ASMSTART
	v_dot2_f32_f16 v37, v6, v39, v37
	;;#ASMEND
	;; [unrolled: 3-line block ×32, first 2 shown]
	s_barrier
	global_load_dwordx4 v[1:4], v[42:43], off offset:64
	s_waitcnt vmcnt(0)
	ds_write_b128 v66, v[1:4]
	s_waitcnt lgkmcnt(0)
	s_barrier
	ds_read_b128 v[1:4], v58
	ds_read_b128 v[5:8], v58 offset:2560
	ds_read_b128 v[38:41], v46 offset:64
	;; [unrolled: 1-line block ×9, first 2 shown]
	s_waitcnt lgkmcnt(7)
	;;#ASMSTART
	v_dot2_f32_f16 v99, v1, v38, v99
	;;#ASMEND
	;;#ASMSTART
	v_dot2_f32_f16 v99, v2, v39, v99
	;;#ASMEND
	;;#ASMSTART
	v_dot2_f32_f16 v99, v3, v40, v99
	;;#ASMEND
	;;#ASMSTART
	v_dot2_f32_f16 v99, v4, v41, v99
	;;#ASMEND
	s_waitcnt lgkmcnt(6)
	;;#ASMSTART
	v_dot2_f32_f16 v100, v1, v50, v100
	;;#ASMEND
	;;#ASMSTART
	v_dot2_f32_f16 v100, v2, v51, v100
	;;#ASMEND
	;;#ASMSTART
	v_dot2_f32_f16 v100, v3, v52, v100
	;;#ASMEND
	;;#ASMSTART
	v_dot2_f32_f16 v100, v4, v53, v100
	;;#ASMEND
	;; [unrolled: 13-line block ×8, first 2 shown]
	;;#ASMSTART
	v_dot2_f32_f16 v37, v5, v38, v37
	;;#ASMEND
	;;#ASMSTART
	v_dot2_f32_f16 v37, v6, v39, v37
	;;#ASMEND
	;; [unrolled: 3-line block ×32, first 2 shown]
	ds_read_b128 v[1:4], v58 offset:16
	ds_read_b128 v[5:8], v58 offset:2576
	;; [unrolled: 1-line block ×10, first 2 shown]
	s_waitcnt lgkmcnt(7)
	;;#ASMSTART
	v_dot2_f32_f16 v99, v1, v38, v99
	;;#ASMEND
	;;#ASMSTART
	v_dot2_f32_f16 v99, v2, v39, v99
	;;#ASMEND
	;;#ASMSTART
	v_dot2_f32_f16 v99, v3, v40, v99
	;;#ASMEND
	;;#ASMSTART
	v_dot2_f32_f16 v99, v4, v41, v99
	;;#ASMEND
	s_waitcnt lgkmcnt(6)
	;;#ASMSTART
	v_dot2_f32_f16 v100, v1, v50, v100
	;;#ASMEND
	;;#ASMSTART
	v_dot2_f32_f16 v100, v2, v51, v100
	;;#ASMEND
	;;#ASMSTART
	v_dot2_f32_f16 v100, v3, v52, v100
	;;#ASMEND
	;;#ASMSTART
	v_dot2_f32_f16 v100, v4, v53, v100
	;;#ASMEND
	;; [unrolled: 13-line block ×8, first 2 shown]
	;;#ASMSTART
	v_dot2_f32_f16 v37, v5, v38, v37
	;;#ASMEND
	;;#ASMSTART
	v_dot2_f32_f16 v37, v6, v39, v37
	;;#ASMEND
	;; [unrolled: 3-line block ×32, first 2 shown]
	ds_read_b128 v[1:4], v58 offset:32
	ds_read_b128 v[5:8], v58 offset:2592
	;; [unrolled: 1-line block ×10, first 2 shown]
	s_waitcnt lgkmcnt(7)
	;;#ASMSTART
	v_dot2_f32_f16 v99, v1, v38, v99
	;;#ASMEND
	;;#ASMSTART
	v_dot2_f32_f16 v99, v2, v39, v99
	;;#ASMEND
	;;#ASMSTART
	v_dot2_f32_f16 v99, v3, v40, v99
	;;#ASMEND
	;;#ASMSTART
	v_dot2_f32_f16 v99, v4, v41, v99
	;;#ASMEND
	s_waitcnt lgkmcnt(6)
	;;#ASMSTART
	v_dot2_f32_f16 v100, v1, v50, v100
	;;#ASMEND
	;;#ASMSTART
	v_dot2_f32_f16 v100, v2, v51, v100
	;;#ASMEND
	;;#ASMSTART
	v_dot2_f32_f16 v100, v3, v52, v100
	;;#ASMEND
	;;#ASMSTART
	v_dot2_f32_f16 v100, v4, v53, v100
	;;#ASMEND
	;; [unrolled: 13-line block ×8, first 2 shown]
	;;#ASMSTART
	v_dot2_f32_f16 v37, v5, v38, v37
	;;#ASMEND
	;;#ASMSTART
	v_dot2_f32_f16 v37, v6, v39, v37
	;;#ASMEND
	;; [unrolled: 3-line block ×32, first 2 shown]
	ds_read_b128 v[1:4], v58 offset:48
	ds_read_b128 v[5:8], v58 offset:2608
	;; [unrolled: 1-line block ×10, first 2 shown]
	s_waitcnt lgkmcnt(7)
	;;#ASMSTART
	v_dot2_f32_f16 v99, v1, v38, v99
	;;#ASMEND
	;;#ASMSTART
	v_dot2_f32_f16 v99, v2, v39, v99
	;;#ASMEND
	;;#ASMSTART
	v_dot2_f32_f16 v99, v3, v40, v99
	;;#ASMEND
	;;#ASMSTART
	v_dot2_f32_f16 v99, v4, v41, v99
	;;#ASMEND
	s_waitcnt lgkmcnt(6)
	;;#ASMSTART
	v_dot2_f32_f16 v100, v1, v50, v100
	;;#ASMEND
	;;#ASMSTART
	v_dot2_f32_f16 v100, v2, v51, v100
	;;#ASMEND
	;;#ASMSTART
	v_dot2_f32_f16 v100, v3, v52, v100
	;;#ASMEND
	;;#ASMSTART
	v_dot2_f32_f16 v100, v4, v53, v100
	;;#ASMEND
	;; [unrolled: 13-line block ×8, first 2 shown]
	;;#ASMSTART
	v_dot2_f32_f16 v37, v5, v38, v37
	;;#ASMEND
	;;#ASMSTART
	v_dot2_f32_f16 v37, v6, v39, v37
	;;#ASMEND
	;; [unrolled: 3-line block ×32, first 2 shown]
	s_barrier
	global_load_dwordx4 v[1:4], v[42:43], off offset:128
	s_waitcnt vmcnt(0)
	ds_write_b128 v66, v[1:4]
	s_waitcnt lgkmcnt(0)
	s_barrier
	ds_read_b128 v[1:4], v58
	ds_read_b128 v[5:8], v58 offset:2560
	ds_read_b128 v[38:41], v46 offset:128
	ds_read_b128 v[50:53], v46 offset:384
	ds_read_b128 v[54:57], v46 offset:640
	ds_read_b128 v[107:110], v46 offset:896
	ds_read_b128 v[111:114], v46 offset:1152
	ds_read_b128 v[115:118], v46 offset:1408
	ds_read_b128 v[119:122], v46 offset:1664
	ds_read_b128 v[123:126], v46 offset:1920
	s_waitcnt lgkmcnt(7)
	;;#ASMSTART
	v_dot2_f32_f16 v99, v1, v38, v99
	;;#ASMEND
	;;#ASMSTART
	v_dot2_f32_f16 v99, v2, v39, v99
	;;#ASMEND
	;;#ASMSTART
	v_dot2_f32_f16 v99, v3, v40, v99
	;;#ASMEND
	;;#ASMSTART
	v_dot2_f32_f16 v99, v4, v41, v99
	;;#ASMEND
	s_waitcnt lgkmcnt(6)
	;;#ASMSTART
	v_dot2_f32_f16 v100, v1, v50, v100
	;;#ASMEND
	;;#ASMSTART
	v_dot2_f32_f16 v100, v2, v51, v100
	;;#ASMEND
	;;#ASMSTART
	v_dot2_f32_f16 v100, v3, v52, v100
	;;#ASMEND
	;;#ASMSTART
	v_dot2_f32_f16 v100, v4, v53, v100
	;;#ASMEND
	;; [unrolled: 13-line block ×8, first 2 shown]
	;;#ASMSTART
	v_dot2_f32_f16 v37, v5, v38, v37
	;;#ASMEND
	;;#ASMSTART
	v_dot2_f32_f16 v37, v6, v39, v37
	;;#ASMEND
	;;#ASMSTART
	v_dot2_f32_f16 v37, v7, v40, v37
	;;#ASMEND
	;;#ASMSTART
	v_dot2_f32_f16 v37, v8, v41, v37
	;;#ASMEND
	;;#ASMSTART
	v_dot2_f32_f16 v33, v5, v50, v33
	;;#ASMEND
	;;#ASMSTART
	v_dot2_f32_f16 v33, v6, v51, v33
	;;#ASMEND
	;;#ASMSTART
	v_dot2_f32_f16 v33, v7, v52, v33
	;;#ASMEND
	;;#ASMSTART
	v_dot2_f32_f16 v33, v8, v53, v33
	;;#ASMEND
	;;#ASMSTART
	v_dot2_f32_f16 v29, v5, v54, v29
	;;#ASMEND
	;;#ASMSTART
	v_dot2_f32_f16 v29, v6, v55, v29
	;;#ASMEND
	;;#ASMSTART
	v_dot2_f32_f16 v29, v7, v56, v29
	;;#ASMEND
	;;#ASMSTART
	v_dot2_f32_f16 v29, v8, v57, v29
	;;#ASMEND
	;;#ASMSTART
	v_dot2_f32_f16 v25, v5, v107, v25
	;;#ASMEND
	;;#ASMSTART
	v_dot2_f32_f16 v25, v6, v108, v25
	;;#ASMEND
	;;#ASMSTART
	v_dot2_f32_f16 v25, v7, v109, v25
	;;#ASMEND
	;;#ASMSTART
	v_dot2_f32_f16 v25, v8, v110, v25
	;;#ASMEND
	;;#ASMSTART
	v_dot2_f32_f16 v21, v5, v111, v21
	;;#ASMEND
	;;#ASMSTART
	v_dot2_f32_f16 v21, v6, v112, v21
	;;#ASMEND
	;;#ASMSTART
	v_dot2_f32_f16 v21, v7, v113, v21
	;;#ASMEND
	;;#ASMSTART
	v_dot2_f32_f16 v21, v8, v114, v21
	;;#ASMEND
	;;#ASMSTART
	v_dot2_f32_f16 v17, v5, v115, v17
	;;#ASMEND
	;;#ASMSTART
	v_dot2_f32_f16 v17, v6, v116, v17
	;;#ASMEND
	;;#ASMSTART
	v_dot2_f32_f16 v17, v7, v117, v17
	;;#ASMEND
	;;#ASMSTART
	v_dot2_f32_f16 v17, v8, v118, v17
	;;#ASMEND
	;;#ASMSTART
	v_dot2_f32_f16 v13, v5, v119, v13
	;;#ASMEND
	;;#ASMSTART
	v_dot2_f32_f16 v13, v6, v120, v13
	;;#ASMEND
	;;#ASMSTART
	v_dot2_f32_f16 v13, v7, v121, v13
	;;#ASMEND
	;;#ASMSTART
	v_dot2_f32_f16 v13, v8, v122, v13
	;;#ASMEND
	;;#ASMSTART
	v_dot2_f32_f16 v9, v5, v123, v9
	;;#ASMEND
	;;#ASMSTART
	v_dot2_f32_f16 v9, v6, v124, v9
	;;#ASMEND
	;;#ASMSTART
	v_dot2_f32_f16 v9, v7, v125, v9
	;;#ASMEND
	;;#ASMSTART
	v_dot2_f32_f16 v9, v8, v126, v9
	;;#ASMEND
	ds_read_b128 v[1:4], v58 offset:16
	ds_read_b128 v[5:8], v58 offset:2576
	ds_read_b128 v[38:41], v46 offset:144
	ds_read_b128 v[50:53], v46 offset:400
	ds_read_b128 v[54:57], v46 offset:656
	ds_read_b128 v[107:110], v46 offset:912
	ds_read_b128 v[111:114], v46 offset:1168
	ds_read_b128 v[115:118], v46 offset:1424
	ds_read_b128 v[119:122], v46 offset:1680
	ds_read_b128 v[123:126], v46 offset:1936
	s_waitcnt lgkmcnt(7)
	;;#ASMSTART
	v_dot2_f32_f16 v99, v1, v38, v99
	;;#ASMEND
	;;#ASMSTART
	v_dot2_f32_f16 v99, v2, v39, v99
	;;#ASMEND
	;;#ASMSTART
	v_dot2_f32_f16 v99, v3, v40, v99
	;;#ASMEND
	;;#ASMSTART
	v_dot2_f32_f16 v99, v4, v41, v99
	;;#ASMEND
	s_waitcnt lgkmcnt(6)
	;;#ASMSTART
	v_dot2_f32_f16 v100, v1, v50, v100
	;;#ASMEND
	;;#ASMSTART
	v_dot2_f32_f16 v100, v2, v51, v100
	;;#ASMEND
	;;#ASMSTART
	v_dot2_f32_f16 v100, v3, v52, v100
	;;#ASMEND
	;;#ASMSTART
	v_dot2_f32_f16 v100, v4, v53, v100
	;;#ASMEND
	;; [unrolled: 13-line block ×8, first 2 shown]
	;;#ASMSTART
	v_dot2_f32_f16 v37, v5, v38, v37
	;;#ASMEND
	;;#ASMSTART
	v_dot2_f32_f16 v37, v6, v39, v37
	;;#ASMEND
	;; [unrolled: 3-line block ×32, first 2 shown]
	ds_read_b128 v[1:4], v58 offset:32
	ds_read_b128 v[5:8], v58 offset:2592
	ds_read_b128 v[38:41], v46 offset:160
	ds_read_b128 v[50:53], v46 offset:416
	ds_read_b128 v[54:57], v46 offset:672
	ds_read_b128 v[107:110], v46 offset:928
	ds_read_b128 v[111:114], v46 offset:1184
	ds_read_b128 v[115:118], v46 offset:1440
	ds_read_b128 v[119:122], v46 offset:1696
	ds_read_b128 v[123:126], v46 offset:1952
	s_waitcnt lgkmcnt(7)
	;;#ASMSTART
	v_dot2_f32_f16 v99, v1, v38, v99
	;;#ASMEND
	;;#ASMSTART
	v_dot2_f32_f16 v99, v2, v39, v99
	;;#ASMEND
	;;#ASMSTART
	v_dot2_f32_f16 v99, v3, v40, v99
	;;#ASMEND
	;;#ASMSTART
	v_dot2_f32_f16 v99, v4, v41, v99
	;;#ASMEND
	s_waitcnt lgkmcnt(6)
	;;#ASMSTART
	v_dot2_f32_f16 v100, v1, v50, v100
	;;#ASMEND
	;;#ASMSTART
	v_dot2_f32_f16 v100, v2, v51, v100
	;;#ASMEND
	;;#ASMSTART
	v_dot2_f32_f16 v100, v3, v52, v100
	;;#ASMEND
	;;#ASMSTART
	v_dot2_f32_f16 v100, v4, v53, v100
	;;#ASMEND
	;; [unrolled: 13-line block ×8, first 2 shown]
	;;#ASMSTART
	v_dot2_f32_f16 v37, v5, v38, v37
	;;#ASMEND
	;;#ASMSTART
	v_dot2_f32_f16 v37, v6, v39, v37
	;;#ASMEND
	;; [unrolled: 3-line block ×32, first 2 shown]
	ds_read_b128 v[1:4], v58 offset:48
	ds_read_b128 v[5:8], v58 offset:2608
	;; [unrolled: 1-line block ×10, first 2 shown]
	s_waitcnt lgkmcnt(7)
	;;#ASMSTART
	v_dot2_f32_f16 v99, v1, v38, v99
	;;#ASMEND
	;;#ASMSTART
	v_dot2_f32_f16 v99, v2, v39, v99
	;;#ASMEND
	;;#ASMSTART
	v_dot2_f32_f16 v99, v3, v40, v99
	;;#ASMEND
	;;#ASMSTART
	v_dot2_f32_f16 v99, v4, v41, v99
	;;#ASMEND
	s_waitcnt lgkmcnt(6)
	;;#ASMSTART
	v_dot2_f32_f16 v100, v1, v50, v100
	;;#ASMEND
	;;#ASMSTART
	v_dot2_f32_f16 v100, v2, v51, v100
	;;#ASMEND
	;;#ASMSTART
	v_dot2_f32_f16 v100, v3, v52, v100
	;;#ASMEND
	;;#ASMSTART
	v_dot2_f32_f16 v100, v4, v53, v100
	;;#ASMEND
	s_waitcnt lgkmcnt(5)
	;;#ASMSTART
	v_dot2_f32_f16 v101, v1, v54, v101
	;;#ASMEND
	;;#ASMSTART
	v_dot2_f32_f16 v101, v2, v55, v101
	;;#ASMEND
	;;#ASMSTART
	v_dot2_f32_f16 v101, v3, v56, v101
	;;#ASMEND
	;;#ASMSTART
	v_dot2_f32_f16 v101, v4, v57, v101
	;;#ASMEND
	s_waitcnt lgkmcnt(4)
	;;#ASMSTART
	v_dot2_f32_f16 v102, v1, v107, v102
	;;#ASMEND
	;;#ASMSTART
	v_dot2_f32_f16 v102, v2, v108, v102
	;;#ASMEND
	;;#ASMSTART
	v_dot2_f32_f16 v102, v3, v109, v102
	;;#ASMEND
	;;#ASMSTART
	v_dot2_f32_f16 v102, v4, v110, v102
	;;#ASMEND
	s_waitcnt lgkmcnt(3)
	;;#ASMSTART
	v_dot2_f32_f16 v103, v1, v111, v103
	;;#ASMEND
	;;#ASMSTART
	v_dot2_f32_f16 v103, v2, v112, v103
	;;#ASMEND
	;;#ASMSTART
	v_dot2_f32_f16 v103, v3, v113, v103
	;;#ASMEND
	;;#ASMSTART
	v_dot2_f32_f16 v103, v4, v114, v103
	;;#ASMEND
	s_waitcnt lgkmcnt(2)
	;;#ASMSTART
	v_dot2_f32_f16 v104, v1, v115, v104
	;;#ASMEND
	;;#ASMSTART
	v_dot2_f32_f16 v104, v2, v116, v104
	;;#ASMEND
	;;#ASMSTART
	v_dot2_f32_f16 v104, v3, v117, v104
	;;#ASMEND
	;;#ASMSTART
	v_dot2_f32_f16 v104, v4, v118, v104
	;;#ASMEND
	s_waitcnt lgkmcnt(1)
	;;#ASMSTART
	v_dot2_f32_f16 v105, v1, v119, v105
	;;#ASMEND
	;;#ASMSTART
	v_dot2_f32_f16 v105, v2, v120, v105
	;;#ASMEND
	;;#ASMSTART
	v_dot2_f32_f16 v105, v3, v121, v105
	;;#ASMEND
	;;#ASMSTART
	v_dot2_f32_f16 v105, v4, v122, v105
	;;#ASMEND
	s_waitcnt lgkmcnt(0)
	;;#ASMSTART
	v_dot2_f32_f16 v106, v1, v123, v106
	;;#ASMEND
	;;#ASMSTART
	v_dot2_f32_f16 v106, v2, v124, v106
	;;#ASMEND
	;;#ASMSTART
	v_dot2_f32_f16 v106, v3, v125, v106
	;;#ASMEND
	;;#ASMSTART
	v_dot2_f32_f16 v106, v4, v126, v106
	;;#ASMEND
	;;#ASMSTART
	v_dot2_f32_f16 v37, v5, v38, v37
	;;#ASMEND
	;;#ASMSTART
	v_dot2_f32_f16 v37, v6, v39, v37
	;;#ASMEND
	;; [unrolled: 3-line block ×32, first 2 shown]
	s_barrier
	global_load_dwordx4 v[1:4], v[42:43], off offset:192
	s_waitcnt vmcnt(0)
	ds_write_b128 v66, v[1:4]
	s_waitcnt lgkmcnt(0)
	s_barrier
	ds_read_b128 v[1:4], v58
	ds_read_b128 v[5:8], v58 offset:2560
	ds_read_b128 v[38:41], v46 offset:192
	;; [unrolled: 1-line block ×9, first 2 shown]
	s_waitcnt lgkmcnt(7)
	;;#ASMSTART
	v_dot2_f32_f16 v99, v1, v38, v99
	;;#ASMEND
	;;#ASMSTART
	v_dot2_f32_f16 v99, v2, v39, v99
	;;#ASMEND
	;;#ASMSTART
	v_dot2_f32_f16 v99, v3, v40, v99
	;;#ASMEND
	;;#ASMSTART
	v_dot2_f32_f16 v99, v4, v41, v99
	;;#ASMEND
	s_waitcnt lgkmcnt(6)
	;;#ASMSTART
	v_dot2_f32_f16 v100, v1, v50, v100
	;;#ASMEND
	;;#ASMSTART
	v_dot2_f32_f16 v100, v2, v51, v100
	;;#ASMEND
	;;#ASMSTART
	v_dot2_f32_f16 v100, v3, v52, v100
	;;#ASMEND
	;;#ASMSTART
	v_dot2_f32_f16 v100, v4, v53, v100
	;;#ASMEND
	;; [unrolled: 13-line block ×8, first 2 shown]
	;;#ASMSTART
	v_dot2_f32_f16 v37, v5, v38, v37
	;;#ASMEND
	;;#ASMSTART
	v_dot2_f32_f16 v37, v6, v39, v37
	;;#ASMEND
	;; [unrolled: 3-line block ×32, first 2 shown]
	ds_read_b128 v[1:4], v58 offset:16
	ds_read_b128 v[5:8], v58 offset:2576
	;; [unrolled: 1-line block ×10, first 2 shown]
	s_waitcnt lgkmcnt(7)
	;;#ASMSTART
	v_dot2_f32_f16 v99, v1, v38, v99
	;;#ASMEND
	;;#ASMSTART
	v_dot2_f32_f16 v99, v2, v39, v99
	;;#ASMEND
	;;#ASMSTART
	v_dot2_f32_f16 v99, v3, v40, v99
	;;#ASMEND
	;;#ASMSTART
	v_dot2_f32_f16 v99, v4, v41, v99
	;;#ASMEND
	s_waitcnt lgkmcnt(6)
	;;#ASMSTART
	v_dot2_f32_f16 v100, v1, v50, v100
	;;#ASMEND
	;;#ASMSTART
	v_dot2_f32_f16 v100, v2, v51, v100
	;;#ASMEND
	;;#ASMSTART
	v_dot2_f32_f16 v100, v3, v52, v100
	;;#ASMEND
	;;#ASMSTART
	v_dot2_f32_f16 v100, v4, v53, v100
	;;#ASMEND
	;; [unrolled: 13-line block ×8, first 2 shown]
	;;#ASMSTART
	v_dot2_f32_f16 v37, v5, v38, v37
	;;#ASMEND
	;;#ASMSTART
	v_dot2_f32_f16 v37, v6, v39, v37
	;;#ASMEND
	;; [unrolled: 3-line block ×32, first 2 shown]
	ds_read_b128 v[1:4], v58 offset:32
	ds_read_b128 v[5:8], v58 offset:2592
	;; [unrolled: 1-line block ×10, first 2 shown]
	s_waitcnt lgkmcnt(7)
	;;#ASMSTART
	v_dot2_f32_f16 v99, v1, v38, v99
	;;#ASMEND
	;;#ASMSTART
	v_dot2_f32_f16 v99, v2, v39, v99
	;;#ASMEND
	;;#ASMSTART
	v_dot2_f32_f16 v99, v3, v40, v99
	;;#ASMEND
	;;#ASMSTART
	v_dot2_f32_f16 v99, v4, v41, v99
	;;#ASMEND
	s_waitcnt lgkmcnt(6)
	;;#ASMSTART
	v_dot2_f32_f16 v100, v1, v50, v100
	;;#ASMEND
	;;#ASMSTART
	v_dot2_f32_f16 v100, v2, v51, v100
	;;#ASMEND
	;;#ASMSTART
	v_dot2_f32_f16 v100, v3, v52, v100
	;;#ASMEND
	;;#ASMSTART
	v_dot2_f32_f16 v100, v4, v53, v100
	;;#ASMEND
	;; [unrolled: 13-line block ×8, first 2 shown]
	;;#ASMSTART
	v_dot2_f32_f16 v37, v5, v38, v37
	;;#ASMEND
	;;#ASMSTART
	v_dot2_f32_f16 v37, v6, v39, v37
	;;#ASMEND
	;; [unrolled: 3-line block ×32, first 2 shown]
	ds_read_b128 v[1:4], v58 offset:48
	ds_read_b128 v[5:8], v58 offset:2608
	;; [unrolled: 1-line block ×10, first 2 shown]
	s_waitcnt lgkmcnt(7)
	;;#ASMSTART
	v_dot2_f32_f16 v99, v1, v38, v99
	;;#ASMEND
	;;#ASMSTART
	v_dot2_f32_f16 v99, v2, v39, v99
	;;#ASMEND
	;;#ASMSTART
	v_dot2_f32_f16 v99, v3, v40, v99
	;;#ASMEND
	;;#ASMSTART
	v_dot2_f32_f16 v99, v4, v41, v99
	;;#ASMEND
	s_waitcnt lgkmcnt(6)
	;;#ASMSTART
	v_dot2_f32_f16 v100, v1, v50, v100
	;;#ASMEND
	;;#ASMSTART
	v_dot2_f32_f16 v100, v2, v51, v100
	;;#ASMEND
	;;#ASMSTART
	v_dot2_f32_f16 v100, v3, v52, v100
	;;#ASMEND
	;;#ASMSTART
	v_dot2_f32_f16 v100, v4, v53, v100
	;;#ASMEND
	;; [unrolled: 13-line block ×8, first 2 shown]
	;;#ASMSTART
	v_dot2_f32_f16 v37, v5, v38, v37
	;;#ASMEND
	;;#ASMSTART
	v_dot2_f32_f16 v37, v6, v39, v37
	;;#ASMEND
	;; [unrolled: 3-line block ×32, first 2 shown]
	buffer_load_dword v1, off, s[40:43], 0 offset:8 ; 4-byte Folded Reload
	buffer_load_dword v2, off, s[40:43], 0 offset:12 ; 4-byte Folded Reload
	;; [unrolled: 1-line block ×3, first 2 shown]
	s_waitcnt vmcnt(1)
	v_cndmask_b32_e32 v2, v48, v44, vcc
	v_cmp_lt_i32_e32 vcc, v64, v49
	v_lshlrev_b32_e32 v8, 2, v2
	v_cndmask_b32_e32 v2, v48, v64, vcc
	v_cmp_lt_i32_e32 vcc, v127, v49
	v_lshlrev_b32_e32 v11, 2, v2
	;; [unrolled: 3-line block ×4, first 2 shown]
	v_cndmask_b32_e32 v2, v48, v45, vcc
	v_lshlrev_b32_e32 v20, 2, v2
	v_add_u32_e32 v1, s6, v1
	v_ashrrev_i32_e32 v2, 31, v1
	v_lshlrev_b64 v[1:2], 1, v[1:2]
	v_add_co_u32_e32 v1, vcc, s34, v1
	s_waitcnt vmcnt(0)
	v_addc_co_u32_e32 v2, vcc, v3, v2, vcc
	global_load_ushort v3, v[1:2], off
	s_waitcnt vmcnt(0)
	v_cvt_f32_f16_e32 v10, v3
	global_load_ushort v1, v[1:2], off offset:64
	s_waitcnt vmcnt(0)
	s_barrier
	v_add_f32_e32 v22, v99, v10
	v_add_f32_e32 v3, 0x40051340, v22
	;; [unrolled: 1-line block ×7, first 2 shown]
	v_cvt_f32_f16_e32 v23, v1
	v_add_f32_e32 v24, v37, v23
	v_add_f32_e32 v1, 0x40051340, v24
	v_max3_f32 v1, v98, v3, v1
	ds_bpermute_b32 v2, v8, v1
	v_add_f32_e32 v27, v33, v23
	v_add_f32_e32 v3, 0x40051340, v27
	v_add_f32_e32 v33, v29, v23
	v_add_f32_e32 v4, 0x40051340, v33
	s_waitcnt lgkmcnt(0)
	v_max_f32_e32 v2, v2, v2
	v_max_f32_e32 v1, v1, v2
	ds_bpermute_b32 v2, v11, v1
	v_add_f32_e32 v16, v25, v23
	v_add_f32_e32 v5, 0x40051340, v16
	v_add_f32_e32 v29, v103, v10
	v_add_f32_e32 v28, v21, v23
	s_waitcnt lgkmcnt(0)
	v_max_f32_e32 v2, v2, v2
	v_max_f32_e32 v1, v1, v2
	;; [unrolled: 8-line block ×3, first 2 shown]
	ds_bpermute_b32 v2, v15, v1
	v_add_f32_e32 v12, 0x40051340, v19
	s_waitcnt lgkmcnt(0)
	v_max_f32_e32 v2, v2, v2
	v_max_f32_e32 v1, v1, v2
	ds_bpermute_b32 v2, v20, v1
	s_waitcnt lgkmcnt(0)
	v_max_f32_e32 v2, v2, v2
	v_max_f32_e32 v1, v1, v2
	v_add_f32_e32 v2, 0x40051340, v26
	v_max3_f32 v2, v97, v2, v3
	ds_bpermute_b32 v3, v8, v2
	s_waitcnt lgkmcnt(0)
	v_max_f32_e32 v3, v3, v3
	v_max_f32_e32 v2, v2, v3
	ds_bpermute_b32 v3, v11, v2
	s_waitcnt lgkmcnt(0)
	v_max_f32_e32 v3, v3, v3
	v_max_f32_e32 v2, v2, v3
	ds_bpermute_b32 v3, v14, v2
	s_waitcnt lgkmcnt(0)
	v_max_f32_e32 v3, v3, v3
	v_max_f32_e32 v2, v2, v3
	ds_bpermute_b32 v3, v15, v2
	s_waitcnt lgkmcnt(0)
	v_max_f32_e32 v3, v3, v3
	v_max_f32_e32 v2, v2, v3
	ds_bpermute_b32 v3, v20, v2
	s_waitcnt lgkmcnt(0)
	v_max_f32_e32 v3, v3, v3
	v_max_f32_e32 v2, v2, v3
	v_add_f32_e32 v3, 0x40051340, v31
	v_max3_f32 v3, v95, v3, v4
	ds_bpermute_b32 v4, v8, v3
	s_waitcnt lgkmcnt(0)
	v_max_f32_e32 v4, v4, v4
	v_max_f32_e32 v3, v3, v4
	ds_bpermute_b32 v4, v11, v3
	s_waitcnt lgkmcnt(0)
	v_max_f32_e32 v4, v4, v4
	v_max_f32_e32 v3, v3, v4
	ds_bpermute_b32 v4, v14, v3
	s_waitcnt lgkmcnt(0)
	v_max_f32_e32 v4, v4, v4
	v_max_f32_e32 v3, v3, v4
	ds_bpermute_b32 v4, v15, v3
	;; [unrolled: 22-line block ×3, first 2 shown]
	s_waitcnt lgkmcnt(0)
	v_max_f32_e32 v5, v5, v5
	v_max_f32_e32 v4, v4, v5
	ds_bpermute_b32 v5, v20, v4
	s_waitcnt lgkmcnt(0)
	v_max_f32_e32 v5, v5, v5
	v_max_f32_e32 v4, v4, v5
	v_add_f32_e32 v5, 0x40051340, v29
	v_max3_f32 v5, v91, v5, v6
	ds_bpermute_b32 v6, v8, v5
	v_sub_f32_e32 v16, v16, v4
	s_waitcnt lgkmcnt(0)
	v_max_f32_e32 v6, v6, v6
	v_max_f32_e32 v5, v5, v6
	ds_bpermute_b32 v6, v11, v5
	s_waitcnt lgkmcnt(0)
	v_max_f32_e32 v6, v6, v6
	v_max_f32_e32 v5, v5, v6
	ds_bpermute_b32 v6, v14, v5
	;; [unrolled: 4-line block ×4, first 2 shown]
	s_waitcnt lgkmcnt(0)
	v_max_f32_e32 v6, v6, v6
	v_max_f32_e32 v5, v5, v6
	v_add_f32_e32 v6, 0x40051340, v30
	v_max3_f32 v6, v89, v6, v7
	ds_bpermute_b32 v7, v8, v6
	v_sub_f32_e32 v28, v28, v5
	s_waitcnt lgkmcnt(0)
	v_max_f32_e32 v7, v7, v7
	v_max_f32_e32 v6, v6, v7
	ds_bpermute_b32 v7, v11, v6
	s_waitcnt lgkmcnt(0)
	v_max_f32_e32 v7, v7, v7
	v_max_f32_e32 v6, v6, v7
	ds_bpermute_b32 v7, v14, v6
	;; [unrolled: 4-line block ×4, first 2 shown]
	s_waitcnt lgkmcnt(0)
	v_max_f32_e32 v7, v7, v7
	v_max_f32_e32 v6, v6, v7
	v_add_f32_e32 v7, 0x40051340, v32
	v_max3_f32 v7, v87, v7, v12
	ds_bpermute_b32 v12, v8, v7
	v_sub_f32_e32 v30, v30, v6
	v_sub_f32_e32 v18, v18, v6
	s_waitcnt lgkmcnt(0)
	v_max_f32_e32 v12, v12, v12
	v_max_f32_e32 v7, v7, v12
	ds_bpermute_b32 v12, v11, v7
	s_waitcnt lgkmcnt(0)
	v_max_f32_e32 v12, v12, v12
	v_max_f32_e32 v7, v7, v12
	ds_bpermute_b32 v12, v14, v7
	;; [unrolled: 4-line block ×4, first 2 shown]
	s_waitcnt lgkmcnt(0)
	v_max_f32_e32 v12, v12, v12
	v_max_f32_e32 v7, v7, v12
	v_add_f32_e32 v12, v106, v10
	v_add_f32_e32 v10, v9, v23
	;; [unrolled: 1-line block ×4, first 2 shown]
	v_max3_f32 v9, v85, v13, v9
	ds_bpermute_b32 v8, v8, v9
	v_sub_f32_e32 v32, v32, v7
	v_sub_f32_e32 v19, v19, v7
	s_waitcnt lgkmcnt(0)
	v_max_f32_e32 v8, v8, v8
	v_max_f32_e32 v8, v9, v8
	ds_bpermute_b32 v9, v11, v8
	s_waitcnt lgkmcnt(0)
	v_max_f32_e32 v9, v9, v9
	v_max_f32_e32 v8, v8, v9
	ds_bpermute_b32 v9, v14, v8
	v_sub_f32_e32 v14, v98, v1
	s_waitcnt lgkmcnt(0)
	v_max_f32_e32 v9, v9, v9
	v_max_f32_e32 v8, v8, v9
	ds_bpermute_b32 v9, v15, v8
	s_waitcnt lgkmcnt(0)
	v_max_f32_e32 v9, v9, v9
	v_max_f32_e32 v8, v8, v9
	ds_bpermute_b32 v9, v20, v8
	s_waitcnt lgkmcnt(0)
	v_max_f32_e32 v9, v9, v9
	v_max_f32_e32 v8, v8, v9
	v_sub_f32_e32 v9, v22, v1
	v_mul_f32_e32 v11, 0x3fb8aa3b, v9
	v_fma_f32 v13, v9, s10, -v11
	v_rndne_f32_e32 v15, v11
	v_fmac_f32_e32 v13, 0x32a5705f, v9
	v_sub_f32_e32 v11, v11, v15
	v_add_f32_e32 v11, v11, v13
	v_exp_f32_e32 v11, v11
	v_cvt_i32_f32_e32 v13, v15
	v_cmp_ngt_f32_e32 vcc, s11, v9
	v_sub_f32_e32 v12, v12, v8
	v_sub_f32_e32 v10, v10, v8
	v_ldexp_f32 v11, v11, v13
	v_sub_f32_e32 v13, v24, v1
	v_mul_f32_e32 v15, 0x3fb8aa3b, v13
	v_fma_f32 v17, v13, s10, -v15
	v_rndne_f32_e32 v20, v15
	v_fmac_f32_e32 v17, 0x32a5705f, v13
	v_sub_f32_e32 v15, v15, v20
	v_add_f32_e32 v15, v15, v17
	v_exp_f32_e32 v15, v15
	v_cvt_i32_f32_e32 v17, v20
	v_cndmask_b32_e32 v11, 0, v11, vcc
	v_cmp_nlt_f32_e32 vcc, s12, v9
	v_cndmask_b32_e32 v11, v65, v11, vcc
	v_ldexp_f32 v15, v15, v17
	v_cmp_ngt_f32_e32 vcc, s11, v13
	v_cndmask_b32_e32 v15, 0, v15, vcc
	v_cmp_nlt_f32_e32 vcc, s12, v13
	v_cndmask_b32_e32 v15, v65, v15, vcc
	v_cvt_f16_f32_e32 v9, v11
	v_add_f32_e32 v13, v11, v15
	v_cvt_f16_f32_e32 v11, v15
	v_mul_f32_e32 v15, 0x3fb8aa3b, v14
	v_fma_f32 v17, v14, s10, -v15
	v_rndne_f32_e32 v20, v15
	v_fmac_f32_e32 v17, 0x32a5705f, v14
	v_sub_f32_e32 v15, v15, v20
	v_add_f32_e32 v15, v15, v17
	v_exp_f32_e32 v15, v15
	v_cvt_i32_f32_e32 v17, v20
	v_cmp_ngt_f32_e32 vcc, s11, v14
	v_ldexp_f32 v15, v15, v17
	v_cndmask_b32_e32 v15, 0, v15, vcc
	v_cmp_nlt_f32_e32 vcc, s12, v14
	v_cndmask_b32_e32 v14, v65, v15, vcc
	v_fmac_f32_e32 v13, v96, v14
	v_cvt_f16_f32_e32 v14, v14
	v_sub_f32_e32 v15, v97, v2
	v_mul_u32_u24_e32 v14, 0x10001, v14
	v_pk_mul_f16 v21, v82, v14
	v_pk_mul_f16 v20, v83, v14
	v_sub_f32_e32 v14, v26, v2
	v_mul_f32_e32 v17, 0x3fb8aa3b, v14
	v_fma_f32 v22, v14, s10, -v17
	v_rndne_f32_e32 v23, v17
	v_fmac_f32_e32 v22, 0x32a5705f, v14
	v_sub_f32_e32 v17, v17, v23
	v_add_f32_e32 v17, v17, v22
	v_exp_f32_e32 v17, v17
	v_cvt_i32_f32_e32 v22, v23
	v_cmp_ngt_f32_e32 vcc, s11, v14
	v_ldexp_f32 v17, v17, v22
	v_cndmask_b32_e32 v17, 0, v17, vcc
	v_cmp_nlt_f32_e32 vcc, s12, v14
	v_cndmask_b32_e32 v14, v65, v17, vcc
	v_sub_f32_e32 v17, v27, v2
	v_mul_f32_e32 v22, 0x3fb8aa3b, v17
	v_fma_f32 v23, v17, s10, -v22
	v_rndne_f32_e32 v24, v22
	v_fmac_f32_e32 v23, 0x32a5705f, v17
	v_sub_f32_e32 v22, v22, v24
	v_add_f32_e32 v22, v22, v23
	v_exp_f32_e32 v22, v22
	v_cvt_i32_f32_e32 v23, v24
	v_cmp_ngt_f32_e32 vcc, s11, v17
	v_cvt_f16_f32_e32 v36, v14
	v_ldexp_f32 v22, v22, v23
	v_cndmask_b32_e32 v22, 0, v22, vcc
	v_cmp_nlt_f32_e32 vcc, s12, v17
	v_cndmask_b32_e32 v17, v65, v22, vcc
	v_add_f32_e32 v14, v14, v17
	v_cvt_f16_f32_e32 v37, v17
	v_mul_f32_e32 v17, 0x3fb8aa3b, v15
	v_fma_f32 v22, v15, s10, -v17
	v_rndne_f32_e32 v23, v17
	v_fmac_f32_e32 v22, 0x32a5705f, v15
	v_sub_f32_e32 v17, v17, v23
	v_add_f32_e32 v17, v17, v22
	v_exp_f32_e32 v17, v17
	v_cvt_i32_f32_e32 v22, v23
	v_cmp_ngt_f32_e32 vcc, s11, v15
	v_ldexp_f32 v17, v17, v22
	v_cndmask_b32_e32 v17, 0, v17, vcc
	v_cmp_nlt_f32_e32 vcc, s12, v15
	v_cndmask_b32_e32 v15, v65, v17, vcc
	v_fmac_f32_e32 v14, v94, v15
	v_cvt_f16_f32_e32 v15, v15
	v_sub_f32_e32 v17, v95, v3
	v_mul_u32_u24_e32 v15, 0x10001, v15
	v_pk_mul_f16 v23, v80, v15
	v_pk_mul_f16 v22, v81, v15
	v_sub_f32_e32 v15, v31, v3
	v_mul_f32_e32 v24, 0x3fb8aa3b, v15
	v_fma_f32 v25, v15, s10, -v24
	v_rndne_f32_e32 v26, v24
	v_fmac_f32_e32 v25, 0x32a5705f, v15
	v_sub_f32_e32 v24, v24, v26
	v_add_f32_e32 v24, v24, v25
	v_exp_f32_e32 v24, v24
	v_cvt_i32_f32_e32 v25, v26
	v_cmp_ngt_f32_e32 vcc, s11, v15
	v_ldexp_f32 v24, v24, v25
	v_cndmask_b32_e32 v24, 0, v24, vcc
	v_cmp_nlt_f32_e32 vcc, s12, v15
	v_cndmask_b32_e32 v15, v65, v24, vcc
	v_sub_f32_e32 v24, v33, v3
	v_mul_f32_e32 v25, 0x3fb8aa3b, v24
	v_fma_f32 v26, v24, s10, -v25
	v_rndne_f32_e32 v27, v25
	v_fmac_f32_e32 v26, 0x32a5705f, v24
	v_sub_f32_e32 v25, v25, v27
	v_add_f32_e32 v25, v25, v26
	v_exp_f32_e32 v25, v25
	v_cvt_i32_f32_e32 v26, v27
	v_cmp_ngt_f32_e32 vcc, s11, v24
	v_cvt_f16_f32_e32 v38, v15
	v_ldexp_f32 v25, v25, v26
	v_cndmask_b32_e32 v25, 0, v25, vcc
	v_cmp_nlt_f32_e32 vcc, s12, v24
	v_cndmask_b32_e32 v24, v65, v25, vcc
	v_add_f32_e32 v15, v15, v24
	v_cvt_f16_f32_e32 v39, v24
	v_mul_f32_e32 v24, 0x3fb8aa3b, v17
	v_fma_f32 v25, v17, s10, -v24
	v_rndne_f32_e32 v26, v24
	v_fmac_f32_e32 v25, 0x32a5705f, v17
	v_sub_f32_e32 v24, v24, v26
	v_add_f32_e32 v24, v24, v25
	v_cvt_i32_f32_e32 v25, v26
	v_sub_f32_e32 v26, v34, v4
	v_mul_f32_e32 v27, 0x3fb8aa3b, v26
	v_fma_f32 v31, v26, s10, -v27
	v_rndne_f32_e32 v33, v27
	v_exp_f32_e32 v24, v24
	v_fmac_f32_e32 v31, 0x32a5705f, v26
	v_sub_f32_e32 v27, v27, v33
	v_add_f32_e32 v27, v27, v31
	v_exp_f32_e32 v27, v27
	v_cvt_i32_f32_e32 v31, v33
	v_ldexp_f32 v24, v24, v25
	v_cmp_ngt_f32_e32 vcc, s11, v17
	v_cndmask_b32_e32 v24, 0, v24, vcc
	v_cmp_nlt_f32_e32 vcc, s12, v17
	v_cndmask_b32_e32 v17, v65, v24, vcc
	v_ldexp_f32 v27, v27, v31
	v_cmp_ngt_f32_e32 vcc, s11, v26
	v_cndmask_b32_e32 v27, 0, v27, vcc
	v_cmp_nlt_f32_e32 vcc, s12, v26
	v_cndmask_b32_e32 v26, v65, v27, vcc
	v_mul_f32_e32 v27, 0x3fb8aa3b, v16
	v_fma_f32 v31, v16, s10, -v27
	v_rndne_f32_e32 v33, v27
	v_fmac_f32_e32 v31, 0x32a5705f, v16
	v_sub_f32_e32 v27, v27, v33
	v_add_f32_e32 v27, v27, v31
	v_exp_f32_e32 v27, v27
	v_cvt_i32_f32_e32 v31, v33
	v_fmac_f32_e32 v15, v92, v17
	v_cvt_f16_f32_e32 v17, v17
	v_cmp_ngt_f32_e32 vcc, s11, v16
	v_ldexp_f32 v27, v27, v31
	v_cndmask_b32_e32 v27, 0, v27, vcc
	v_mul_u32_u24_e32 v17, 0x10001, v17
	v_cmp_nlt_f32_e32 vcc, s12, v16
	v_pk_mul_f16 v25, v78, v17
	v_pk_mul_f16 v24, v79, v17
	v_sub_f32_e32 v17, v93, v4
	v_cndmask_b32_e32 v27, v65, v27, vcc
	v_cvt_f16_f32_e32 v40, v26
	v_add_f32_e32 v16, v26, v27
	v_mul_f32_e32 v26, 0x3fb8aa3b, v17
	v_cvt_f16_f32_e32 v50, v27
	v_fma_f32 v27, v17, s10, -v26
	v_rndne_f32_e32 v31, v26
	v_fmac_f32_e32 v27, 0x32a5705f, v17
	v_sub_f32_e32 v26, v26, v31
	v_add_f32_e32 v26, v26, v27
	v_exp_f32_e32 v26, v26
	v_cvt_i32_f32_e32 v27, v31
	v_cmp_ngt_f32_e32 vcc, s11, v17
	v_sub_f32_e32 v31, v91, v5
	v_pack_b32_f16 v39, v39, v50
	v_ldexp_f32 v26, v26, v27
	v_cndmask_b32_e32 v26, 0, v26, vcc
	v_cmp_nlt_f32_e32 vcc, s12, v17
	v_cndmask_b32_e32 v17, v65, v26, vcc
	v_fmac_f32_e32 v16, v90, v17
	v_cvt_f16_f32_e32 v17, v17
	v_mul_u32_u24_e32 v17, 0x10001, v17
	v_pk_mul_f16 v27, v76, v17
	v_pk_mul_f16 v26, v77, v17
	v_sub_f32_e32 v17, v29, v5
	v_mul_f32_e32 v29, 0x3fb8aa3b, v17
	v_fma_f32 v33, v17, s10, -v29
	v_rndne_f32_e32 v34, v29
	v_fmac_f32_e32 v33, 0x32a5705f, v17
	v_sub_f32_e32 v29, v29, v34
	v_add_f32_e32 v29, v29, v33
	v_exp_f32_e32 v29, v29
	v_cvt_i32_f32_e32 v33, v34
	v_cmp_ngt_f32_e32 vcc, s11, v17
	v_ldexp_f32 v29, v29, v33
	v_cndmask_b32_e32 v29, 0, v29, vcc
	v_cmp_nlt_f32_e32 vcc, s12, v17
	v_cndmask_b32_e32 v17, v65, v29, vcc
	v_mul_f32_e32 v29, 0x3fb8aa3b, v28
	v_fma_f32 v33, v28, s10, -v29
	v_rndne_f32_e32 v34, v29
	v_fmac_f32_e32 v33, 0x32a5705f, v28
	v_sub_f32_e32 v29, v29, v34
	v_add_f32_e32 v29, v29, v33
	v_exp_f32_e32 v29, v29
	v_cvt_i32_f32_e32 v33, v34
	v_cmp_ngt_f32_e32 vcc, s11, v28
	v_cvt_f16_f32_e32 v41, v17
	v_ldexp_f32 v29, v29, v33
	v_cndmask_b32_e32 v29, 0, v29, vcc
	v_cmp_nlt_f32_e32 vcc, s12, v28
	v_cndmask_b32_e32 v28, v65, v29, vcc
	v_add_f32_e32 v17, v17, v28
	v_cvt_f16_f32_e32 v51, v28
	v_mul_f32_e32 v28, 0x3fb8aa3b, v31
	v_fma_f32 v29, v31, s10, -v28
	v_rndne_f32_e32 v33, v28
	v_fmac_f32_e32 v29, 0x32a5705f, v31
	v_sub_f32_e32 v28, v28, v33
	v_add_f32_e32 v28, v28, v29
	v_cvt_i32_f32_e32 v29, v33
	v_mul_f32_e32 v33, 0x3fb8aa3b, v30
	v_fma_f32 v34, v30, s10, -v33
	v_rndne_f32_e32 v35, v33
	v_exp_f32_e32 v28, v28
	v_fmac_f32_e32 v34, 0x32a5705f, v30
	v_sub_f32_e32 v33, v33, v35
	v_add_f32_e32 v33, v33, v34
	v_exp_f32_e32 v33, v33
	v_cvt_i32_f32_e32 v34, v35
	v_ldexp_f32 v28, v28, v29
	v_cmp_ngt_f32_e32 vcc, s11, v31
	v_cndmask_b32_e32 v28, 0, v28, vcc
	v_cmp_nlt_f32_e32 vcc, s12, v31
	v_cndmask_b32_e32 v28, v65, v28, vcc
	v_ldexp_f32 v33, v33, v34
	v_cmp_ngt_f32_e32 vcc, s11, v30
	v_cndmask_b32_e32 v33, 0, v33, vcc
	v_cmp_nlt_f32_e32 vcc, s12, v30
	v_cndmask_b32_e32 v30, v65, v33, vcc
	v_cvt_f16_f32_e32 v42, v30
	v_mul_f32_e32 v33, 0x3fb8aa3b, v18
	v_fma_f32 v34, v18, s10, -v33
	v_rndne_f32_e32 v35, v33
	v_pack_b32_f16 v42, v41, v42
	v_pack_b32_f16 v41, v38, v40
	;; [unrolled: 1-line block ×3, first 2 shown]
	buffer_load_dword v9, off, s[40:43], 0 offset:20 ; 4-byte Folded Reload
	v_fmac_f32_e32 v34, 0x32a5705f, v18
	v_sub_f32_e32 v33, v33, v35
	v_add_f32_e32 v33, v33, v34
	v_exp_f32_e32 v33, v33
	v_cvt_i32_f32_e32 v34, v35
	v_cmp_ngt_f32_e32 vcc, s11, v18
	v_sub_f32_e32 v31, v89, v6
	v_pack_b32_f16 v38, v11, v37
	v_ldexp_f32 v33, v33, v34
	v_cndmask_b32_e32 v33, 0, v33, vcc
	v_cmp_nlt_f32_e32 vcc, s12, v18
	v_cndmask_b32_e32 v33, v65, v33, vcc
	v_add_f32_e32 v18, v30, v33
	v_mul_f32_e32 v30, 0x3fb8aa3b, v31
	v_cvt_f16_f32_e32 v52, v33
	v_fma_f32 v33, v31, s10, -v30
	v_rndne_f32_e32 v34, v30
	v_fmac_f32_e32 v33, 0x32a5705f, v31
	v_sub_f32_e32 v30, v30, v34
	v_add_f32_e32 v30, v30, v33
	v_cvt_i32_f32_e32 v33, v34
	v_mul_f32_e32 v34, 0x3fb8aa3b, v32
	v_fma_f32 v35, v32, s10, -v34
	v_rndne_f32_e32 v43, v34
	v_exp_f32_e32 v30, v30
	v_fmac_f32_e32 v35, 0x32a5705f, v32
	v_sub_f32_e32 v34, v34, v43
	v_add_f32_e32 v34, v34, v35
	v_exp_f32_e32 v34, v34
	v_cvt_i32_f32_e32 v35, v43
	v_ldexp_f32 v30, v30, v33
	v_cmp_ngt_f32_e32 vcc, s11, v31
	v_cndmask_b32_e32 v30, 0, v30, vcc
	v_cmp_nlt_f32_e32 vcc, s12, v31
	v_cndmask_b32_e32 v30, v65, v30, vcc
	v_ldexp_f32 v34, v34, v35
	v_cmp_ngt_f32_e32 vcc, s11, v32
	v_cndmask_b32_e32 v34, 0, v34, vcc
	v_cmp_nlt_f32_e32 vcc, s12, v32
	v_cndmask_b32_e32 v32, v65, v34, vcc
	v_mul_f32_e32 v34, 0x3fb8aa3b, v19
	v_fma_f32 v35, v19, s10, -v34
	v_rndne_f32_e32 v53, v34
	v_fmac_f32_e32 v35, 0x32a5705f, v19
	v_sub_f32_e32 v34, v34, v53
	v_add_f32_e32 v34, v34, v35
	v_exp_f32_e32 v34, v34
	v_cvt_i32_f32_e32 v35, v53
	v_cmp_ngt_f32_e32 vcc, s11, v19
	v_sub_f32_e32 v33, v87, v7
	v_cvt_f16_f32_e32 v43, v32
	v_ldexp_f32 v34, v34, v35
	v_cndmask_b32_e32 v34, 0, v34, vcc
	v_cmp_nlt_f32_e32 vcc, s12, v19
	v_cndmask_b32_e32 v34, v65, v34, vcc
	v_add_f32_e32 v19, v32, v34
	v_mul_f32_e32 v32, 0x3fb8aa3b, v33
	v_cvt_f16_f32_e32 v53, v34
	v_fma_f32 v34, v33, s10, -v32
	v_rndne_f32_e32 v35, v32
	v_fmac_f32_e32 v34, 0x32a5705f, v33
	v_sub_f32_e32 v32, v32, v35
	v_add_f32_e32 v32, v32, v34
	v_cvt_i32_f32_e32 v34, v35
	v_mul_f32_e32 v35, 0x3fb8aa3b, v12
	v_fma_f32 v54, v12, s10, -v35
	v_rndne_f32_e32 v55, v35
	v_exp_f32_e32 v32, v32
	v_fmac_f32_e32 v54, 0x32a5705f, v12
	v_sub_f32_e32 v35, v35, v55
	v_add_f32_e32 v35, v35, v54
	v_exp_f32_e32 v35, v35
	v_cvt_i32_f32_e32 v54, v55
	v_ldexp_f32 v32, v32, v34
	v_cmp_ngt_f32_e32 vcc, s11, v33
	v_cndmask_b32_e32 v32, 0, v32, vcc
	v_cmp_nlt_f32_e32 vcc, s12, v33
	v_cndmask_b32_e32 v32, v65, v32, vcc
	v_ldexp_f32 v35, v35, v54
	v_cmp_ngt_f32_e32 vcc, s11, v12
	v_cndmask_b32_e32 v35, 0, v35, vcc
	v_cmp_nlt_f32_e32 vcc, s12, v12
	v_cndmask_b32_e32 v12, v65, v35, vcc
	v_mul_f32_e32 v35, 0x3fb8aa3b, v10
	v_fma_f32 v55, v10, s10, -v35
	v_rndne_f32_e32 v56, v35
	v_fmac_f32_e32 v55, 0x32a5705f, v10
	v_sub_f32_e32 v35, v35, v56
	v_add_f32_e32 v35, v35, v55
	v_exp_f32_e32 v35, v35
	v_cvt_i32_f32_e32 v55, v56
	v_cmp_ngt_f32_e32 vcc, s11, v10
	v_sub_f32_e32 v34, v85, v8
	v_cvt_f16_f32_e32 v54, v12
	v_ldexp_f32 v35, v35, v55
	v_cndmask_b32_e32 v35, 0, v35, vcc
	v_cmp_nlt_f32_e32 vcc, s12, v10
	v_cndmask_b32_e32 v10, v65, v35, vcc
	v_mul_f32_e32 v35, 0x3fb8aa3b, v34
	v_fma_f32 v55, v34, s10, -v35
	v_rndne_f32_e32 v56, v35
	v_fmac_f32_e32 v55, 0x32a5705f, v34
	v_sub_f32_e32 v35, v35, v56
	v_add_f32_e32 v35, v35, v55
	v_exp_f32_e32 v35, v35
	v_cvt_i32_f32_e32 v55, v56
	v_cmp_ngt_f32_e32 vcc, s11, v34
	v_add_f32_e32 v12, v12, v10
	v_cvt_f16_f32_e32 v10, v10
	v_ldexp_f32 v35, v35, v55
	v_cndmask_b32_e32 v35, 0, v35, vcc
	v_cmp_nlt_f32_e32 vcc, s12, v34
	v_cndmask_b32_e32 v34, v65, v35, vcc
	v_mov_b32_e32 v35, v47
	v_mov_b32_e32 v47, v12
	v_cvt_f16_f32_e32 v12, v34
	v_pack_b32_f16 v43, v43, v54
	s_waitcnt vmcnt(0)
	ds_write_b128 v9, v[40:43]
	v_pack_b32_f16 v41, v53, v10
	v_pack_b32_f16 v40, v51, v52
	ds_write_b128 v9, v[38:41] offset:512
	v_add_co_u32_e32 v9, vcc, s8, v61
	v_mov_b32_e32 v10, s9
	v_mul_u32_u24_e32 v12, 0x10001, v12
	v_addc_co_u32_e32 v10, vcc, v62, v10, vcc
	v_fmac_f32_e32 v47, v35, v34
	v_pk_mul_f16 v35, v69, v12
	v_pk_mul_f16 v34, v68, v12
	global_load_dwordx4 v[9:12], v[9:10], off
	v_fmac_f32_e32 v17, v88, v28
	v_cvt_f16_f32_e32 v28, v28
	v_fmac_f32_e32 v18, v86, v30
	v_cvt_f16_f32_e32 v30, v30
	;; [unrolled: 2-line block ×3, first 2 shown]
	v_mul_u32_u24_e32 v28, 0x10001, v28
	v_mul_u32_u24_e32 v30, 0x10001, v30
	v_pk_mul_f16 v29, v74, v28
	v_mul_u32_u24_e32 v32, 0x10001, v32
	v_pk_mul_f16 v28, v75, v28
	v_pk_mul_f16 v31, v72, v30
	;; [unrolled: 1-line block ×5, first 2 shown]
	s_or_b32 s8, s6, 16
	s_mul_hi_i32 s9, s8, s14
	s_mul_i32 s8, s8, s14
	s_lshl_b64 s[8:9], s[8:9], 2
	s_waitcnt vmcnt(0)
	ds_write_b128 v60, v[9:12]
	s_waitcnt lgkmcnt(0)
	s_barrier
	ds_read2_b64 v[9:12], v63 offset1:32
	ds_read_b128 v[36:39], v59
	ds_read_b128 v[40:43], v59 offset:16
	ds_read_b128 v[50:53], v59 offset:32
	;; [unrolled: 1-line block ×3, first 2 shown]
	s_waitcnt lgkmcnt(3)
	v_mul_u32_u24_sdwa v68, v36, s13 dst_sel:DWORD dst_unused:UNUSED_PAD src0_sel:WORD_0 src1_sel:DWORD
	v_mul_u32_u24_sdwa v36, v36, s13 dst_sel:DWORD dst_unused:UNUSED_PAD src0_sel:WORD_1 src1_sel:DWORD
	v_mul_u32_u24_sdwa v69, v37, s13 dst_sel:DWORD dst_unused:UNUSED_PAD src0_sel:WORD_0 src1_sel:DWORD
	v_mul_u32_u24_sdwa v37, v37, s13 dst_sel:DWORD dst_unused:UNUSED_PAD src0_sel:WORD_1 src1_sel:DWORD
	;; [unrolled: 2-line block ×4, first 2 shown]
	v_pk_fma_f16 v21, v9, v68, v21
	v_pk_fma_f16 v23, v9, v36, v23
	;; [unrolled: 1-line block ×16, first 2 shown]
	s_waitcnt lgkmcnt(2)
	v_mul_u32_u24_sdwa v34, v40, s13 dst_sel:DWORD dst_unused:UNUSED_PAD src0_sel:WORD_0 src1_sel:DWORD
	v_mul_u32_u24_sdwa v35, v40, s13 dst_sel:DWORD dst_unused:UNUSED_PAD src0_sel:WORD_1 src1_sel:DWORD
	v_mul_u32_u24_sdwa v36, v41, s13 dst_sel:DWORD dst_unused:UNUSED_PAD src0_sel:WORD_0 src1_sel:DWORD
	v_mul_u32_u24_sdwa v37, v41, s13 dst_sel:DWORD dst_unused:UNUSED_PAD src0_sel:WORD_1 src1_sel:DWORD
	;; [unrolled: 2-line block ×4, first 2 shown]
	v_pk_fma_f16 v21, v11, v34, v21
	v_pk_fma_f16 v23, v11, v35, v23
	;; [unrolled: 1-line block ×16, first 2 shown]
	ds_read2_b64 v[9:12], v63 offset0:64 offset1:96
	s_waitcnt lgkmcnt(2)
	v_mul_u32_u24_sdwa v35, v50, s13 dst_sel:DWORD dst_unused:UNUSED_PAD src0_sel:WORD_0 src1_sel:DWORD
	v_mul_u32_u24_sdwa v36, v50, s13 dst_sel:DWORD dst_unused:UNUSED_PAD src0_sel:WORD_1 src1_sel:DWORD
	v_mul_u32_u24_sdwa v37, v51, s13 dst_sel:DWORD dst_unused:UNUSED_PAD src0_sel:WORD_0 src1_sel:DWORD
	v_mul_u32_u24_sdwa v38, v51, s13 dst_sel:DWORD dst_unused:UNUSED_PAD src0_sel:WORD_1 src1_sel:DWORD
	v_mul_u32_u24_sdwa v39, v52, s13 dst_sel:DWORD dst_unused:UNUSED_PAD src0_sel:WORD_0 src1_sel:DWORD
	v_mul_u32_u24_sdwa v40, v52, s13 dst_sel:DWORD dst_unused:UNUSED_PAD src0_sel:WORD_1 src1_sel:DWORD
	v_mul_u32_u24_sdwa v41, v53, s13 dst_sel:DWORD dst_unused:UNUSED_PAD src0_sel:WORD_0 src1_sel:DWORD
	v_mul_u32_u24_sdwa v43, v53, s13 dst_sel:DWORD dst_unused:UNUSED_PAD src0_sel:WORD_1 src1_sel:DWORD
	s_waitcnt lgkmcnt(0)
	v_pk_fma_f16 v21, v9, v35, v21
	v_pk_fma_f16 v23, v9, v36, v23
	v_pk_fma_f16 v25, v9, v37, v25
	v_pk_fma_f16 v27, v9, v38, v27
	v_pk_fma_f16 v29, v9, v39, v29
	v_pk_fma_f16 v31, v9, v40, v31
	v_pk_fma_f16 v33, v9, v41, v33
	v_pk_fma_f16 v9, v9, v43, v42
	v_pk_fma_f16 v20, v10, v35, v20
	v_pk_fma_f16 v22, v10, v36, v22
	v_pk_fma_f16 v24, v10, v37, v24
	v_pk_fma_f16 v26, v10, v38, v26
	v_pk_fma_f16 v28, v10, v39, v28
	v_pk_fma_f16 v30, v10, v40, v30
	v_pk_fma_f16 v32, v10, v41, v32
	v_pk_fma_f16 v10, v10, v43, v34
	v_mul_u32_u24_sdwa v34, v54, s13 dst_sel:DWORD dst_unused:UNUSED_PAD src0_sel:WORD_0 src1_sel:DWORD
	v_mul_u32_u24_sdwa v35, v54, s13 dst_sel:DWORD dst_unused:UNUSED_PAD src0_sel:WORD_1 src1_sel:DWORD
	v_mul_u32_u24_sdwa v36, v55, s13 dst_sel:DWORD dst_unused:UNUSED_PAD src0_sel:WORD_0 src1_sel:DWORD
	v_mul_u32_u24_sdwa v37, v55, s13 dst_sel:DWORD dst_unused:UNUSED_PAD src0_sel:WORD_1 src1_sel:DWORD
	;; [unrolled: 2-line block ×4, first 2 shown]
	v_pk_fma_f16 v42, v11, v34, v21
	v_pk_fma_f16 v43, v11, v35, v23
	;; [unrolled: 1-line block ×16, first 2 shown]
	ds_read2_b64 v[9:12], v63 offset0:128 offset1:160
	ds_read_b128 v[20:23], v59 offset:64
	s_waitcnt lgkmcnt(0)
	v_mul_u32_u24_sdwa v37, v20, s13 dst_sel:DWORD dst_unused:UNUSED_PAD src0_sel:WORD_0 src1_sel:DWORD
	v_mul_u32_u24_sdwa v20, v20, s13 dst_sel:DWORD dst_unused:UNUSED_PAD src0_sel:WORD_1 src1_sel:DWORD
	v_mul_u32_u24_sdwa v38, v21, s13 dst_sel:DWORD dst_unused:UNUSED_PAD src0_sel:WORD_0 src1_sel:DWORD
	v_mul_u32_u24_sdwa v21, v21, s13 dst_sel:DWORD dst_unused:UNUSED_PAD src0_sel:WORD_1 src1_sel:DWORD
	;; [unrolled: 2-line block ×4, first 2 shown]
	v_pk_fma_f16 v41, v9, v37, v42
	v_pk_fma_f16 v42, v9, v20, v43
	;; [unrolled: 1-line block ×16, first 2 shown]
	ds_read_b128 v[20:23], v59 offset:80
	s_waitcnt lgkmcnt(0)
	v_mul_u32_u24_sdwa v28, v20, s13 dst_sel:DWORD dst_unused:UNUSED_PAD src0_sel:WORD_0 src1_sel:DWORD
	v_mul_u32_u24_sdwa v30, v20, s13 dst_sel:DWORD dst_unused:UNUSED_PAD src0_sel:WORD_1 src1_sel:DWORD
	v_mul_u32_u24_sdwa v32, v21, s13 dst_sel:DWORD dst_unused:UNUSED_PAD src0_sel:WORD_0 src1_sel:DWORD
	v_mul_u32_u24_sdwa v36, v21, s13 dst_sel:DWORD dst_unused:UNUSED_PAD src0_sel:WORD_1 src1_sel:DWORD
	;; [unrolled: 2-line block ×4, first 2 shown]
	v_pk_fma_f16 v20, v11, v28, v41
	v_pk_fma_f16 v21, v11, v30, v42
	;; [unrolled: 1-line block ×16, first 2 shown]
	ds_read2_b64 v[9:12], v63 offset0:192 offset1:224
	ds_read_b128 v[36:39], v59 offset:96
	s_waitcnt lgkmcnt(0)
	v_mul_u32_u24_sdwa v40, v36, s13 dst_sel:DWORD dst_unused:UNUSED_PAD src0_sel:WORD_0 src1_sel:DWORD
	v_mul_u32_u24_sdwa v36, v36, s13 dst_sel:DWORD dst_unused:UNUSED_PAD src0_sel:WORD_1 src1_sel:DWORD
	v_mul_u32_u24_sdwa v41, v37, s13 dst_sel:DWORD dst_unused:UNUSED_PAD src0_sel:WORD_0 src1_sel:DWORD
	v_mul_u32_u24_sdwa v37, v37, s13 dst_sel:DWORD dst_unused:UNUSED_PAD src0_sel:WORD_1 src1_sel:DWORD
	v_pk_fma_f16 v50, v9, v40, v20
	v_pk_fma_f16 v51, v9, v36, v21
	;; [unrolled: 1-line block ×4, first 2 shown]
	ds_read_b128 v[20:23], v59 offset:112
	v_mul_u32_u24_sdwa v42, v38, s13 dst_sel:DWORD dst_unused:UNUSED_PAD src0_sel:WORD_0 src1_sel:DWORD
	v_mul_u32_u24_sdwa v38, v38, s13 dst_sel:DWORD dst_unused:UNUSED_PAD src0_sel:WORD_1 src1_sel:DWORD
	v_mul_u32_u24_sdwa v43, v39, s13 dst_sel:DWORD dst_unused:UNUSED_PAD src0_sel:WORD_0 src1_sel:DWORD
	v_mul_u32_u24_sdwa v39, v39, s13 dst_sel:DWORD dst_unused:UNUSED_PAD src0_sel:WORD_1 src1_sel:DWORD
	v_pk_fma_f16 v24, v9, v42, v24
	v_pk_fma_f16 v25, v9, v38, v25
	;; [unrolled: 1-line block ×12, first 2 shown]
	s_waitcnt lgkmcnt(0)
	v_mul_u32_u24_sdwa v34, v20, s13 dst_sel:DWORD dst_unused:UNUSED_PAD src0_sel:WORD_0 src1_sel:DWORD
	v_mul_u32_u24_sdwa v20, v20, s13 dst_sel:DWORD dst_unused:UNUSED_PAD src0_sel:WORD_1 src1_sel:DWORD
	v_mul_u32_u24_sdwa v35, v21, s13 dst_sel:DWORD dst_unused:UNUSED_PAD src0_sel:WORD_0 src1_sel:DWORD
	v_mul_u32_u24_sdwa v21, v21, s13 dst_sel:DWORD dst_unused:UNUSED_PAD src0_sel:WORD_1 src1_sel:DWORD
	v_mul_u32_u24_sdwa v36, v22, s13 dst_sel:DWORD dst_unused:UNUSED_PAD src0_sel:WORD_0 src1_sel:DWORD
	v_mul_u32_u24_sdwa v22, v22, s13 dst_sel:DWORD dst_unused:UNUSED_PAD src0_sel:WORD_1 src1_sel:DWORD
	v_mul_u32_u24_sdwa v37, v23, s13 dst_sel:DWORD dst_unused:UNUSED_PAD src0_sel:WORD_0 src1_sel:DWORD
	v_mul_u32_u24_sdwa v23, v23, s13 dst_sel:DWORD dst_unused:UNUSED_PAD src0_sel:WORD_1 src1_sel:DWORD
	v_pk_fma_f16 v38, v11, v34, v50
	v_pk_fma_f16 v39, v11, v20, v51
	;; [unrolled: 1-line block ×16, first 2 shown]
	ds_read2_b64 v[9:12], v67 offset1:32
	ds_read_b128 v[20:23], v59 offset:128
	s_waitcnt lgkmcnt(0)
	v_mul_u32_u24_sdwa v35, v20, s13 dst_sel:DWORD dst_unused:UNUSED_PAD src0_sel:WORD_0 src1_sel:DWORD
	v_mul_u32_u24_sdwa v20, v20, s13 dst_sel:DWORD dst_unused:UNUSED_PAD src0_sel:WORD_1 src1_sel:DWORD
	v_mul_u32_u24_sdwa v36, v21, s13 dst_sel:DWORD dst_unused:UNUSED_PAD src0_sel:WORD_0 src1_sel:DWORD
	v_mul_u32_u24_sdwa v21, v21, s13 dst_sel:DWORD dst_unused:UNUSED_PAD src0_sel:WORD_1 src1_sel:DWORD
	v_mul_u32_u24_sdwa v37, v22, s13 dst_sel:DWORD dst_unused:UNUSED_PAD src0_sel:WORD_0 src1_sel:DWORD
	v_mul_u32_u24_sdwa v22, v22, s13 dst_sel:DWORD dst_unused:UNUSED_PAD src0_sel:WORD_1 src1_sel:DWORD
	v_mul_u32_u24_sdwa v43, v23, s13 dst_sel:DWORD dst_unused:UNUSED_PAD src0_sel:WORD_0 src1_sel:DWORD
	v_mul_u32_u24_sdwa v23, v23, s13 dst_sel:DWORD dst_unused:UNUSED_PAD src0_sel:WORD_1 src1_sel:DWORD
	v_pk_fma_f16 v38, v9, v35, v38
	v_pk_fma_f16 v39, v9, v20, v39
	v_pk_fma_f16 v40, v9, v36, v40
	v_pk_fma_f16 v41, v9, v21, v41
	v_pk_fma_f16 v24, v9, v37, v24
	v_pk_fma_f16 v25, v9, v22, v25
	v_pk_fma_f16 v26, v9, v43, v26
	v_pk_fma_f16 v9, v9, v23, v42
	v_pk_fma_f16 v27, v10, v35, v27
	v_pk_fma_f16 v28, v10, v20, v28
	v_pk_fma_f16 v29, v10, v36, v29
	v_pk_fma_f16 v30, v10, v21, v30
	v_pk_fma_f16 v31, v10, v37, v31
	v_pk_fma_f16 v32, v10, v22, v32
	v_pk_fma_f16 v33, v10, v43, v33
	v_pk_fma_f16 v10, v10, v23, v34
	ds_read_b128 v[20:23], v59 offset:144
	s_waitcnt lgkmcnt(0)
	v_mul_u32_u24_sdwa v34, v20, s13 dst_sel:DWORD dst_unused:UNUSED_PAD src0_sel:WORD_0 src1_sel:DWORD
	v_mul_u32_u24_sdwa v20, v20, s13 dst_sel:DWORD dst_unused:UNUSED_PAD src0_sel:WORD_1 src1_sel:DWORD
	v_mul_u32_u24_sdwa v35, v21, s13 dst_sel:DWORD dst_unused:UNUSED_PAD src0_sel:WORD_0 src1_sel:DWORD
	v_mul_u32_u24_sdwa v21, v21, s13 dst_sel:DWORD dst_unused:UNUSED_PAD src0_sel:WORD_1 src1_sel:DWORD
	v_mul_u32_u24_sdwa v36, v22, s13 dst_sel:DWORD dst_unused:UNUSED_PAD src0_sel:WORD_0 src1_sel:DWORD
	v_mul_u32_u24_sdwa v22, v22, s13 dst_sel:DWORD dst_unused:UNUSED_PAD src0_sel:WORD_1 src1_sel:DWORD
	v_mul_u32_u24_sdwa v37, v23, s13 dst_sel:DWORD dst_unused:UNUSED_PAD src0_sel:WORD_0 src1_sel:DWORD
	v_mul_u32_u24_sdwa v23, v23, s13 dst_sel:DWORD dst_unused:UNUSED_PAD src0_sel:WORD_1 src1_sel:DWORD
	v_pk_fma_f16 v38, v11, v34, v38
	v_pk_fma_f16 v39, v11, v20, v39
	v_pk_fma_f16 v40, v11, v35, v40
	v_pk_fma_f16 v41, v11, v21, v41
	v_pk_fma_f16 v24, v11, v36, v24
	v_pk_fma_f16 v25, v11, v22, v25
	v_pk_fma_f16 v26, v11, v37, v26
	v_pk_fma_f16 v42, v11, v23, v9
	v_pk_fma_f16 v27, v12, v34, v27
	v_pk_fma_f16 v28, v12, v20, v28
	v_pk_fma_f16 v29, v12, v35, v29
	v_pk_fma_f16 v30, v12, v21, v30
	v_pk_fma_f16 v31, v12, v36, v31
	v_pk_fma_f16 v32, v12, v22, v32
	v_pk_fma_f16 v33, v12, v37, v33
	v_pk_fma_f16 v34, v12, v23, v10
	ds_read2_b64 v[9:12], v67 offset0:64 offset1:96
	ds_read_b128 v[20:23], v59 offset:160
	s_waitcnt lgkmcnt(0)
	v_mul_u32_u24_sdwa v35, v20, s13 dst_sel:DWORD dst_unused:UNUSED_PAD src0_sel:WORD_0 src1_sel:DWORD
	v_mul_u32_u24_sdwa v20, v20, s13 dst_sel:DWORD dst_unused:UNUSED_PAD src0_sel:WORD_1 src1_sel:DWORD
	v_mul_u32_u24_sdwa v36, v21, s13 dst_sel:DWORD dst_unused:UNUSED_PAD src0_sel:WORD_0 src1_sel:DWORD
	v_mul_u32_u24_sdwa v21, v21, s13 dst_sel:DWORD dst_unused:UNUSED_PAD src0_sel:WORD_1 src1_sel:DWORD
	v_mul_u32_u24_sdwa v37, v22, s13 dst_sel:DWORD dst_unused:UNUSED_PAD src0_sel:WORD_0 src1_sel:DWORD
	v_mul_u32_u24_sdwa v22, v22, s13 dst_sel:DWORD dst_unused:UNUSED_PAD src0_sel:WORD_1 src1_sel:DWORD
	v_mul_u32_u24_sdwa v43, v23, s13 dst_sel:DWORD dst_unused:UNUSED_PAD src0_sel:WORD_0 src1_sel:DWORD
	v_mul_u32_u24_sdwa v23, v23, s13 dst_sel:DWORD dst_unused:UNUSED_PAD src0_sel:WORD_1 src1_sel:DWORD
	v_pk_fma_f16 v38, v9, v35, v38
	v_pk_fma_f16 v39, v9, v20, v39
	v_pk_fma_f16 v40, v9, v36, v40
	v_pk_fma_f16 v41, v9, v21, v41
	v_pk_fma_f16 v24, v9, v37, v24
	v_pk_fma_f16 v25, v9, v22, v25
	v_pk_fma_f16 v26, v9, v43, v26
	v_pk_fma_f16 v9, v9, v23, v42
	v_pk_fma_f16 v27, v10, v35, v27
	v_pk_fma_f16 v28, v10, v20, v28
	v_pk_fma_f16 v29, v10, v36, v29
	v_pk_fma_f16 v30, v10, v21, v30
	v_pk_fma_f16 v31, v10, v37, v31
	v_pk_fma_f16 v32, v10, v22, v32
	v_pk_fma_f16 v33, v10, v43, v33
	v_pk_fma_f16 v10, v10, v23, v34
	ds_read_b128 v[20:23], v59 offset:176
	s_waitcnt lgkmcnt(0)
	v_mul_u32_u24_sdwa v34, v20, s13 dst_sel:DWORD dst_unused:UNUSED_PAD src0_sel:WORD_0 src1_sel:DWORD
	v_mul_u32_u24_sdwa v20, v20, s13 dst_sel:DWORD dst_unused:UNUSED_PAD src0_sel:WORD_1 src1_sel:DWORD
	v_mul_u32_u24_sdwa v35, v21, s13 dst_sel:DWORD dst_unused:UNUSED_PAD src0_sel:WORD_0 src1_sel:DWORD
	v_mul_u32_u24_sdwa v21, v21, s13 dst_sel:DWORD dst_unused:UNUSED_PAD src0_sel:WORD_1 src1_sel:DWORD
	v_mul_u32_u24_sdwa v36, v22, s13 dst_sel:DWORD dst_unused:UNUSED_PAD src0_sel:WORD_0 src1_sel:DWORD
	v_mul_u32_u24_sdwa v22, v22, s13 dst_sel:DWORD dst_unused:UNUSED_PAD src0_sel:WORD_1 src1_sel:DWORD
	v_mul_u32_u24_sdwa v37, v23, s13 dst_sel:DWORD dst_unused:UNUSED_PAD src0_sel:WORD_0 src1_sel:DWORD
	v_mul_u32_u24_sdwa v23, v23, s13 dst_sel:DWORD dst_unused:UNUSED_PAD src0_sel:WORD_1 src1_sel:DWORD
	v_pk_fma_f16 v38, v11, v34, v38
	v_pk_fma_f16 v39, v11, v20, v39
	v_pk_fma_f16 v40, v11, v35, v40
	v_pk_fma_f16 v41, v11, v21, v41
	v_pk_fma_f16 v24, v11, v36, v24
	v_pk_fma_f16 v25, v11, v22, v25
	v_pk_fma_f16 v26, v11, v37, v26
	v_pk_fma_f16 v42, v11, v23, v9
	v_pk_fma_f16 v27, v12, v34, v27
	v_pk_fma_f16 v28, v12, v20, v28
	v_pk_fma_f16 v29, v12, v35, v29
	v_pk_fma_f16 v30, v12, v21, v30
	v_pk_fma_f16 v31, v12, v36, v31
	v_pk_fma_f16 v32, v12, v22, v32
	v_pk_fma_f16 v33, v12, v37, v33
	v_pk_fma_f16 v34, v12, v23, v10
	ds_read2_b64 v[9:12], v67 offset0:128 offset1:160
	;; [unrolled: 53-line block ×3, first 2 shown]
	ds_read_b128 v[9:12], v59 offset:224
	s_waitcnt lgkmcnt(0)
	v_mul_u32_u24_sdwa v33, v9, s13 dst_sel:DWORD dst_unused:UNUSED_PAD src0_sel:WORD_0 src1_sel:DWORD
	v_mul_u32_u24_sdwa v9, v9, s13 dst_sel:DWORD dst_unused:UNUSED_PAD src0_sel:WORD_1 src1_sel:DWORD
	v_mul_u32_u24_sdwa v36, v10, s13 dst_sel:DWORD dst_unused:UNUSED_PAD src0_sel:WORD_0 src1_sel:DWORD
	v_mul_u32_u24_sdwa v10, v10, s13 dst_sel:DWORD dst_unused:UNUSED_PAD src0_sel:WORD_1 src1_sel:DWORD
	;; [unrolled: 2-line block ×4, first 2 shown]
	v_pk_fma_f16 v38, v28, v33, v38
	v_pk_fma_f16 v39, v28, v9, v39
	v_pk_fma_f16 v40, v28, v36, v40
	v_pk_fma_f16 v41, v28, v10, v41
	v_pk_fma_f16 v24, v28, v37, v24
	v_pk_fma_f16 v25, v28, v11, v25
	v_pk_fma_f16 v26, v28, v43, v26
	v_pk_fma_f16 v28, v28, v12, v42
	v_pk_fma_f16 v27, v29, v33, v27
	v_pk_fma_f16 v33, v29, v9, v20
	v_pk_fma_f16 v34, v29, v36, v34
	v_pk_fma_f16 v36, v29, v10, v21
	v_pk_fma_f16 v35, v29, v37, v35
	v_pk_fma_f16 v37, v29, v11, v22
	v_pk_fma_f16 v42, v29, v12, v23
	ds_read_b128 v[9:12], v59 offset:240
	v_pk_fma_f16 v32, v29, v43, v32
	s_waitcnt lgkmcnt(0)
	s_barrier
	v_mul_u32_u24_sdwa v29, v9, s13 dst_sel:DWORD dst_unused:UNUSED_PAD src0_sel:WORD_0 src1_sel:DWORD
	v_mul_u32_u24_sdwa v43, v9, s13 dst_sel:DWORD dst_unused:UNUSED_PAD src0_sel:WORD_1 src1_sel:DWORD
	v_mul_u32_u24_sdwa v50, v10, s13 dst_sel:DWORD dst_unused:UNUSED_PAD src0_sel:WORD_0 src1_sel:DWORD
	v_mul_u32_u24_sdwa v51, v10, s13 dst_sel:DWORD dst_unused:UNUSED_PAD src0_sel:WORD_1 src1_sel:DWORD
	;; [unrolled: 2-line block ×4, first 2 shown]
	v_pk_fma_f16 v9, v30, v29, v38
	v_pk_fma_f16 v10, v30, v43, v39
	;; [unrolled: 1-line block ×10, first 2 shown]
	v_add_co_u32_e32 v32, vcc, s8, v61
	v_mov_b32_e32 v33, s9
	v_addc_co_u32_e32 v33, vcc, v62, v33, vcc
	v_pk_fma_f16 v26, v31, v50, v34
	v_pk_fma_f16 v28, v31, v52, v35
	global_load_dwordx4 v[32:35], v[32:33], off
	v_pk_fma_f16 v24, v31, v29, v27
	v_pk_fma_f16 v27, v31, v51, v36
	;; [unrolled: 1-line block ×4, first 2 shown]
	s_or_b32 s8, s6, 32
	s_mul_hi_i32 s9, s8, s14
	s_mul_i32 s8, s8, s14
	s_lshl_b64 s[8:9], s[8:9], 2
	s_waitcnt vmcnt(0)
	ds_write_b128 v60, v[32:35]
	s_waitcnt lgkmcnt(0)
	s_barrier
	ds_read2_b64 v[32:35], v63 offset1:32
	ds_read_b128 v[36:39], v59 offset:256
	ds_read_b128 v[40:43], v59 offset:272
	;; [unrolled: 1-line block ×4, first 2 shown]
	s_waitcnt lgkmcnt(3)
	v_mul_u32_u24_sdwa v68, v36, s13 dst_sel:DWORD dst_unused:UNUSED_PAD src0_sel:WORD_0 src1_sel:DWORD
	v_mul_u32_u24_sdwa v36, v36, s13 dst_sel:DWORD dst_unused:UNUSED_PAD src0_sel:WORD_1 src1_sel:DWORD
	v_mul_u32_u24_sdwa v69, v37, s13 dst_sel:DWORD dst_unused:UNUSED_PAD src0_sel:WORD_0 src1_sel:DWORD
	v_mul_u32_u24_sdwa v37, v37, s13 dst_sel:DWORD dst_unused:UNUSED_PAD src0_sel:WORD_1 src1_sel:DWORD
	;; [unrolled: 2-line block ×4, first 2 shown]
	v_pk_fma_f16 v9, v32, v68, v9
	v_pk_fma_f16 v10, v32, v36, v10
	;; [unrolled: 1-line block ×16, first 2 shown]
	s_waitcnt lgkmcnt(2)
	v_mul_u32_u24_sdwa v32, v40, s13 dst_sel:DWORD dst_unused:UNUSED_PAD src0_sel:WORD_0 src1_sel:DWORD
	v_mul_u32_u24_sdwa v33, v40, s13 dst_sel:DWORD dst_unused:UNUSED_PAD src0_sel:WORD_1 src1_sel:DWORD
	v_mul_u32_u24_sdwa v36, v41, s13 dst_sel:DWORD dst_unused:UNUSED_PAD src0_sel:WORD_0 src1_sel:DWORD
	v_mul_u32_u24_sdwa v37, v41, s13 dst_sel:DWORD dst_unused:UNUSED_PAD src0_sel:WORD_1 src1_sel:DWORD
	;; [unrolled: 2-line block ×4, first 2 shown]
	v_pk_fma_f16 v42, v34, v32, v9
	v_pk_fma_f16 v43, v34, v33, v10
	;; [unrolled: 1-line block ×4, first 2 shown]
	ds_read2_b64 v[9:12], v63 offset0:64 offset1:96
	v_pk_fma_f16 v20, v34, v38, v20
	v_pk_fma_f16 v21, v34, v39, v21
	;; [unrolled: 1-line block ×12, first 2 shown]
	s_waitcnt lgkmcnt(2)
	v_mul_u32_u24_sdwa v32, v50, s13 dst_sel:DWORD dst_unused:UNUSED_PAD src0_sel:WORD_0 src1_sel:DWORD
	v_mul_u32_u24_sdwa v33, v50, s13 dst_sel:DWORD dst_unused:UNUSED_PAD src0_sel:WORD_1 src1_sel:DWORD
	v_mul_u32_u24_sdwa v34, v51, s13 dst_sel:DWORD dst_unused:UNUSED_PAD src0_sel:WORD_0 src1_sel:DWORD
	v_mul_u32_u24_sdwa v35, v51, s13 dst_sel:DWORD dst_unused:UNUSED_PAD src0_sel:WORD_1 src1_sel:DWORD
	;; [unrolled: 2-line block ×4, first 2 shown]
	s_waitcnt lgkmcnt(0)
	v_pk_fma_f16 v40, v9, v32, v42
	v_pk_fma_f16 v41, v9, v33, v43
	;; [unrolled: 1-line block ×16, first 2 shown]
	v_mul_u32_u24_sdwa v30, v54, s13 dst_sel:DWORD dst_unused:UNUSED_PAD src0_sel:WORD_0 src1_sel:DWORD
	v_mul_u32_u24_sdwa v31, v54, s13 dst_sel:DWORD dst_unused:UNUSED_PAD src0_sel:WORD_1 src1_sel:DWORD
	v_mul_u32_u24_sdwa v32, v55, s13 dst_sel:DWORD dst_unused:UNUSED_PAD src0_sel:WORD_0 src1_sel:DWORD
	v_mul_u32_u24_sdwa v33, v55, s13 dst_sel:DWORD dst_unused:UNUSED_PAD src0_sel:WORD_1 src1_sel:DWORD
	;; [unrolled: 2-line block ×4, first 2 shown]
	v_pk_fma_f16 v38, v11, v30, v40
	v_pk_fma_f16 v39, v11, v31, v41
	;; [unrolled: 1-line block ×16, first 2 shown]
	ds_read2_b64 v[9:12], v63 offset0:128 offset1:160
	ds_read_b128 v[20:23], v59 offset:320
	s_waitcnt lgkmcnt(0)
	v_mul_u32_u24_sdwa v32, v20, s13 dst_sel:DWORD dst_unused:UNUSED_PAD src0_sel:WORD_0 src1_sel:DWORD
	v_mul_u32_u24_sdwa v20, v20, s13 dst_sel:DWORD dst_unused:UNUSED_PAD src0_sel:WORD_1 src1_sel:DWORD
	v_mul_u32_u24_sdwa v33, v21, s13 dst_sel:DWORD dst_unused:UNUSED_PAD src0_sel:WORD_0 src1_sel:DWORD
	v_mul_u32_u24_sdwa v21, v21, s13 dst_sel:DWORD dst_unused:UNUSED_PAD src0_sel:WORD_1 src1_sel:DWORD
	;; [unrolled: 2-line block ×4, first 2 shown]
	v_pk_fma_f16 v36, v9, v32, v38
	v_pk_fma_f16 v37, v9, v20, v39
	;; [unrolled: 1-line block ×16, first 2 shown]
	ds_read_b128 v[20:23], v59 offset:336
	s_waitcnt lgkmcnt(0)
	v_mul_u32_u24_sdwa v31, v20, s13 dst_sel:DWORD dst_unused:UNUSED_PAD src0_sel:WORD_0 src1_sel:DWORD
	v_mul_u32_u24_sdwa v20, v20, s13 dst_sel:DWORD dst_unused:UNUSED_PAD src0_sel:WORD_1 src1_sel:DWORD
	v_mul_u32_u24_sdwa v32, v21, s13 dst_sel:DWORD dst_unused:UNUSED_PAD src0_sel:WORD_0 src1_sel:DWORD
	v_mul_u32_u24_sdwa v21, v21, s13 dst_sel:DWORD dst_unused:UNUSED_PAD src0_sel:WORD_1 src1_sel:DWORD
	;; [unrolled: 2-line block ×4, first 2 shown]
	v_pk_fma_f16 v35, v11, v31, v36
	v_pk_fma_f16 v36, v11, v20, v37
	;; [unrolled: 1-line block ×16, first 2 shown]
	ds_read2_b64 v[9:12], v63 offset0:192 offset1:224
	ds_read_b128 v[20:23], v59 offset:352
	s_waitcnt lgkmcnt(0)
	v_mul_u32_u24_sdwa v32, v20, s13 dst_sel:DWORD dst_unused:UNUSED_PAD src0_sel:WORD_0 src1_sel:DWORD
	v_mul_u32_u24_sdwa v20, v20, s13 dst_sel:DWORD dst_unused:UNUSED_PAD src0_sel:WORD_1 src1_sel:DWORD
	v_mul_u32_u24_sdwa v33, v21, s13 dst_sel:DWORD dst_unused:UNUSED_PAD src0_sel:WORD_0 src1_sel:DWORD
	v_mul_u32_u24_sdwa v21, v21, s13 dst_sel:DWORD dst_unused:UNUSED_PAD src0_sel:WORD_1 src1_sel:DWORD
	v_mul_u32_u24_sdwa v34, v22, s13 dst_sel:DWORD dst_unused:UNUSED_PAD src0_sel:WORD_0 src1_sel:DWORD
	v_mul_u32_u24_sdwa v22, v22, s13 dst_sel:DWORD dst_unused:UNUSED_PAD src0_sel:WORD_1 src1_sel:DWORD
	v_mul_u32_u24_sdwa v43, v23, s13 dst_sel:DWORD dst_unused:UNUSED_PAD src0_sel:WORD_0 src1_sel:DWORD
	v_mul_u32_u24_sdwa v23, v23, s13 dst_sel:DWORD dst_unused:UNUSED_PAD src0_sel:WORD_1 src1_sel:DWORD
	v_pk_fma_f16 v35, v9, v32, v35
	v_pk_fma_f16 v36, v9, v20, v36
	;; [unrolled: 1-line block ×16, first 2 shown]
	ds_read_b128 v[20:23], v59 offset:368
	s_waitcnt lgkmcnt(0)
	v_mul_u32_u24_sdwa v31, v20, s13 dst_sel:DWORD dst_unused:UNUSED_PAD src0_sel:WORD_0 src1_sel:DWORD
	v_mul_u32_u24_sdwa v20, v20, s13 dst_sel:DWORD dst_unused:UNUSED_PAD src0_sel:WORD_1 src1_sel:DWORD
	v_mul_u32_u24_sdwa v32, v21, s13 dst_sel:DWORD dst_unused:UNUSED_PAD src0_sel:WORD_0 src1_sel:DWORD
	v_mul_u32_u24_sdwa v21, v21, s13 dst_sel:DWORD dst_unused:UNUSED_PAD src0_sel:WORD_1 src1_sel:DWORD
	;; [unrolled: 2-line block ×4, first 2 shown]
	v_pk_fma_f16 v35, v11, v31, v35
	v_pk_fma_f16 v36, v11, v20, v36
	;; [unrolled: 1-line block ×16, first 2 shown]
	ds_read2_b64 v[9:12], v67 offset1:32
	ds_read_b128 v[20:23], v59 offset:384
	s_waitcnt lgkmcnt(0)
	v_mul_u32_u24_sdwa v32, v20, s13 dst_sel:DWORD dst_unused:UNUSED_PAD src0_sel:WORD_0 src1_sel:DWORD
	v_mul_u32_u24_sdwa v20, v20, s13 dst_sel:DWORD dst_unused:UNUSED_PAD src0_sel:WORD_1 src1_sel:DWORD
	v_mul_u32_u24_sdwa v33, v21, s13 dst_sel:DWORD dst_unused:UNUSED_PAD src0_sel:WORD_0 src1_sel:DWORD
	v_mul_u32_u24_sdwa v21, v21, s13 dst_sel:DWORD dst_unused:UNUSED_PAD src0_sel:WORD_1 src1_sel:DWORD
	v_mul_u32_u24_sdwa v34, v22, s13 dst_sel:DWORD dst_unused:UNUSED_PAD src0_sel:WORD_0 src1_sel:DWORD
	v_mul_u32_u24_sdwa v22, v22, s13 dst_sel:DWORD dst_unused:UNUSED_PAD src0_sel:WORD_1 src1_sel:DWORD
	v_mul_u32_u24_sdwa v43, v23, s13 dst_sel:DWORD dst_unused:UNUSED_PAD src0_sel:WORD_0 src1_sel:DWORD
	v_mul_u32_u24_sdwa v23, v23, s13 dst_sel:DWORD dst_unused:UNUSED_PAD src0_sel:WORD_1 src1_sel:DWORD
	v_pk_fma_f16 v35, v9, v32, v35
	v_pk_fma_f16 v36, v9, v20, v36
	v_pk_fma_f16 v37, v9, v33, v37
	v_pk_fma_f16 v38, v9, v21, v38
	v_pk_fma_f16 v39, v9, v34, v39
	v_pk_fma_f16 v40, v9, v22, v40
	v_pk_fma_f16 v41, v9, v43, v41
	v_pk_fma_f16 v9, v9, v23, v42
	v_pk_fma_f16 v30, v10, v32, v30
	v_pk_fma_f16 v24, v10, v20, v24
	v_pk_fma_f16 v25, v10, v33, v25
	v_pk_fma_f16 v26, v10, v21, v26
	v_pk_fma_f16 v27, v10, v34, v27
	v_pk_fma_f16 v28, v10, v22, v28
	v_pk_fma_f16 v29, v10, v43, v29
	v_pk_fma_f16 v10, v10, v23, v31
	ds_read_b128 v[20:23], v59 offset:400
	s_waitcnt lgkmcnt(0)
	v_mul_u32_u24_sdwa v31, v20, s13 dst_sel:DWORD dst_unused:UNUSED_PAD src0_sel:WORD_0 src1_sel:DWORD
	v_mul_u32_u24_sdwa v20, v20, s13 dst_sel:DWORD dst_unused:UNUSED_PAD src0_sel:WORD_1 src1_sel:DWORD
	v_mul_u32_u24_sdwa v32, v21, s13 dst_sel:DWORD dst_unused:UNUSED_PAD src0_sel:WORD_0 src1_sel:DWORD
	v_mul_u32_u24_sdwa v21, v21, s13 dst_sel:DWORD dst_unused:UNUSED_PAD src0_sel:WORD_1 src1_sel:DWORD
	v_mul_u32_u24_sdwa v33, v22, s13 dst_sel:DWORD dst_unused:UNUSED_PAD src0_sel:WORD_0 src1_sel:DWORD
	v_mul_u32_u24_sdwa v22, v22, s13 dst_sel:DWORD dst_unused:UNUSED_PAD src0_sel:WORD_1 src1_sel:DWORD
	v_mul_u32_u24_sdwa v34, v23, s13 dst_sel:DWORD dst_unused:UNUSED_PAD src0_sel:WORD_0 src1_sel:DWORD
	v_mul_u32_u24_sdwa v23, v23, s13 dst_sel:DWORD dst_unused:UNUSED_PAD src0_sel:WORD_1 src1_sel:DWORD
	v_pk_fma_f16 v35, v11, v31, v35
	v_pk_fma_f16 v36, v11, v20, v36
	v_pk_fma_f16 v37, v11, v32, v37
	v_pk_fma_f16 v38, v11, v21, v38
	v_pk_fma_f16 v39, v11, v33, v39
	v_pk_fma_f16 v40, v11, v22, v40
	v_pk_fma_f16 v41, v11, v34, v41
	v_pk_fma_f16 v42, v11, v23, v9
	v_pk_fma_f16 v30, v12, v31, v30
	v_pk_fma_f16 v24, v12, v20, v24
	v_pk_fma_f16 v25, v12, v32, v25
	v_pk_fma_f16 v26, v12, v21, v26
	v_pk_fma_f16 v27, v12, v33, v27
	v_pk_fma_f16 v28, v12, v22, v28
	v_pk_fma_f16 v29, v12, v34, v29
	v_pk_fma_f16 v31, v12, v23, v10
	ds_read2_b64 v[9:12], v67 offset0:64 offset1:96
	ds_read_b128 v[20:23], v59 offset:416
	s_waitcnt lgkmcnt(0)
	v_mul_u32_u24_sdwa v32, v20, s13 dst_sel:DWORD dst_unused:UNUSED_PAD src0_sel:WORD_0 src1_sel:DWORD
	v_mul_u32_u24_sdwa v20, v20, s13 dst_sel:DWORD dst_unused:UNUSED_PAD src0_sel:WORD_1 src1_sel:DWORD
	v_mul_u32_u24_sdwa v33, v21, s13 dst_sel:DWORD dst_unused:UNUSED_PAD src0_sel:WORD_0 src1_sel:DWORD
	v_mul_u32_u24_sdwa v21, v21, s13 dst_sel:DWORD dst_unused:UNUSED_PAD src0_sel:WORD_1 src1_sel:DWORD
	v_mul_u32_u24_sdwa v34, v22, s13 dst_sel:DWORD dst_unused:UNUSED_PAD src0_sel:WORD_0 src1_sel:DWORD
	v_mul_u32_u24_sdwa v22, v22, s13 dst_sel:DWORD dst_unused:UNUSED_PAD src0_sel:WORD_1 src1_sel:DWORD
	v_mul_u32_u24_sdwa v43, v23, s13 dst_sel:DWORD dst_unused:UNUSED_PAD src0_sel:WORD_0 src1_sel:DWORD
	v_mul_u32_u24_sdwa v23, v23, s13 dst_sel:DWORD dst_unused:UNUSED_PAD src0_sel:WORD_1 src1_sel:DWORD
	v_pk_fma_f16 v35, v9, v32, v35
	v_pk_fma_f16 v36, v9, v20, v36
	v_pk_fma_f16 v37, v9, v33, v37
	v_pk_fma_f16 v38, v9, v21, v38
	v_pk_fma_f16 v39, v9, v34, v39
	v_pk_fma_f16 v40, v9, v22, v40
	v_pk_fma_f16 v41, v9, v43, v41
	v_pk_fma_f16 v9, v9, v23, v42
	v_pk_fma_f16 v30, v10, v32, v30
	v_pk_fma_f16 v24, v10, v20, v24
	v_pk_fma_f16 v25, v10, v33, v25
	v_pk_fma_f16 v26, v10, v21, v26
	v_pk_fma_f16 v27, v10, v34, v27
	v_pk_fma_f16 v28, v10, v22, v28
	v_pk_fma_f16 v29, v10, v43, v29
	v_pk_fma_f16 v10, v10, v23, v31
	ds_read_b128 v[20:23], v59 offset:432
	s_waitcnt lgkmcnt(0)
	v_mul_u32_u24_sdwa v31, v20, s13 dst_sel:DWORD dst_unused:UNUSED_PAD src0_sel:WORD_0 src1_sel:DWORD
	v_mul_u32_u24_sdwa v20, v20, s13 dst_sel:DWORD dst_unused:UNUSED_PAD src0_sel:WORD_1 src1_sel:DWORD
	v_mul_u32_u24_sdwa v32, v21, s13 dst_sel:DWORD dst_unused:UNUSED_PAD src0_sel:WORD_0 src1_sel:DWORD
	v_mul_u32_u24_sdwa v21, v21, s13 dst_sel:DWORD dst_unused:UNUSED_PAD src0_sel:WORD_1 src1_sel:DWORD
	v_mul_u32_u24_sdwa v33, v22, s13 dst_sel:DWORD dst_unused:UNUSED_PAD src0_sel:WORD_0 src1_sel:DWORD
	v_mul_u32_u24_sdwa v22, v22, s13 dst_sel:DWORD dst_unused:UNUSED_PAD src0_sel:WORD_1 src1_sel:DWORD
	v_mul_u32_u24_sdwa v34, v23, s13 dst_sel:DWORD dst_unused:UNUSED_PAD src0_sel:WORD_0 src1_sel:DWORD
	v_mul_u32_u24_sdwa v23, v23, s13 dst_sel:DWORD dst_unused:UNUSED_PAD src0_sel:WORD_1 src1_sel:DWORD
	v_pk_fma_f16 v35, v11, v31, v35
	v_pk_fma_f16 v36, v11, v20, v36
	v_pk_fma_f16 v37, v11, v32, v37
	v_pk_fma_f16 v38, v11, v21, v38
	v_pk_fma_f16 v39, v11, v33, v39
	v_pk_fma_f16 v40, v11, v22, v40
	v_pk_fma_f16 v41, v11, v34, v41
	v_pk_fma_f16 v42, v11, v23, v9
	v_pk_fma_f16 v30, v12, v31, v30
	v_pk_fma_f16 v24, v12, v20, v24
	v_pk_fma_f16 v25, v12, v32, v25
	v_pk_fma_f16 v26, v12, v21, v26
	v_pk_fma_f16 v27, v12, v33, v27
	v_pk_fma_f16 v28, v12, v22, v28
	v_pk_fma_f16 v29, v12, v34, v29
	v_pk_fma_f16 v31, v12, v23, v10
	ds_read2_b64 v[9:12], v67 offset0:128 offset1:160
	;; [unrolled: 53-line block ×3, first 2 shown]
	ds_read_b128 v[9:12], v59 offset:480
	s_waitcnt lgkmcnt(0)
	v_mul_u32_u24_sdwa v27, v9, s13 dst_sel:DWORD dst_unused:UNUSED_PAD src0_sel:WORD_0 src1_sel:DWORD
	v_mul_u32_u24_sdwa v9, v9, s13 dst_sel:DWORD dst_unused:UNUSED_PAD src0_sel:WORD_1 src1_sel:DWORD
	v_mul_u32_u24_sdwa v32, v10, s13 dst_sel:DWORD dst_unused:UNUSED_PAD src0_sel:WORD_0 src1_sel:DWORD
	v_mul_u32_u24_sdwa v10, v10, s13 dst_sel:DWORD dst_unused:UNUSED_PAD src0_sel:WORD_1 src1_sel:DWORD
	;; [unrolled: 2-line block ×4, first 2 shown]
	v_pk_fma_f16 v35, v28, v27, v35
	v_pk_fma_f16 v36, v28, v9, v36
	;; [unrolled: 1-line block ×13, first 2 shown]
	ds_read_b128 v[9:12], v59 offset:496
	v_pk_fma_f16 v32, v29, v32, v24
	v_pk_fma_f16 v33, v29, v33, v25
	;; [unrolled: 1-line block ×3, first 2 shown]
	s_waitcnt lgkmcnt(0)
	v_mul_u32_u24_sdwa v26, v10, s13 dst_sel:DWORD dst_unused:UNUSED_PAD src0_sel:WORD_0 src1_sel:DWORD
	v_mul_u32_u24_sdwa v52, v11, s13 dst_sel:DWORD dst_unused:UNUSED_PAD src0_sel:WORD_0 src1_sel:DWORD
	v_mul_u32_u24_sdwa v55, v12, s13 dst_sel:DWORD dst_unused:UNUSED_PAD src0_sel:WORD_1 src1_sel:DWORD
	v_mul_u32_u24_sdwa v53, v11, s13 dst_sel:DWORD dst_unused:UNUSED_PAD src0_sel:WORD_1 src1_sel:DWORD
	v_pk_fma_f16 v11, v30, v26, v37
	v_pk_fma_f16 v23, v30, v55, v28
	;; [unrolled: 1-line block ×4, first 2 shown]
	v_add_co_u32_e32 v32, vcc, s8, v61
	v_mov_b32_e32 v33, s9
	v_mul_u32_u24_sdwa v24, v9, s13 dst_sel:DWORD dst_unused:UNUSED_PAD src0_sel:WORD_0 src1_sel:DWORD
	v_mul_u32_u24_sdwa v25, v9, s13 dst_sel:DWORD dst_unused:UNUSED_PAD src0_sel:WORD_1 src1_sel:DWORD
	v_mul_u32_u24_sdwa v29, v10, s13 dst_sel:DWORD dst_unused:UNUSED_PAD src0_sel:WORD_1 src1_sel:DWORD
	v_mul_u32_u24_sdwa v54, v12, s13 dst_sel:DWORD dst_unused:UNUSED_PAD src0_sel:WORD_0 src1_sel:DWORD
	v_addc_co_u32_e32 v33, vcc, v62, v33, vcc
	v_pk_fma_f16 v9, v30, v24, v35
	v_pk_fma_f16 v10, v30, v25, v36
	;; [unrolled: 1-line block ×7, first 2 shown]
	s_barrier
	global_load_dwordx4 v[32:35], v[32:33], off
	v_pk_fma_f16 v24, v31, v24, v27
	v_pk_fma_f16 v25, v31, v25, v42
	;; [unrolled: 1-line block ×5, first 2 shown]
	s_or_b32 s8, s6, 48
	s_mul_hi_i32 s9, s8, s14
	s_mul_i32 s8, s8, s14
	s_lshl_b64 s[8:9], s[8:9], 2
	s_waitcnt vmcnt(0)
	ds_write_b128 v60, v[32:35]
	s_waitcnt lgkmcnt(0)
	s_barrier
	ds_read2_b64 v[32:35], v63 offset1:32
	ds_read_b128 v[36:39], v59 offset:512
	ds_read_b128 v[40:43], v59 offset:528
	;; [unrolled: 1-line block ×4, first 2 shown]
	s_waitcnt lgkmcnt(3)
	v_mul_u32_u24_sdwa v68, v36, s13 dst_sel:DWORD dst_unused:UNUSED_PAD src0_sel:WORD_0 src1_sel:DWORD
	v_mul_u32_u24_sdwa v36, v36, s13 dst_sel:DWORD dst_unused:UNUSED_PAD src0_sel:WORD_1 src1_sel:DWORD
	v_mul_u32_u24_sdwa v69, v37, s13 dst_sel:DWORD dst_unused:UNUSED_PAD src0_sel:WORD_0 src1_sel:DWORD
	v_mul_u32_u24_sdwa v37, v37, s13 dst_sel:DWORD dst_unused:UNUSED_PAD src0_sel:WORD_1 src1_sel:DWORD
	;; [unrolled: 2-line block ×4, first 2 shown]
	v_pk_fma_f16 v9, v32, v68, v9
	v_pk_fma_f16 v10, v32, v36, v10
	;; [unrolled: 1-line block ×16, first 2 shown]
	s_waitcnt lgkmcnt(2)
	v_mul_u32_u24_sdwa v32, v40, s13 dst_sel:DWORD dst_unused:UNUSED_PAD src0_sel:WORD_0 src1_sel:DWORD
	v_mul_u32_u24_sdwa v33, v40, s13 dst_sel:DWORD dst_unused:UNUSED_PAD src0_sel:WORD_1 src1_sel:DWORD
	v_mul_u32_u24_sdwa v36, v41, s13 dst_sel:DWORD dst_unused:UNUSED_PAD src0_sel:WORD_0 src1_sel:DWORD
	v_mul_u32_u24_sdwa v37, v41, s13 dst_sel:DWORD dst_unused:UNUSED_PAD src0_sel:WORD_1 src1_sel:DWORD
	v_mul_u32_u24_sdwa v38, v42, s13 dst_sel:DWORD dst_unused:UNUSED_PAD src0_sel:WORD_0 src1_sel:DWORD
	v_mul_u32_u24_sdwa v39, v42, s13 dst_sel:DWORD dst_unused:UNUSED_PAD src0_sel:WORD_1 src1_sel:DWORD
	v_mul_u32_u24_sdwa v40, v43, s13 dst_sel:DWORD dst_unused:UNUSED_PAD src0_sel:WORD_0 src1_sel:DWORD
	v_mul_u32_u24_sdwa v41, v43, s13 dst_sel:DWORD dst_unused:UNUSED_PAD src0_sel:WORD_1 src1_sel:DWORD
	v_pk_fma_f16 v42, v34, v32, v9
	v_pk_fma_f16 v43, v34, v33, v10
	;; [unrolled: 1-line block ×4, first 2 shown]
	ds_read2_b64 v[9:12], v63 offset0:64 offset1:96
	v_pk_fma_f16 v20, v34, v38, v20
	v_pk_fma_f16 v21, v34, v39, v21
	;; [unrolled: 1-line block ×12, first 2 shown]
	s_waitcnt lgkmcnt(2)
	v_mul_u32_u24_sdwa v32, v50, s13 dst_sel:DWORD dst_unused:UNUSED_PAD src0_sel:WORD_0 src1_sel:DWORD
	v_mul_u32_u24_sdwa v33, v50, s13 dst_sel:DWORD dst_unused:UNUSED_PAD src0_sel:WORD_1 src1_sel:DWORD
	v_mul_u32_u24_sdwa v34, v51, s13 dst_sel:DWORD dst_unused:UNUSED_PAD src0_sel:WORD_0 src1_sel:DWORD
	v_mul_u32_u24_sdwa v35, v51, s13 dst_sel:DWORD dst_unused:UNUSED_PAD src0_sel:WORD_1 src1_sel:DWORD
	;; [unrolled: 2-line block ×4, first 2 shown]
	s_waitcnt lgkmcnt(0)
	v_pk_fma_f16 v40, v9, v32, v42
	v_pk_fma_f16 v41, v9, v33, v43
	;; [unrolled: 1-line block ×16, first 2 shown]
	v_mul_u32_u24_sdwa v30, v54, s13 dst_sel:DWORD dst_unused:UNUSED_PAD src0_sel:WORD_0 src1_sel:DWORD
	v_mul_u32_u24_sdwa v31, v54, s13 dst_sel:DWORD dst_unused:UNUSED_PAD src0_sel:WORD_1 src1_sel:DWORD
	v_mul_u32_u24_sdwa v32, v55, s13 dst_sel:DWORD dst_unused:UNUSED_PAD src0_sel:WORD_0 src1_sel:DWORD
	v_mul_u32_u24_sdwa v33, v55, s13 dst_sel:DWORD dst_unused:UNUSED_PAD src0_sel:WORD_1 src1_sel:DWORD
	;; [unrolled: 2-line block ×4, first 2 shown]
	v_pk_fma_f16 v38, v11, v30, v40
	v_pk_fma_f16 v39, v11, v31, v41
	;; [unrolled: 1-line block ×16, first 2 shown]
	ds_read2_b64 v[9:12], v63 offset0:128 offset1:160
	ds_read_b128 v[20:23], v59 offset:576
	s_waitcnt lgkmcnt(0)
	v_mul_u32_u24_sdwa v32, v20, s13 dst_sel:DWORD dst_unused:UNUSED_PAD src0_sel:WORD_0 src1_sel:DWORD
	v_mul_u32_u24_sdwa v20, v20, s13 dst_sel:DWORD dst_unused:UNUSED_PAD src0_sel:WORD_1 src1_sel:DWORD
	v_mul_u32_u24_sdwa v33, v21, s13 dst_sel:DWORD dst_unused:UNUSED_PAD src0_sel:WORD_0 src1_sel:DWORD
	v_mul_u32_u24_sdwa v21, v21, s13 dst_sel:DWORD dst_unused:UNUSED_PAD src0_sel:WORD_1 src1_sel:DWORD
	;; [unrolled: 2-line block ×4, first 2 shown]
	v_pk_fma_f16 v36, v9, v32, v38
	v_pk_fma_f16 v37, v9, v20, v39
	;; [unrolled: 1-line block ×16, first 2 shown]
	ds_read_b128 v[20:23], v59 offset:592
	s_waitcnt lgkmcnt(0)
	v_mul_u32_u24_sdwa v31, v20, s13 dst_sel:DWORD dst_unused:UNUSED_PAD src0_sel:WORD_0 src1_sel:DWORD
	v_mul_u32_u24_sdwa v20, v20, s13 dst_sel:DWORD dst_unused:UNUSED_PAD src0_sel:WORD_1 src1_sel:DWORD
	v_mul_u32_u24_sdwa v32, v21, s13 dst_sel:DWORD dst_unused:UNUSED_PAD src0_sel:WORD_0 src1_sel:DWORD
	v_mul_u32_u24_sdwa v21, v21, s13 dst_sel:DWORD dst_unused:UNUSED_PAD src0_sel:WORD_1 src1_sel:DWORD
	;; [unrolled: 2-line block ×4, first 2 shown]
	v_pk_fma_f16 v35, v11, v31, v36
	v_pk_fma_f16 v36, v11, v20, v37
	;; [unrolled: 1-line block ×16, first 2 shown]
	ds_read2_b64 v[9:12], v63 offset0:192 offset1:224
	ds_read_b128 v[20:23], v59 offset:608
	s_waitcnt lgkmcnt(0)
	v_mul_u32_u24_sdwa v32, v20, s13 dst_sel:DWORD dst_unused:UNUSED_PAD src0_sel:WORD_0 src1_sel:DWORD
	v_mul_u32_u24_sdwa v20, v20, s13 dst_sel:DWORD dst_unused:UNUSED_PAD src0_sel:WORD_1 src1_sel:DWORD
	v_mul_u32_u24_sdwa v33, v21, s13 dst_sel:DWORD dst_unused:UNUSED_PAD src0_sel:WORD_0 src1_sel:DWORD
	v_mul_u32_u24_sdwa v21, v21, s13 dst_sel:DWORD dst_unused:UNUSED_PAD src0_sel:WORD_1 src1_sel:DWORD
	v_mul_u32_u24_sdwa v34, v22, s13 dst_sel:DWORD dst_unused:UNUSED_PAD src0_sel:WORD_0 src1_sel:DWORD
	v_mul_u32_u24_sdwa v22, v22, s13 dst_sel:DWORD dst_unused:UNUSED_PAD src0_sel:WORD_1 src1_sel:DWORD
	v_mul_u32_u24_sdwa v43, v23, s13 dst_sel:DWORD dst_unused:UNUSED_PAD src0_sel:WORD_0 src1_sel:DWORD
	v_mul_u32_u24_sdwa v23, v23, s13 dst_sel:DWORD dst_unused:UNUSED_PAD src0_sel:WORD_1 src1_sel:DWORD
	v_pk_fma_f16 v35, v9, v32, v35
	v_pk_fma_f16 v36, v9, v20, v36
	;; [unrolled: 1-line block ×16, first 2 shown]
	ds_read_b128 v[20:23], v59 offset:624
	s_waitcnt lgkmcnt(0)
	v_mul_u32_u24_sdwa v31, v20, s13 dst_sel:DWORD dst_unused:UNUSED_PAD src0_sel:WORD_0 src1_sel:DWORD
	v_mul_u32_u24_sdwa v20, v20, s13 dst_sel:DWORD dst_unused:UNUSED_PAD src0_sel:WORD_1 src1_sel:DWORD
	v_mul_u32_u24_sdwa v32, v21, s13 dst_sel:DWORD dst_unused:UNUSED_PAD src0_sel:WORD_0 src1_sel:DWORD
	v_mul_u32_u24_sdwa v21, v21, s13 dst_sel:DWORD dst_unused:UNUSED_PAD src0_sel:WORD_1 src1_sel:DWORD
	;; [unrolled: 2-line block ×4, first 2 shown]
	v_pk_fma_f16 v35, v11, v31, v35
	v_pk_fma_f16 v36, v11, v20, v36
	v_pk_fma_f16 v37, v11, v32, v37
	v_pk_fma_f16 v38, v11, v21, v38
	v_pk_fma_f16 v39, v11, v33, v39
	v_pk_fma_f16 v40, v11, v22, v40
	v_pk_fma_f16 v41, v11, v34, v41
	v_pk_fma_f16 v42, v11, v23, v9
	v_pk_fma_f16 v30, v12, v31, v30
	v_pk_fma_f16 v24, v12, v20, v24
	v_pk_fma_f16 v25, v12, v32, v25
	v_pk_fma_f16 v26, v12, v21, v26
	v_pk_fma_f16 v27, v12, v33, v27
	v_pk_fma_f16 v28, v12, v22, v28
	v_pk_fma_f16 v29, v12, v34, v29
	v_pk_fma_f16 v31, v12, v23, v10
	ds_read2_b64 v[9:12], v67 offset1:32
	ds_read_b128 v[20:23], v59 offset:640
	s_waitcnt lgkmcnt(0)
	v_mul_u32_u24_sdwa v32, v20, s13 dst_sel:DWORD dst_unused:UNUSED_PAD src0_sel:WORD_0 src1_sel:DWORD
	v_mul_u32_u24_sdwa v20, v20, s13 dst_sel:DWORD dst_unused:UNUSED_PAD src0_sel:WORD_1 src1_sel:DWORD
	v_mul_u32_u24_sdwa v33, v21, s13 dst_sel:DWORD dst_unused:UNUSED_PAD src0_sel:WORD_0 src1_sel:DWORD
	v_mul_u32_u24_sdwa v21, v21, s13 dst_sel:DWORD dst_unused:UNUSED_PAD src0_sel:WORD_1 src1_sel:DWORD
	v_mul_u32_u24_sdwa v34, v22, s13 dst_sel:DWORD dst_unused:UNUSED_PAD src0_sel:WORD_0 src1_sel:DWORD
	v_mul_u32_u24_sdwa v22, v22, s13 dst_sel:DWORD dst_unused:UNUSED_PAD src0_sel:WORD_1 src1_sel:DWORD
	v_mul_u32_u24_sdwa v43, v23, s13 dst_sel:DWORD dst_unused:UNUSED_PAD src0_sel:WORD_0 src1_sel:DWORD
	v_mul_u32_u24_sdwa v23, v23, s13 dst_sel:DWORD dst_unused:UNUSED_PAD src0_sel:WORD_1 src1_sel:DWORD
	v_pk_fma_f16 v35, v9, v32, v35
	v_pk_fma_f16 v36, v9, v20, v36
	v_pk_fma_f16 v37, v9, v33, v37
	v_pk_fma_f16 v38, v9, v21, v38
	v_pk_fma_f16 v39, v9, v34, v39
	v_pk_fma_f16 v40, v9, v22, v40
	v_pk_fma_f16 v41, v9, v43, v41
	v_pk_fma_f16 v9, v9, v23, v42
	v_pk_fma_f16 v30, v10, v32, v30
	v_pk_fma_f16 v24, v10, v20, v24
	v_pk_fma_f16 v25, v10, v33, v25
	v_pk_fma_f16 v26, v10, v21, v26
	v_pk_fma_f16 v27, v10, v34, v27
	v_pk_fma_f16 v28, v10, v22, v28
	v_pk_fma_f16 v29, v10, v43, v29
	v_pk_fma_f16 v10, v10, v23, v31
	ds_read_b128 v[20:23], v59 offset:656
	s_waitcnt lgkmcnt(0)
	v_mul_u32_u24_sdwa v31, v20, s13 dst_sel:DWORD dst_unused:UNUSED_PAD src0_sel:WORD_0 src1_sel:DWORD
	v_mul_u32_u24_sdwa v20, v20, s13 dst_sel:DWORD dst_unused:UNUSED_PAD src0_sel:WORD_1 src1_sel:DWORD
	v_mul_u32_u24_sdwa v32, v21, s13 dst_sel:DWORD dst_unused:UNUSED_PAD src0_sel:WORD_0 src1_sel:DWORD
	v_mul_u32_u24_sdwa v21, v21, s13 dst_sel:DWORD dst_unused:UNUSED_PAD src0_sel:WORD_1 src1_sel:DWORD
	v_mul_u32_u24_sdwa v33, v22, s13 dst_sel:DWORD dst_unused:UNUSED_PAD src0_sel:WORD_0 src1_sel:DWORD
	v_mul_u32_u24_sdwa v22, v22, s13 dst_sel:DWORD dst_unused:UNUSED_PAD src0_sel:WORD_1 src1_sel:DWORD
	v_mul_u32_u24_sdwa v34, v23, s13 dst_sel:DWORD dst_unused:UNUSED_PAD src0_sel:WORD_0 src1_sel:DWORD
	v_mul_u32_u24_sdwa v23, v23, s13 dst_sel:DWORD dst_unused:UNUSED_PAD src0_sel:WORD_1 src1_sel:DWORD
	v_pk_fma_f16 v35, v11, v31, v35
	v_pk_fma_f16 v36, v11, v20, v36
	v_pk_fma_f16 v37, v11, v32, v37
	v_pk_fma_f16 v38, v11, v21, v38
	v_pk_fma_f16 v39, v11, v33, v39
	v_pk_fma_f16 v40, v11, v22, v40
	v_pk_fma_f16 v41, v11, v34, v41
	v_pk_fma_f16 v42, v11, v23, v9
	v_pk_fma_f16 v30, v12, v31, v30
	v_pk_fma_f16 v24, v12, v20, v24
	v_pk_fma_f16 v25, v12, v32, v25
	v_pk_fma_f16 v26, v12, v21, v26
	v_pk_fma_f16 v27, v12, v33, v27
	v_pk_fma_f16 v28, v12, v22, v28
	v_pk_fma_f16 v29, v12, v34, v29
	v_pk_fma_f16 v31, v12, v23, v10
	ds_read2_b64 v[9:12], v67 offset0:64 offset1:96
	ds_read_b128 v[20:23], v59 offset:672
	s_waitcnt lgkmcnt(0)
	v_mul_u32_u24_sdwa v32, v20, s13 dst_sel:DWORD dst_unused:UNUSED_PAD src0_sel:WORD_0 src1_sel:DWORD
	v_mul_u32_u24_sdwa v20, v20, s13 dst_sel:DWORD dst_unused:UNUSED_PAD src0_sel:WORD_1 src1_sel:DWORD
	v_mul_u32_u24_sdwa v33, v21, s13 dst_sel:DWORD dst_unused:UNUSED_PAD src0_sel:WORD_0 src1_sel:DWORD
	v_mul_u32_u24_sdwa v21, v21, s13 dst_sel:DWORD dst_unused:UNUSED_PAD src0_sel:WORD_1 src1_sel:DWORD
	v_mul_u32_u24_sdwa v34, v22, s13 dst_sel:DWORD dst_unused:UNUSED_PAD src0_sel:WORD_0 src1_sel:DWORD
	v_mul_u32_u24_sdwa v22, v22, s13 dst_sel:DWORD dst_unused:UNUSED_PAD src0_sel:WORD_1 src1_sel:DWORD
	v_mul_u32_u24_sdwa v43, v23, s13 dst_sel:DWORD dst_unused:UNUSED_PAD src0_sel:WORD_0 src1_sel:DWORD
	v_mul_u32_u24_sdwa v23, v23, s13 dst_sel:DWORD dst_unused:UNUSED_PAD src0_sel:WORD_1 src1_sel:DWORD
	v_pk_fma_f16 v35, v9, v32, v35
	v_pk_fma_f16 v36, v9, v20, v36
	v_pk_fma_f16 v37, v9, v33, v37
	v_pk_fma_f16 v38, v9, v21, v38
	v_pk_fma_f16 v39, v9, v34, v39
	v_pk_fma_f16 v40, v9, v22, v40
	v_pk_fma_f16 v41, v9, v43, v41
	v_pk_fma_f16 v9, v9, v23, v42
	v_pk_fma_f16 v30, v10, v32, v30
	v_pk_fma_f16 v24, v10, v20, v24
	v_pk_fma_f16 v25, v10, v33, v25
	v_pk_fma_f16 v26, v10, v21, v26
	v_pk_fma_f16 v27, v10, v34, v27
	v_pk_fma_f16 v28, v10, v22, v28
	v_pk_fma_f16 v29, v10, v43, v29
	v_pk_fma_f16 v10, v10, v23, v31
	ds_read_b128 v[20:23], v59 offset:688
	s_waitcnt lgkmcnt(0)
	v_mul_u32_u24_sdwa v31, v20, s13 dst_sel:DWORD dst_unused:UNUSED_PAD src0_sel:WORD_0 src1_sel:DWORD
	v_mul_u32_u24_sdwa v20, v20, s13 dst_sel:DWORD dst_unused:UNUSED_PAD src0_sel:WORD_1 src1_sel:DWORD
	v_mul_u32_u24_sdwa v32, v21, s13 dst_sel:DWORD dst_unused:UNUSED_PAD src0_sel:WORD_0 src1_sel:DWORD
	v_mul_u32_u24_sdwa v21, v21, s13 dst_sel:DWORD dst_unused:UNUSED_PAD src0_sel:WORD_1 src1_sel:DWORD
	v_mul_u32_u24_sdwa v33, v22, s13 dst_sel:DWORD dst_unused:UNUSED_PAD src0_sel:WORD_0 src1_sel:DWORD
	v_mul_u32_u24_sdwa v22, v22, s13 dst_sel:DWORD dst_unused:UNUSED_PAD src0_sel:WORD_1 src1_sel:DWORD
	v_mul_u32_u24_sdwa v34, v23, s13 dst_sel:DWORD dst_unused:UNUSED_PAD src0_sel:WORD_0 src1_sel:DWORD
	v_mul_u32_u24_sdwa v23, v23, s13 dst_sel:DWORD dst_unused:UNUSED_PAD src0_sel:WORD_1 src1_sel:DWORD
	v_pk_fma_f16 v35, v11, v31, v35
	v_pk_fma_f16 v36, v11, v20, v36
	v_pk_fma_f16 v37, v11, v32, v37
	v_pk_fma_f16 v38, v11, v21, v38
	v_pk_fma_f16 v39, v11, v33, v39
	v_pk_fma_f16 v40, v11, v22, v40
	v_pk_fma_f16 v41, v11, v34, v41
	v_pk_fma_f16 v42, v11, v23, v9
	v_pk_fma_f16 v30, v12, v31, v30
	v_pk_fma_f16 v24, v12, v20, v24
	v_pk_fma_f16 v25, v12, v32, v25
	v_pk_fma_f16 v26, v12, v21, v26
	v_pk_fma_f16 v27, v12, v33, v27
	v_pk_fma_f16 v28, v12, v22, v28
	v_pk_fma_f16 v29, v12, v34, v29
	v_pk_fma_f16 v31, v12, v23, v10
	ds_read2_b64 v[9:12], v67 offset0:128 offset1:160
	;; [unrolled: 53-line block ×3, first 2 shown]
	ds_read_b128 v[9:12], v59 offset:736
	s_waitcnt lgkmcnt(0)
	v_mul_u32_u24_sdwa v27, v9, s13 dst_sel:DWORD dst_unused:UNUSED_PAD src0_sel:WORD_0 src1_sel:DWORD
	v_mul_u32_u24_sdwa v9, v9, s13 dst_sel:DWORD dst_unused:UNUSED_PAD src0_sel:WORD_1 src1_sel:DWORD
	v_mul_u32_u24_sdwa v32, v10, s13 dst_sel:DWORD dst_unused:UNUSED_PAD src0_sel:WORD_0 src1_sel:DWORD
	v_mul_u32_u24_sdwa v10, v10, s13 dst_sel:DWORD dst_unused:UNUSED_PAD src0_sel:WORD_1 src1_sel:DWORD
	;; [unrolled: 2-line block ×4, first 2 shown]
	v_pk_fma_f16 v35, v28, v27, v35
	v_pk_fma_f16 v36, v28, v9, v36
	;; [unrolled: 1-line block ×13, first 2 shown]
	ds_read_b128 v[9:12], v59 offset:752
	v_pk_fma_f16 v32, v29, v32, v24
	v_pk_fma_f16 v33, v29, v33, v25
	v_pk_fma_f16 v34, v29, v34, v26
	s_waitcnt lgkmcnt(0)
	v_mul_u32_u24_sdwa v26, v10, s13 dst_sel:DWORD dst_unused:UNUSED_PAD src0_sel:WORD_0 src1_sel:DWORD
	v_mul_u32_u24_sdwa v52, v11, s13 dst_sel:DWORD dst_unused:UNUSED_PAD src0_sel:WORD_0 src1_sel:DWORD
	v_mul_u32_u24_sdwa v55, v12, s13 dst_sel:DWORD dst_unused:UNUSED_PAD src0_sel:WORD_1 src1_sel:DWORD
	v_mul_u32_u24_sdwa v53, v11, s13 dst_sel:DWORD dst_unused:UNUSED_PAD src0_sel:WORD_1 src1_sel:DWORD
	v_pk_fma_f16 v11, v30, v26, v37
	v_pk_fma_f16 v23, v30, v55, v28
	;; [unrolled: 1-line block ×4, first 2 shown]
	v_add_co_u32_e32 v32, vcc, s8, v61
	v_mov_b32_e32 v33, s9
	v_mul_u32_u24_sdwa v24, v9, s13 dst_sel:DWORD dst_unused:UNUSED_PAD src0_sel:WORD_0 src1_sel:DWORD
	v_mul_u32_u24_sdwa v25, v9, s13 dst_sel:DWORD dst_unused:UNUSED_PAD src0_sel:WORD_1 src1_sel:DWORD
	v_mul_u32_u24_sdwa v29, v10, s13 dst_sel:DWORD dst_unused:UNUSED_PAD src0_sel:WORD_1 src1_sel:DWORD
	v_mul_u32_u24_sdwa v54, v12, s13 dst_sel:DWORD dst_unused:UNUSED_PAD src0_sel:WORD_0 src1_sel:DWORD
	v_addc_co_u32_e32 v33, vcc, v62, v33, vcc
	v_pk_fma_f16 v9, v30, v24, v35
	v_pk_fma_f16 v10, v30, v25, v36
	;; [unrolled: 1-line block ×7, first 2 shown]
	s_barrier
	global_load_dwordx4 v[32:35], v[32:33], off
	v_pk_fma_f16 v24, v31, v24, v27
	v_pk_fma_f16 v25, v31, v25, v42
	;; [unrolled: 1-line block ×5, first 2 shown]
	s_waitcnt vmcnt(0)
	ds_write_b128 v60, v[32:35]
	s_waitcnt lgkmcnt(0)
	s_barrier
	ds_read2_b64 v[32:35], v63 offset1:32
	ds_read_b128 v[36:39], v59 offset:768
	ds_read_b128 v[40:43], v59 offset:784
	ds_read_b128 v[50:53], v59 offset:800
	ds_read_b128 v[54:57], v59 offset:816
	s_waitcnt lgkmcnt(3)
	v_mul_u32_u24_sdwa v68, v36, s13 dst_sel:DWORD dst_unused:UNUSED_PAD src0_sel:WORD_0 src1_sel:DWORD
	v_mul_u32_u24_sdwa v36, v36, s13 dst_sel:DWORD dst_unused:UNUSED_PAD src0_sel:WORD_1 src1_sel:DWORD
	v_mul_u32_u24_sdwa v69, v37, s13 dst_sel:DWORD dst_unused:UNUSED_PAD src0_sel:WORD_0 src1_sel:DWORD
	v_mul_u32_u24_sdwa v37, v37, s13 dst_sel:DWORD dst_unused:UNUSED_PAD src0_sel:WORD_1 src1_sel:DWORD
	;; [unrolled: 2-line block ×4, first 2 shown]
	v_pk_fma_f16 v9, v32, v68, v9
	v_pk_fma_f16 v10, v32, v36, v10
	;; [unrolled: 1-line block ×16, first 2 shown]
	s_waitcnt lgkmcnt(2)
	v_mul_u32_u24_sdwa v32, v40, s13 dst_sel:DWORD dst_unused:UNUSED_PAD src0_sel:WORD_0 src1_sel:DWORD
	v_mul_u32_u24_sdwa v33, v40, s13 dst_sel:DWORD dst_unused:UNUSED_PAD src0_sel:WORD_1 src1_sel:DWORD
	v_mul_u32_u24_sdwa v36, v41, s13 dst_sel:DWORD dst_unused:UNUSED_PAD src0_sel:WORD_0 src1_sel:DWORD
	v_mul_u32_u24_sdwa v37, v41, s13 dst_sel:DWORD dst_unused:UNUSED_PAD src0_sel:WORD_1 src1_sel:DWORD
	;; [unrolled: 2-line block ×4, first 2 shown]
	v_pk_fma_f16 v42, v34, v32, v9
	v_pk_fma_f16 v43, v34, v33, v10
	v_pk_fma_f16 v68, v34, v36, v11
	v_pk_fma_f16 v69, v34, v37, v12
	ds_read2_b64 v[9:12], v63 offset0:64 offset1:96
	v_pk_fma_f16 v20, v34, v38, v20
	v_pk_fma_f16 v21, v34, v39, v21
	;; [unrolled: 1-line block ×12, first 2 shown]
	s_waitcnt lgkmcnt(2)
	v_mul_u32_u24_sdwa v32, v50, s13 dst_sel:DWORD dst_unused:UNUSED_PAD src0_sel:WORD_0 src1_sel:DWORD
	v_mul_u32_u24_sdwa v33, v50, s13 dst_sel:DWORD dst_unused:UNUSED_PAD src0_sel:WORD_1 src1_sel:DWORD
	v_mul_u32_u24_sdwa v34, v51, s13 dst_sel:DWORD dst_unused:UNUSED_PAD src0_sel:WORD_0 src1_sel:DWORD
	v_mul_u32_u24_sdwa v35, v51, s13 dst_sel:DWORD dst_unused:UNUSED_PAD src0_sel:WORD_1 src1_sel:DWORD
	;; [unrolled: 2-line block ×4, first 2 shown]
	s_waitcnt lgkmcnt(0)
	v_pk_fma_f16 v40, v9, v32, v42
	v_pk_fma_f16 v41, v9, v33, v43
	;; [unrolled: 1-line block ×16, first 2 shown]
	v_mul_u32_u24_sdwa v30, v54, s13 dst_sel:DWORD dst_unused:UNUSED_PAD src0_sel:WORD_0 src1_sel:DWORD
	v_mul_u32_u24_sdwa v31, v54, s13 dst_sel:DWORD dst_unused:UNUSED_PAD src0_sel:WORD_1 src1_sel:DWORD
	v_mul_u32_u24_sdwa v32, v55, s13 dst_sel:DWORD dst_unused:UNUSED_PAD src0_sel:WORD_0 src1_sel:DWORD
	v_mul_u32_u24_sdwa v33, v55, s13 dst_sel:DWORD dst_unused:UNUSED_PAD src0_sel:WORD_1 src1_sel:DWORD
	;; [unrolled: 2-line block ×4, first 2 shown]
	v_pk_fma_f16 v38, v11, v30, v40
	v_pk_fma_f16 v39, v11, v31, v41
	;; [unrolled: 1-line block ×16, first 2 shown]
	ds_read2_b64 v[9:12], v63 offset0:128 offset1:160
	ds_read_b128 v[20:23], v59 offset:832
	s_waitcnt lgkmcnt(0)
	v_mul_u32_u24_sdwa v32, v20, s13 dst_sel:DWORD dst_unused:UNUSED_PAD src0_sel:WORD_0 src1_sel:DWORD
	v_mul_u32_u24_sdwa v20, v20, s13 dst_sel:DWORD dst_unused:UNUSED_PAD src0_sel:WORD_1 src1_sel:DWORD
	v_mul_u32_u24_sdwa v33, v21, s13 dst_sel:DWORD dst_unused:UNUSED_PAD src0_sel:WORD_0 src1_sel:DWORD
	v_mul_u32_u24_sdwa v21, v21, s13 dst_sel:DWORD dst_unused:UNUSED_PAD src0_sel:WORD_1 src1_sel:DWORD
	;; [unrolled: 2-line block ×4, first 2 shown]
	v_pk_fma_f16 v36, v9, v32, v38
	v_pk_fma_f16 v37, v9, v20, v39
	;; [unrolled: 1-line block ×16, first 2 shown]
	ds_read_b128 v[20:23], v59 offset:848
	s_waitcnt lgkmcnt(0)
	v_mul_u32_u24_sdwa v31, v20, s13 dst_sel:DWORD dst_unused:UNUSED_PAD src0_sel:WORD_0 src1_sel:DWORD
	v_mul_u32_u24_sdwa v20, v20, s13 dst_sel:DWORD dst_unused:UNUSED_PAD src0_sel:WORD_1 src1_sel:DWORD
	v_mul_u32_u24_sdwa v32, v21, s13 dst_sel:DWORD dst_unused:UNUSED_PAD src0_sel:WORD_0 src1_sel:DWORD
	v_mul_u32_u24_sdwa v21, v21, s13 dst_sel:DWORD dst_unused:UNUSED_PAD src0_sel:WORD_1 src1_sel:DWORD
	v_mul_u32_u24_sdwa v33, v22, s13 dst_sel:DWORD dst_unused:UNUSED_PAD src0_sel:WORD_0 src1_sel:DWORD
	v_mul_u32_u24_sdwa v22, v22, s13 dst_sel:DWORD dst_unused:UNUSED_PAD src0_sel:WORD_1 src1_sel:DWORD
	v_mul_u32_u24_sdwa v34, v23, s13 dst_sel:DWORD dst_unused:UNUSED_PAD src0_sel:WORD_0 src1_sel:DWORD
	v_mul_u32_u24_sdwa v23, v23, s13 dst_sel:DWORD dst_unused:UNUSED_PAD src0_sel:WORD_1 src1_sel:DWORD
	v_pk_fma_f16 v35, v11, v31, v36
	v_pk_fma_f16 v36, v11, v20, v37
	;; [unrolled: 1-line block ×16, first 2 shown]
	ds_read2_b64 v[9:12], v63 offset0:192 offset1:224
	ds_read_b128 v[20:23], v59 offset:864
	s_waitcnt lgkmcnt(0)
	v_mul_u32_u24_sdwa v32, v20, s13 dst_sel:DWORD dst_unused:UNUSED_PAD src0_sel:WORD_0 src1_sel:DWORD
	v_mul_u32_u24_sdwa v20, v20, s13 dst_sel:DWORD dst_unused:UNUSED_PAD src0_sel:WORD_1 src1_sel:DWORD
	v_mul_u32_u24_sdwa v33, v21, s13 dst_sel:DWORD dst_unused:UNUSED_PAD src0_sel:WORD_0 src1_sel:DWORD
	v_mul_u32_u24_sdwa v21, v21, s13 dst_sel:DWORD dst_unused:UNUSED_PAD src0_sel:WORD_1 src1_sel:DWORD
	;; [unrolled: 2-line block ×4, first 2 shown]
	v_pk_fma_f16 v35, v9, v32, v35
	v_pk_fma_f16 v36, v9, v20, v36
	;; [unrolled: 1-line block ×16, first 2 shown]
	ds_read_b128 v[20:23], v59 offset:880
	s_waitcnt lgkmcnt(0)
	v_mul_u32_u24_sdwa v31, v20, s13 dst_sel:DWORD dst_unused:UNUSED_PAD src0_sel:WORD_0 src1_sel:DWORD
	v_mul_u32_u24_sdwa v20, v20, s13 dst_sel:DWORD dst_unused:UNUSED_PAD src0_sel:WORD_1 src1_sel:DWORD
	v_mul_u32_u24_sdwa v32, v21, s13 dst_sel:DWORD dst_unused:UNUSED_PAD src0_sel:WORD_0 src1_sel:DWORD
	v_mul_u32_u24_sdwa v21, v21, s13 dst_sel:DWORD dst_unused:UNUSED_PAD src0_sel:WORD_1 src1_sel:DWORD
	;; [unrolled: 2-line block ×4, first 2 shown]
	v_pk_fma_f16 v35, v11, v31, v35
	v_pk_fma_f16 v36, v11, v20, v36
	;; [unrolled: 1-line block ×16, first 2 shown]
	ds_read2_b64 v[9:12], v67 offset1:32
	ds_read_b128 v[20:23], v59 offset:896
	s_waitcnt lgkmcnt(0)
	v_mul_u32_u24_sdwa v32, v20, s13 dst_sel:DWORD dst_unused:UNUSED_PAD src0_sel:WORD_0 src1_sel:DWORD
	v_mul_u32_u24_sdwa v20, v20, s13 dst_sel:DWORD dst_unused:UNUSED_PAD src0_sel:WORD_1 src1_sel:DWORD
	v_mul_u32_u24_sdwa v33, v21, s13 dst_sel:DWORD dst_unused:UNUSED_PAD src0_sel:WORD_0 src1_sel:DWORD
	v_mul_u32_u24_sdwa v21, v21, s13 dst_sel:DWORD dst_unused:UNUSED_PAD src0_sel:WORD_1 src1_sel:DWORD
	v_mul_u32_u24_sdwa v34, v22, s13 dst_sel:DWORD dst_unused:UNUSED_PAD src0_sel:WORD_0 src1_sel:DWORD
	v_mul_u32_u24_sdwa v22, v22, s13 dst_sel:DWORD dst_unused:UNUSED_PAD src0_sel:WORD_1 src1_sel:DWORD
	v_mul_u32_u24_sdwa v43, v23, s13 dst_sel:DWORD dst_unused:UNUSED_PAD src0_sel:WORD_0 src1_sel:DWORD
	v_mul_u32_u24_sdwa v23, v23, s13 dst_sel:DWORD dst_unused:UNUSED_PAD src0_sel:WORD_1 src1_sel:DWORD
	v_pk_fma_f16 v35, v9, v32, v35
	v_pk_fma_f16 v36, v9, v20, v36
	v_pk_fma_f16 v37, v9, v33, v37
	v_pk_fma_f16 v38, v9, v21, v38
	v_pk_fma_f16 v39, v9, v34, v39
	v_pk_fma_f16 v40, v9, v22, v40
	v_pk_fma_f16 v41, v9, v43, v41
	v_pk_fma_f16 v9, v9, v23, v42
	v_pk_fma_f16 v30, v10, v32, v30
	v_pk_fma_f16 v24, v10, v20, v24
	v_pk_fma_f16 v25, v10, v33, v25
	v_pk_fma_f16 v26, v10, v21, v26
	v_pk_fma_f16 v27, v10, v34, v27
	v_pk_fma_f16 v28, v10, v22, v28
	v_pk_fma_f16 v29, v10, v43, v29
	v_pk_fma_f16 v10, v10, v23, v31
	ds_read_b128 v[20:23], v59 offset:912
	s_waitcnt lgkmcnt(0)
	v_mul_u32_u24_sdwa v31, v20, s13 dst_sel:DWORD dst_unused:UNUSED_PAD src0_sel:WORD_0 src1_sel:DWORD
	v_mul_u32_u24_sdwa v20, v20, s13 dst_sel:DWORD dst_unused:UNUSED_PAD src0_sel:WORD_1 src1_sel:DWORD
	v_mul_u32_u24_sdwa v32, v21, s13 dst_sel:DWORD dst_unused:UNUSED_PAD src0_sel:WORD_0 src1_sel:DWORD
	v_mul_u32_u24_sdwa v21, v21, s13 dst_sel:DWORD dst_unused:UNUSED_PAD src0_sel:WORD_1 src1_sel:DWORD
	v_mul_u32_u24_sdwa v33, v22, s13 dst_sel:DWORD dst_unused:UNUSED_PAD src0_sel:WORD_0 src1_sel:DWORD
	v_mul_u32_u24_sdwa v22, v22, s13 dst_sel:DWORD dst_unused:UNUSED_PAD src0_sel:WORD_1 src1_sel:DWORD
	v_mul_u32_u24_sdwa v34, v23, s13 dst_sel:DWORD dst_unused:UNUSED_PAD src0_sel:WORD_0 src1_sel:DWORD
	v_mul_u32_u24_sdwa v23, v23, s13 dst_sel:DWORD dst_unused:UNUSED_PAD src0_sel:WORD_1 src1_sel:DWORD
	v_pk_fma_f16 v35, v11, v31, v35
	v_pk_fma_f16 v36, v11, v20, v36
	v_pk_fma_f16 v37, v11, v32, v37
	v_pk_fma_f16 v38, v11, v21, v38
	v_pk_fma_f16 v39, v11, v33, v39
	v_pk_fma_f16 v40, v11, v22, v40
	v_pk_fma_f16 v41, v11, v34, v41
	v_pk_fma_f16 v42, v11, v23, v9
	v_pk_fma_f16 v30, v12, v31, v30
	v_pk_fma_f16 v24, v12, v20, v24
	v_pk_fma_f16 v25, v12, v32, v25
	v_pk_fma_f16 v26, v12, v21, v26
	v_pk_fma_f16 v27, v12, v33, v27
	v_pk_fma_f16 v28, v12, v22, v28
	v_pk_fma_f16 v29, v12, v34, v29
	v_pk_fma_f16 v31, v12, v23, v10
	ds_read2_b64 v[9:12], v67 offset0:64 offset1:96
	ds_read_b128 v[20:23], v59 offset:928
	s_waitcnt lgkmcnt(0)
	v_mul_u32_u24_sdwa v32, v20, s13 dst_sel:DWORD dst_unused:UNUSED_PAD src0_sel:WORD_0 src1_sel:DWORD
	v_mul_u32_u24_sdwa v20, v20, s13 dst_sel:DWORD dst_unused:UNUSED_PAD src0_sel:WORD_1 src1_sel:DWORD
	v_mul_u32_u24_sdwa v33, v21, s13 dst_sel:DWORD dst_unused:UNUSED_PAD src0_sel:WORD_0 src1_sel:DWORD
	v_mul_u32_u24_sdwa v21, v21, s13 dst_sel:DWORD dst_unused:UNUSED_PAD src0_sel:WORD_1 src1_sel:DWORD
	v_mul_u32_u24_sdwa v34, v22, s13 dst_sel:DWORD dst_unused:UNUSED_PAD src0_sel:WORD_0 src1_sel:DWORD
	v_mul_u32_u24_sdwa v22, v22, s13 dst_sel:DWORD dst_unused:UNUSED_PAD src0_sel:WORD_1 src1_sel:DWORD
	v_mul_u32_u24_sdwa v43, v23, s13 dst_sel:DWORD dst_unused:UNUSED_PAD src0_sel:WORD_0 src1_sel:DWORD
	v_mul_u32_u24_sdwa v23, v23, s13 dst_sel:DWORD dst_unused:UNUSED_PAD src0_sel:WORD_1 src1_sel:DWORD
	v_pk_fma_f16 v35, v9, v32, v35
	v_pk_fma_f16 v36, v9, v20, v36
	v_pk_fma_f16 v37, v9, v33, v37
	v_pk_fma_f16 v38, v9, v21, v38
	v_pk_fma_f16 v39, v9, v34, v39
	v_pk_fma_f16 v40, v9, v22, v40
	v_pk_fma_f16 v41, v9, v43, v41
	v_pk_fma_f16 v9, v9, v23, v42
	v_pk_fma_f16 v30, v10, v32, v30
	v_pk_fma_f16 v24, v10, v20, v24
	v_pk_fma_f16 v25, v10, v33, v25
	v_pk_fma_f16 v26, v10, v21, v26
	v_pk_fma_f16 v27, v10, v34, v27
	v_pk_fma_f16 v28, v10, v22, v28
	v_pk_fma_f16 v29, v10, v43, v29
	v_pk_fma_f16 v10, v10, v23, v31
	ds_read_b128 v[20:23], v59 offset:944
	s_waitcnt lgkmcnt(0)
	v_mul_u32_u24_sdwa v31, v20, s13 dst_sel:DWORD dst_unused:UNUSED_PAD src0_sel:WORD_0 src1_sel:DWORD
	v_mul_u32_u24_sdwa v20, v20, s13 dst_sel:DWORD dst_unused:UNUSED_PAD src0_sel:WORD_1 src1_sel:DWORD
	v_mul_u32_u24_sdwa v32, v21, s13 dst_sel:DWORD dst_unused:UNUSED_PAD src0_sel:WORD_0 src1_sel:DWORD
	v_mul_u32_u24_sdwa v21, v21, s13 dst_sel:DWORD dst_unused:UNUSED_PAD src0_sel:WORD_1 src1_sel:DWORD
	v_mul_u32_u24_sdwa v33, v22, s13 dst_sel:DWORD dst_unused:UNUSED_PAD src0_sel:WORD_0 src1_sel:DWORD
	v_mul_u32_u24_sdwa v22, v22, s13 dst_sel:DWORD dst_unused:UNUSED_PAD src0_sel:WORD_1 src1_sel:DWORD
	v_mul_u32_u24_sdwa v34, v23, s13 dst_sel:DWORD dst_unused:UNUSED_PAD src0_sel:WORD_0 src1_sel:DWORD
	v_mul_u32_u24_sdwa v23, v23, s13 dst_sel:DWORD dst_unused:UNUSED_PAD src0_sel:WORD_1 src1_sel:DWORD
	v_pk_fma_f16 v35, v11, v31, v35
	v_pk_fma_f16 v36, v11, v20, v36
	v_pk_fma_f16 v37, v11, v32, v37
	v_pk_fma_f16 v38, v11, v21, v38
	v_pk_fma_f16 v39, v11, v33, v39
	v_pk_fma_f16 v40, v11, v22, v40
	v_pk_fma_f16 v41, v11, v34, v41
	v_pk_fma_f16 v42, v11, v23, v9
	v_pk_fma_f16 v30, v12, v31, v30
	v_pk_fma_f16 v24, v12, v20, v24
	v_pk_fma_f16 v25, v12, v32, v25
	v_pk_fma_f16 v26, v12, v21, v26
	v_pk_fma_f16 v27, v12, v33, v27
	v_pk_fma_f16 v28, v12, v22, v28
	v_pk_fma_f16 v29, v12, v34, v29
	v_pk_fma_f16 v31, v12, v23, v10
	ds_read2_b64 v[9:12], v67 offset0:128 offset1:160
	;; [unrolled: 53-line block ×3, first 2 shown]
	ds_read_b128 v[20:23], v59 offset:992
	s_waitcnt lgkmcnt(0)
	v_mul_u32_u24_sdwa v32, v20, s13 dst_sel:DWORD dst_unused:UNUSED_PAD src0_sel:WORD_0 src1_sel:DWORD
	v_mul_u32_u24_sdwa v20, v20, s13 dst_sel:DWORD dst_unused:UNUSED_PAD src0_sel:WORD_1 src1_sel:DWORD
	v_mul_u32_u24_sdwa v33, v21, s13 dst_sel:DWORD dst_unused:UNUSED_PAD src0_sel:WORD_0 src1_sel:DWORD
	v_mul_u32_u24_sdwa v21, v21, s13 dst_sel:DWORD dst_unused:UNUSED_PAD src0_sel:WORD_1 src1_sel:DWORD
	v_mul_u32_u24_sdwa v34, v22, s13 dst_sel:DWORD dst_unused:UNUSED_PAD src0_sel:WORD_0 src1_sel:DWORD
	v_mul_u32_u24_sdwa v22, v22, s13 dst_sel:DWORD dst_unused:UNUSED_PAD src0_sel:WORD_1 src1_sel:DWORD
	v_mul_u32_u24_sdwa v43, v23, s13 dst_sel:DWORD dst_unused:UNUSED_PAD src0_sel:WORD_0 src1_sel:DWORD
	v_mul_u32_u24_sdwa v23, v23, s13 dst_sel:DWORD dst_unused:UNUSED_PAD src0_sel:WORD_1 src1_sel:DWORD
	v_pk_fma_f16 v35, v9, v32, v35
	v_pk_fma_f16 v36, v9, v20, v36
	;; [unrolled: 1-line block ×16, first 2 shown]
	ds_read_b128 v[20:23], v59 offset:1008
	s_waitcnt lgkmcnt(0)
	s_barrier
	s_load_dword s8, s[0:1], 0x4
	v_mul_u32_u24_sdwa v31, v20, s13 dst_sel:DWORD dst_unused:UNUSED_PAD src0_sel:WORD_0 src1_sel:DWORD
	v_mul_u32_u24_sdwa v20, v20, s13 dst_sel:DWORD dst_unused:UNUSED_PAD src0_sel:WORD_1 src1_sel:DWORD
	v_mul_u32_u24_sdwa v32, v21, s13 dst_sel:DWORD dst_unused:UNUSED_PAD src0_sel:WORD_0 src1_sel:DWORD
	v_mul_u32_u24_sdwa v21, v21, s13 dst_sel:DWORD dst_unused:UNUSED_PAD src0_sel:WORD_1 src1_sel:DWORD
	s_waitcnt lgkmcnt(0)
	s_lshl_b32 s8, s8, 6
	v_mul_u32_u24_sdwa v33, v22, s13 dst_sel:DWORD dst_unused:UNUSED_PAD src0_sel:WORD_0 src1_sel:DWORD
	v_mul_u32_u24_sdwa v22, v22, s13 dst_sel:DWORD dst_unused:UNUSED_PAD src0_sel:WORD_1 src1_sel:DWORD
	v_mul_u32_u24_sdwa v34, v23, s13 dst_sel:DWORD dst_unused:UNUSED_PAD src0_sel:WORD_0 src1_sel:DWORD
	v_mul_u32_u24_sdwa v23, v23, s13 dst_sel:DWORD dst_unused:UNUSED_PAD src0_sel:WORD_1 src1_sel:DWORD
	s_add_i32 s6, s8, s6
	v_pk_fma_f16 v82, v11, v31, v35
	v_pk_fma_f16 v80, v11, v20, v36
	v_pk_fma_f16 v78, v11, v32, v37
	v_pk_fma_f16 v76, v11, v21, v38
	v_pk_fma_f16 v74, v11, v33, v39
	v_pk_fma_f16 v72, v11, v22, v40
	v_pk_fma_f16 v70, v11, v34, v41
	v_pk_fma_f16 v69, v11, v23, v9
	v_pk_fma_f16 v83, v12, v31, v30
	v_pk_fma_f16 v81, v12, v20, v24
	v_pk_fma_f16 v79, v12, v32, v25
	v_pk_fma_f16 v77, v12, v21, v26
	v_pk_fma_f16 v75, v12, v33, v27
	v_pk_fma_f16 v73, v12, v22, v28
	v_pk_fma_f16 v71, v12, v34, v29
	v_pk_fma_f16 v68, v12, v23, v10
	s_cmp_ge_i32 s6, s30
	s_cbranch_scc0 .LBB0_9
; %bb.10:
	buffer_load_dword v51, off, s[40:43], 0 offset:24 ; 4-byte Folded Reload
	buffer_load_dword v52, off, s[40:43], 0 offset:28 ; 4-byte Folded Reload
	;; [unrolled: 1-line block ×3, first 2 shown]
	s_waitcnt vmcnt(2)
	v_lshlrev_b32_e32 v50, 2, v51
.LBB0_11:
	v_cmp_lt_i32_e32 vcc, v44, v49
	v_cndmask_b32_e32 v9, v48, v44, vcc
	v_cmp_lt_i32_e32 vcc, v64, v49
	v_lshlrev_b32_e32 v12, 2, v9
	v_cndmask_b32_e32 v9, v48, v64, vcc
	v_lshlrev_b32_e32 v20, 2, v9
	ds_bpermute_b32 v9, v12, v13
	v_cmp_lt_i32_e32 vcc, v127, v49
	v_cndmask_b32_e32 v10, v48, v127, vcc
	v_lshlrev_b32_e32 v21, 2, v10
	ds_bpermute_b32 v11, v12, v14
	s_waitcnt lgkmcnt(1)
	v_add_f32_e32 v9, v13, v9
	ds_bpermute_b32 v10, v20, v9
	ds_bpermute_b32 v22, v12, v15
	v_cmp_lt_i32_e32 vcc, v0, v49
	s_waitcnt lgkmcnt(2)
	v_add_f32_e32 v11, v14, v11
	ds_bpermute_b32 v14, v20, v11
	s_waitcnt lgkmcnt(2)
	v_add_f32_e32 v9, v9, v10
	ds_bpermute_b32 v10, v21, v9
	v_cndmask_b32_e32 v0, v48, v0, vcc
	v_lshlrev_b32_e32 v0, 2, v0
	s_waitcnt lgkmcnt(1)
	v_add_f32_e32 v11, v11, v14
	v_add_f32_e32 v15, v15, v22
	s_waitcnt lgkmcnt(0)
	v_add_f32_e32 v9, v9, v10
	ds_bpermute_b32 v10, v0, v9
	ds_bpermute_b32 v14, v21, v11
	;; [unrolled: 1-line block ×3, first 2 shown]
	v_cmp_lt_i32_e32 vcc, v45, v49
	v_cndmask_b32_e32 v13, v48, v45, vcc
	v_lshlrev_b32_e32 v13, 2, v13
	s_waitcnt lgkmcnt(2)
	v_add_f32_e32 v9, v9, v10
	s_waitcnt lgkmcnt(1)
	v_add_f32_e32 v11, v11, v14
	;; [unrolled: 2-line block ×3, first 2 shown]
	ds_bpermute_b32 v10, v13, v9
	ds_bpermute_b32 v14, v0, v11
	;; [unrolled: 1-line block ×4, first 2 shown]
	s_cmp_lg_u64 s[16:17], 0
	s_waitcnt lgkmcnt(3)
	v_add_f32_e32 v9, v9, v10
	s_waitcnt lgkmcnt(2)
	v_add_f32_e32 v10, v11, v14
	;; [unrolled: 2-line block ×4, first 2 shown]
	ds_bpermute_b32 v11, v12, v17
	ds_bpermute_b32 v16, v20, v15
	;; [unrolled: 1-line block ×4, first 2 shown]
	s_cselect_b64 s[0:1], -1, 0
	s_waitcnt lgkmcnt(3)
	v_add_f32_e32 v11, v17, v11
	s_waitcnt lgkmcnt(2)
	v_add_f32_e32 v15, v15, v16
	ds_bpermute_b32 v17, v20, v11
	ds_bpermute_b32 v16, v21, v15
	s_waitcnt lgkmcnt(3)
	v_add_f32_e32 v14, v14, v22
	ds_bpermute_b32 v22, v13, v14
	s_waitcnt lgkmcnt(3)
	v_add_f32_e32 v10, v10, v23
	s_waitcnt lgkmcnt(2)
	v_add_f32_e32 v11, v11, v17
	;; [unrolled: 2-line block ×3, first 2 shown]
	ds_bpermute_b32 v17, v21, v11
	ds_bpermute_b32 v16, v0, v15
	s_cmp_eq_u32 s7, 0
	s_cselect_b64 s[8:9], -1, 0
	s_and_b64 s[0:1], s[8:9], s[0:1]
	s_waitcnt lgkmcnt(1)
	v_add_f32_e32 v17, v11, v17
	v_add_f32_e32 v11, v14, v22
	s_waitcnt lgkmcnt(0)
	v_add_f32_e32 v14, v15, v16
	ds_bpermute_b32 v16, v12, v18
	ds_bpermute_b32 v22, v12, v19
	;; [unrolled: 1-line block ×5, first 2 shown]
	s_waitcnt lgkmcnt(4)
	v_add_f32_e32 v16, v18, v16
	s_waitcnt lgkmcnt(3)
	v_add_f32_e32 v19, v19, v22
	;; [unrolled: 2-line block ×3, first 2 shown]
	ds_bpermute_b32 v18, v20, v16
	ds_bpermute_b32 v22, v20, v19
	;; [unrolled: 1-line block ×3, first 2 shown]
	s_waitcnt lgkmcnt(4)
	v_add_f32_e32 v17, v17, v23
	ds_bpermute_b32 v23, v13, v17
	s_waitcnt lgkmcnt(3)
	v_add_f32_e32 v16, v16, v18
	s_waitcnt lgkmcnt(2)
	v_add_f32_e32 v19, v19, v22
	;; [unrolled: 2-line block ×3, first 2 shown]
	ds_bpermute_b32 v18, v21, v16
	ds_bpermute_b32 v22, v21, v19
	;; [unrolled: 1-line block ×3, first 2 shown]
	s_and_b64 vcc, exec, s[0:1]
	s_waitcnt lgkmcnt(2)
	v_add_f32_e32 v16, v16, v18
	s_waitcnt lgkmcnt(1)
	v_add_f32_e32 v19, v19, v22
	;; [unrolled: 2-line block ×3, first 2 shown]
	ds_bpermute_b32 v18, v0, v16
	ds_bpermute_b32 v21, v0, v19
	;; [unrolled: 1-line block ×3, first 2 shown]
	s_waitcnt lgkmcnt(2)
	v_add_f32_e32 v16, v16, v18
	s_waitcnt lgkmcnt(1)
	v_add_f32_e32 v19, v19, v21
	;; [unrolled: 2-line block ×3, first 2 shown]
	ds_bpermute_b32 v18, v13, v16
	ds_bpermute_b32 v20, v13, v19
	;; [unrolled: 1-line block ×3, first 2 shown]
	v_add_f32_e32 v12, v14, v15
	v_add_f32_e32 v13, v17, v23
	s_waitcnt lgkmcnt(2)
	v_add_f32_e32 v14, v16, v18
	s_waitcnt lgkmcnt(1)
	;; [unrolled: 2-line block ×3, first 2 shown]
	v_add_f32_e32 v16, v0, v21
	s_cbranch_vccz .LBB0_14
; %bb.12:
	s_ashr_i32 s29, s28, 31
	s_lshl_b64 s[0:1], s[28:29], 2
	s_add_u32 s0, s16, s0
	s_addc_u32 s1, s17, s1
	v_mov_b32_e32 v0, 0
	global_load_dwordx4 v[17:20], v0, s[0:1]
	global_load_dwordx4 v[21:24], v0, s[0:1] offset:16
	v_max_f32_e32 v0, v1, v1
	v_max_f32_e32 v26, v2, v2
	s_mov_b32 s6, 0x3fb8aa3b
	v_max_f32_e32 v27, v3, v3
	s_mov_b32 s1, 0xc2ce8ed0
	s_mov_b32 s0, 0x42b17218
	v_mov_b32_e32 v33, 0x7f800000
	s_waitcnt vmcnt(1)
	v_max_f32_e32 v25, v17, v17
	v_max_f32_e32 v25, v0, v25
	;; [unrolled: 1-line block ×3, first 2 shown]
	v_sub_f32_e32 v0, v1, v25
	v_max_f32_e32 v26, v26, v28
	v_sub_f32_e32 v1, v17, v25
	v_mul_f32_e32 v17, 0x3fb8aa3b, v0
	v_max_f32_e32 v29, v19, v19
	v_sub_f32_e32 v2, v2, v26
	v_mul_f32_e32 v28, 0x3fb8aa3b, v1
	v_fma_f32 v34, v0, s6, -v17
	v_rndne_f32_e32 v35, v17
	v_max_f32_e32 v27, v27, v29
	v_sub_f32_e32 v18, v18, v26
	v_mul_f32_e32 v29, 0x3fb8aa3b, v2
	v_fma_f32 v36, v1, s6, -v28
	v_rndne_f32_e32 v37, v28
	v_fmac_f32_e32 v34, 0x32a5705f, v0
	v_sub_f32_e32 v17, v17, v35
	v_mul_f32_e32 v30, 0x3fb8aa3b, v18
	v_fma_f32 v38, v2, s6, -v29
	v_rndne_f32_e32 v39, v29
	v_fmac_f32_e32 v36, 0x32a5705f, v1
	v_sub_f32_e32 v28, v28, v37
	v_add_f32_e32 v17, v17, v34
	v_fma_f32 v40, v18, s6, -v30
	v_rndne_f32_e32 v41, v30
	v_cvt_i32_f32_e32 v35, v35
	v_fmac_f32_e32 v38, 0x32a5705f, v2
	v_sub_f32_e32 v29, v29, v39
	v_add_f32_e32 v28, v28, v36
	v_exp_f32_e32 v17, v17
	v_cvt_i32_f32_e32 v37, v37
	v_fmac_f32_e32 v40, 0x32a5705f, v18
	v_sub_f32_e32 v30, v30, v41
	v_add_f32_e32 v29, v29, v38
	v_exp_f32_e32 v28, v28
	v_cvt_i32_f32_e32 v39, v39
	v_add_f32_e32 v30, v30, v40
	v_exp_f32_e32 v29, v29
	v_cvt_i32_f32_e32 v41, v41
	v_exp_f32_e32 v30, v30
	v_ldexp_f32 v17, v17, v35
	v_cmp_ngt_f32_e32 vcc, s1, v0
	v_ldexp_f32 v28, v28, v37
	v_cndmask_b32_e32 v17, 0, v17, vcc
	v_cmp_ngt_f32_e32 vcc, s1, v1
	v_ldexp_f32 v29, v29, v39
	v_cndmask_b32_e32 v28, 0, v28, vcc
	;; [unrolled: 3-line block ×3, first 2 shown]
	v_cmp_ngt_f32_e32 vcc, s1, v18
	v_sub_f32_e32 v3, v3, v27
	v_cndmask_b32_e32 v30, 0, v30, vcc
	v_cmp_nlt_f32_e32 vcc, s0, v0
	v_mul_f32_e32 v31, 0x3fb8aa3b, v3
	v_cndmask_b32_e32 v0, v33, v17, vcc
	v_cmp_nlt_f32_e32 vcc, s0, v1
	v_sub_f32_e32 v19, v19, v27
	v_fma_f32 v42, v3, s6, -v31
	v_rndne_f32_e32 v43, v31
	v_cndmask_b32_e32 v17, v33, v28, vcc
	v_cmp_nlt_f32_e32 vcc, s0, v2
	v_cvt_f16_f32_e32 v2, v0
	v_mul_f32_e32 v32, 0x3fb8aa3b, v19
	v_fmac_f32_e32 v42, 0x32a5705f, v3
	v_sub_f32_e32 v31, v31, v43
	v_fma_f32 v44, v19, s6, -v32
	v_rndne_f32_e32 v45, v32
	v_add_f32_e32 v31, v31, v42
	v_cndmask_b32_e32 v1, v33, v29, vcc
	v_cvt_i32_f32_e32 v43, v43
	v_fmac_f32_e32 v44, 0x32a5705f, v19
	v_sub_f32_e32 v32, v32, v45
	v_exp_f32_e32 v31, v31
	v_cvt_f16_f32_e32 v28, v1
	v_add_f32_e32 v32, v32, v44
	v_fmac_f32_e32 v17, v9, v0
	v_mul_u32_u24_e32 v0, 0x10001, v2
	v_exp_f32_e32 v32, v32
	v_cmp_nlt_f32_e32 vcc, s0, v18
	v_pk_mul_f16 v82, v82, v0
	v_pk_mul_f16 v83, v83, v0
	v_cvt_i32_f32_e32 v0, v45
	v_cndmask_b32_e32 v18, v33, v30, vcc
	v_ldexp_f32 v31, v31, v43
	v_fmac_f32_e32 v18, v10, v1
	v_mul_u32_u24_e32 v1, 0x10001, v28
	v_cmp_ngt_f32_e32 vcc, s1, v3
	v_pk_mul_f16 v80, v80, v1
	v_pk_mul_f16 v81, v81, v1
	v_cndmask_b32_e32 v1, 0, v31, vcc
	v_cmp_nlt_f32_e32 vcc, s0, v3
	v_cndmask_b32_e32 v1, v33, v1, vcc
	v_ldexp_f32 v0, v32, v0
	v_cmp_ngt_f32_e32 vcc, s1, v19
	v_cndmask_b32_e32 v0, 0, v0, vcc
	v_cmp_nlt_f32_e32 vcc, s0, v19
	v_cndmask_b32_e32 v19, v33, v0, vcc
	v_fmac_f32_e32 v19, v11, v1
	v_cvt_f16_f32_e32 v0, v1
	v_max_f32_e32 v1, v20, v20
	v_max_f32_e32 v2, v4, v4
	;; [unrolled: 1-line block ×3, first 2 shown]
	v_sub_f32_e32 v1, v4, v28
	v_mul_f32_e32 v2, 0x3fb8aa3b, v1
	v_fma_f32 v3, v1, s6, -v2
	v_rndne_f32_e32 v4, v2
	v_fmac_f32_e32 v3, 0x32a5705f, v1
	v_sub_f32_e32 v2, v2, v4
	v_add_f32_e32 v2, v2, v3
	v_exp_f32_e32 v2, v2
	v_cvt_i32_f32_e32 v3, v4
	v_mul_u32_u24_e32 v0, 0x10001, v0
	v_pk_mul_f16 v78, v78, v0
	v_pk_mul_f16 v79, v79, v0
	v_ldexp_f32 v0, v2, v3
	v_sub_f32_e32 v2, v20, v28
	v_mul_f32_e32 v3, 0x3fb8aa3b, v2
	v_fma_f32 v4, v2, s6, -v3
	v_rndne_f32_e32 v9, v3
	v_fmac_f32_e32 v4, 0x32a5705f, v2
	v_sub_f32_e32 v3, v3, v9
	v_add_f32_e32 v3, v3, v4
	v_exp_f32_e32 v3, v3
	v_cvt_i32_f32_e32 v4, v9
	v_cmp_ngt_f32_e32 vcc, s1, v1
	v_cndmask_b32_e32 v0, 0, v0, vcc
	v_cmp_nlt_f32_e32 vcc, s0, v1
	v_cndmask_b32_e32 v0, v33, v0, vcc
	v_ldexp_f32 v1, v3, v4
	v_cmp_ngt_f32_e32 vcc, s1, v2
	v_cndmask_b32_e32 v1, 0, v1, vcc
	v_cmp_nlt_f32_e32 vcc, s0, v2
	v_cndmask_b32_e32 v20, v33, v1, vcc
	s_waitcnt vmcnt(0)
	v_max_f32_e32 v1, v21, v21
	v_max_f32_e32 v2, v5, v5
	v_max_f32_e32 v29, v2, v1
	v_sub_f32_e32 v1, v5, v29
	v_mul_f32_e32 v2, 0x3fb8aa3b, v1
	v_fma_f32 v3, v1, s6, -v2
	v_rndne_f32_e32 v4, v2
	v_fmac_f32_e32 v3, 0x32a5705f, v1
	v_sub_f32_e32 v2, v2, v4
	v_fmac_f32_e32 v20, v12, v0
	v_cvt_f16_f32_e32 v0, v0
	v_add_f32_e32 v2, v2, v3
	v_exp_f32_e32 v2, v2
	v_cvt_i32_f32_e32 v3, v4
	v_mul_u32_u24_e32 v0, 0x10001, v0
	v_pk_mul_f16 v76, v76, v0
	v_pk_mul_f16 v77, v77, v0
	v_ldexp_f32 v0, v2, v3
	v_sub_f32_e32 v2, v21, v29
	v_mul_f32_e32 v3, 0x3fb8aa3b, v2
	v_fma_f32 v4, v2, s6, -v3
	v_rndne_f32_e32 v5, v3
	v_fmac_f32_e32 v4, 0x32a5705f, v2
	v_sub_f32_e32 v3, v3, v5
	v_add_f32_e32 v3, v3, v4
	v_exp_f32_e32 v3, v3
	v_cvt_i32_f32_e32 v4, v5
	v_cmp_ngt_f32_e32 vcc, s1, v1
	v_cndmask_b32_e32 v0, 0, v0, vcc
	v_cmp_nlt_f32_e32 vcc, s0, v1
	v_cndmask_b32_e32 v0, v33, v0, vcc
	v_ldexp_f32 v1, v3, v4
	v_cmp_ngt_f32_e32 vcc, s1, v2
	v_cndmask_b32_e32 v1, 0, v1, vcc
	v_cmp_nlt_f32_e32 vcc, s0, v2
	v_cndmask_b32_e32 v21, v33, v1, vcc
	v_max_f32_e32 v1, v22, v22
	v_max_f32_e32 v2, v6, v6
	v_max_f32_e32 v30, v2, v1
	v_sub_f32_e32 v1, v6, v30
	v_mul_f32_e32 v2, 0x3fb8aa3b, v1
	v_fma_f32 v3, v1, s6, -v2
	v_rndne_f32_e32 v4, v2
	v_fmac_f32_e32 v3, 0x32a5705f, v1
	v_sub_f32_e32 v2, v2, v4
	v_fmac_f32_e32 v21, v13, v0
	v_cvt_f16_f32_e32 v0, v0
	v_add_f32_e32 v2, v2, v3
	v_exp_f32_e32 v2, v2
	v_cvt_i32_f32_e32 v3, v4
	v_mul_u32_u24_e32 v0, 0x10001, v0
	v_pk_mul_f16 v74, v74, v0
	v_pk_mul_f16 v75, v75, v0
	v_ldexp_f32 v0, v2, v3
	v_sub_f32_e32 v2, v22, v30
	v_mul_f32_e32 v3, 0x3fb8aa3b, v2
	v_fma_f32 v4, v2, s6, -v3
	v_rndne_f32_e32 v5, v3
	v_fmac_f32_e32 v4, 0x32a5705f, v2
	v_sub_f32_e32 v3, v3, v5
	v_add_f32_e32 v3, v3, v4
	v_exp_f32_e32 v3, v3
	v_cvt_i32_f32_e32 v4, v5
	v_cmp_ngt_f32_e32 vcc, s1, v1
	v_cndmask_b32_e32 v0, 0, v0, vcc
	v_cmp_nlt_f32_e32 vcc, s0, v1
	v_cndmask_b32_e32 v0, v33, v0, vcc
	v_ldexp_f32 v1, v3, v4
	v_cmp_ngt_f32_e32 vcc, s1, v2
	v_cndmask_b32_e32 v1, 0, v1, vcc
	v_cmp_nlt_f32_e32 vcc, s0, v2
	v_cndmask_b32_e32 v22, v33, v1, vcc
	v_max_f32_e32 v1, v23, v23
	v_max_f32_e32 v2, v7, v7
	v_max_f32_e32 v31, v2, v1
	v_sub_f32_e32 v1, v7, v31
	v_mul_f32_e32 v2, 0x3fb8aa3b, v1
	v_fma_f32 v3, v1, s6, -v2
	v_rndne_f32_e32 v4, v2
	v_fmac_f32_e32 v3, 0x32a5705f, v1
	v_sub_f32_e32 v2, v2, v4
	v_fmac_f32_e32 v22, v14, v0
	v_cvt_f16_f32_e32 v0, v0
	v_add_f32_e32 v2, v2, v3
	v_exp_f32_e32 v2, v2
	v_cvt_i32_f32_e32 v3, v4
	v_mul_u32_u24_e32 v0, 0x10001, v0
	v_pk_mul_f16 v72, v72, v0
	v_pk_mul_f16 v73, v73, v0
	v_ldexp_f32 v0, v2, v3
	v_sub_f32_e32 v2, v23, v31
	v_mul_f32_e32 v3, 0x3fb8aa3b, v2
	v_fma_f32 v4, v2, s6, -v3
	v_rndne_f32_e32 v5, v3
	v_fmac_f32_e32 v4, 0x32a5705f, v2
	v_sub_f32_e32 v3, v3, v5
	v_add_f32_e32 v3, v3, v4
	v_exp_f32_e32 v3, v3
	v_cvt_i32_f32_e32 v4, v5
	v_cmp_ngt_f32_e32 vcc, s1, v1
	v_cndmask_b32_e32 v0, 0, v0, vcc
	v_cmp_nlt_f32_e32 vcc, s0, v1
	v_cndmask_b32_e32 v0, v33, v0, vcc
	v_ldexp_f32 v1, v3, v4
	v_cmp_ngt_f32_e32 vcc, s1, v2
	v_cndmask_b32_e32 v1, 0, v1, vcc
	v_cmp_nlt_f32_e32 vcc, s0, v2
	v_cndmask_b32_e32 v23, v33, v1, vcc
	v_max_f32_e32 v1, v24, v24
	v_max_f32_e32 v2, v8, v8
	;; [unrolled: 1-line block ×3, first 2 shown]
	v_sub_f32_e32 v1, v8, v32
	v_mul_f32_e32 v2, 0x3fb8aa3b, v1
	v_fma_f32 v3, v1, s6, -v2
	v_rndne_f32_e32 v4, v2
	v_fmac_f32_e32 v3, 0x32a5705f, v1
	v_sub_f32_e32 v2, v2, v4
	v_fmac_f32_e32 v23, v15, v0
	v_cvt_f16_f32_e32 v0, v0
	v_add_f32_e32 v2, v2, v3
	v_exp_f32_e32 v2, v2
	v_cvt_i32_f32_e32 v3, v4
	v_mul_u32_u24_e32 v0, 0x10001, v0
	v_pk_mul_f16 v70, v70, v0
	v_pk_mul_f16 v71, v71, v0
	v_ldexp_f32 v0, v2, v3
	v_sub_f32_e32 v2, v24, v32
	v_mul_f32_e32 v3, 0x3fb8aa3b, v2
	v_fma_f32 v4, v2, s6, -v3
	v_rndne_f32_e32 v5, v3
	v_fmac_f32_e32 v4, 0x32a5705f, v2
	v_sub_f32_e32 v3, v3, v5
	v_add_f32_e32 v3, v3, v4
	v_exp_f32_e32 v3, v3
	v_cvt_i32_f32_e32 v4, v5
	v_cmp_ngt_f32_e32 vcc, s1, v1
	v_cndmask_b32_e32 v0, 0, v0, vcc
	v_cmp_nlt_f32_e32 vcc, s0, v1
	v_cndmask_b32_e32 v0, v33, v0, vcc
	v_ldexp_f32 v1, v3, v4
	v_cvt_f16_f32_e32 v3, v0
	v_cmp_ngt_f32_e32 vcc, s1, v2
	v_cndmask_b32_e32 v1, 0, v1, vcc
	v_cmp_nlt_f32_e32 vcc, s0, v2
	v_cndmask_b32_e32 v24, v33, v1, vcc
	v_fmac_f32_e32 v24, v16, v0
	v_mul_u32_u24_e32 v0, 0x10001, v3
	v_mov_b32_e32 v1, v25
	v_pk_mul_f16 v69, v69, v0
	v_pk_mul_f16 v68, v68, v0
	v_mov_b32_e32 v2, v26
	v_mov_b32_e32 v3, v27
	;; [unrolled: 1-line block ×15, first 2 shown]
	v_cmp_gt_i32_e32 vcc, s2, v52
	s_and_saveexec_b64 s[0:1], vcc
	s_cbranch_execnz .LBB0_15
.LBB0_13:
	s_endpgm
.LBB0_14:
	v_mov_b32_e32 v24, v16
	v_mov_b32_e32 v23, v15
	;; [unrolled: 1-line block ×8, first 2 shown]
	s_waitcnt vmcnt(0)
	v_cmp_gt_i32_e32 vcc, s2, v52
	s_and_saveexec_b64 s[0:1], vcc
	s_cbranch_execz .LBB0_13
.LBB0_15:
	s_load_dword s6, s[4:5], 0xd4
	v_mov_b32_e32 v26, 1.0
	s_waitcnt lgkmcnt(0)
	s_cmp_lg_u32 s6, 1
	s_cselect_b64 s[0:1], -1, 0
	s_cmp_eq_u32 s6, 1
	s_cselect_b64 s[4:5], -1, 0
	s_and_b64 vcc, exec, s[0:1]
	s_cbranch_vccnz .LBB0_17
; %bb.16:
	v_div_scale_f32 v0, s[8:9], v9, v9, 1.0
	v_div_scale_f32 v25, vcc, 1.0, v9, 1.0
	v_rcp_f32_e32 v26, v0
	v_fma_f32 v27, -v0, v26, 1.0
	v_fmac_f32_e32 v26, v27, v26
	v_mul_f32_e32 v27, v25, v26
	v_fma_f32 v28, -v0, v27, v25
	v_fmac_f32_e32 v27, v28, v26
	v_fma_f32 v0, -v0, v27, v25
	v_div_fmas_f32 v0, v0, v26, v27
	v_div_fixup_f32 v26, v0, v9, 1.0
.LBB0_17:
	s_mul_i32 s33, s33, s2
	v_add_u32_e32 v0, s33, v52
	v_mul_lo_u32 v0, v0, s3
	v_mov_b32_e32 v32, 0
	v_cvt_f32_f16_e32 v9, v82
	v_cvt_f32_f16_sdwa v28, v82 dst_sel:DWORD dst_unused:UNUSED_PAD src0_sel:WORD_1
	v_add_u32_e32 v0, s28, v0
	v_mul_lo_u32 v0, s6, v0
	v_cvt_f32_f16_e32 v29, v83
	v_cmp_eq_u32_e32 vcc, 0, v51
	s_and_b64 s[2:3], vcc, s[0:1]
	v_add_u32_e32 v25, s7, v0
	v_cvt_f32_f16_sdwa v0, v83 dst_sel:DWORD dst_unused:UNUSED_PAD src0_sel:WORD_1
	v_lshl_add_u32 v31, v25, 7, v50
	v_lshlrev_b64 v[31:32], 2, v[31:32]
	v_mul_f32_e32 v27, v26, v9
	v_mul_f32_e32 v30, v26, v0
	v_mov_b32_e32 v0, s21
	v_add_co_u32_e32 v31, vcc, s20, v31
	v_mul_f32_e32 v28, v26, v28
	v_mul_f32_e32 v29, v26, v29
	v_addc_co_u32_e32 v32, vcc, v0, v32, vcc
	global_store_dwordx4 v[31:32], v[27:30], off
	s_and_saveexec_b64 s[0:1], s[2:3]
	s_cbranch_execz .LBB0_19
; %bb.18:
	v_ashrrev_i32_e32 v26, 31, v25
	v_lshlrev_b64 v[26:27], 3, v[25:26]
	v_mov_b32_e32 v0, s23
	v_add_co_u32_e32 v26, vcc, s22, v26
	v_addc_co_u32_e32 v27, vcc, v0, v27, vcc
	v_mov_b32_e32 v0, v1
	v_mov_b32_e32 v1, v17
	global_store_dwordx2 v[26:27], v[0:1], off
.LBB0_19:
	s_or_b64 exec, exec, s[0:1]
	v_cndmask_b32_e64 v0, 0, 1, s[4:5]
	v_cmp_ne_u32_e64 s[0:1], 1, v0
	s_andn2_b64 vcc, exec, s[4:5]
	v_mov_b32_e32 v1, 1.0
	s_cbranch_vccnz .LBB0_21
; %bb.20:
	v_div_scale_f32 v0, s[4:5], v10, v10, 1.0
	v_div_scale_f32 v1, vcc, 1.0, v10, 1.0
	v_rcp_f32_e32 v9, v0
	v_fma_f32 v17, -v0, v9, 1.0
	v_fmac_f32_e32 v9, v17, v9
	v_mul_f32_e32 v17, v1, v9
	v_fma_f32 v26, -v0, v17, v1
	v_fmac_f32_e32 v17, v26, v9
	v_fma_f32 v0, -v0, v17, v1
	v_div_fmas_f32 v0, v0, v9, v17
	v_div_fixup_f32 v1, v0, v10, 1.0
.LBB0_21:
	v_add_u32_e32 v0, s6, v25
	v_cvt_f32_f16_e32 v17, v80
	v_cvt_f32_f16_sdwa v26, v80 dst_sel:DWORD dst_unused:UNUSED_PAD src0_sel:WORD_1
	v_cvt_f32_f16_e32 v27, v81
	v_cvt_f32_f16_sdwa v28, v81 dst_sel:DWORD dst_unused:UNUSED_PAD src0_sel:WORD_1
	v_lshl_add_u32 v9, v0, 7, v50
	v_mov_b32_e32 v10, 0
	v_lshlrev_b64 v[9:10], 2, v[9:10]
	v_mul_f32_e32 v25, v1, v17
	v_mul_f32_e32 v26, v1, v26
	;; [unrolled: 1-line block ×4, first 2 shown]
	v_mov_b32_e32 v1, s21
	v_add_co_u32_e32 v9, vcc, s20, v9
	v_addc_co_u32_e32 v10, vcc, v1, v10, vcc
	global_store_dwordx4 v[9:10], v[25:28], off
	s_and_saveexec_b64 s[4:5], s[2:3]
	s_cbranch_execz .LBB0_23
; %bb.22:
	v_ashrrev_i32_e32 v1, 31, v0
	v_lshlrev_b64 v[9:10], 3, v[0:1]
	v_mov_b32_e32 v1, s23
	v_add_co_u32_e32 v9, vcc, s22, v9
	v_addc_co_u32_e32 v10, vcc, v1, v10, vcc
	v_mov_b32_e32 v17, v2
	global_store_dwordx2 v[9:10], v[17:18], off
.LBB0_23:
	s_or_b64 exec, exec, s[4:5]
	s_and_b64 vcc, exec, s[0:1]
	v_mov_b32_e32 v1, 1.0
	s_cbranch_vccnz .LBB0_25
; %bb.24:
	v_div_scale_f32 v1, s[4:5], v11, v11, 1.0
	v_div_scale_f32 v2, vcc, 1.0, v11, 1.0
	v_rcp_f32_e32 v9, v1
	v_fma_f32 v10, -v1, v9, 1.0
	v_fmac_f32_e32 v9, v10, v9
	v_mul_f32_e32 v10, v2, v9
	v_fma_f32 v17, -v1, v10, v2
	v_fmac_f32_e32 v10, v17, v9
	v_fma_f32 v1, -v1, v10, v2
	v_div_fmas_f32 v1, v1, v9, v10
	v_div_fixup_f32 v1, v1, v11, 1.0
.LBB0_25:
	v_cvt_f32_f16_e32 v2, v78
	v_cvt_f32_f16_sdwa v11, v78 dst_sel:DWORD dst_unused:UNUSED_PAD src0_sel:WORD_1
	v_cvt_f32_f16_e32 v17, v79
	v_cvt_f32_f16_sdwa v18, v79 dst_sel:DWORD dst_unused:UNUSED_PAD src0_sel:WORD_1
	v_add_u32_e32 v0, s6, v0
	v_lshl_add_u32 v9, v0, 7, v50
	v_mov_b32_e32 v10, 0
	v_mul_f32_e32 v25, v1, v2
	v_mul_f32_e32 v26, v1, v11
	v_mul_f32_e32 v27, v1, v17
	v_mul_f32_e32 v28, v1, v18
	v_lshlrev_b64 v[1:2], 2, v[9:10]
	v_mov_b32_e32 v9, s21
	v_add_co_u32_e32 v1, vcc, s20, v1
	v_addc_co_u32_e32 v2, vcc, v9, v2, vcc
	global_store_dwordx4 v[1:2], v[25:28], off
	s_and_saveexec_b64 s[4:5], s[2:3]
	s_cbranch_execz .LBB0_27
; %bb.26:
	v_ashrrev_i32_e32 v1, 31, v0
	v_lshlrev_b64 v[1:2], 3, v[0:1]
	v_mov_b32_e32 v9, s23
	v_add_co_u32_e32 v1, vcc, s22, v1
	v_addc_co_u32_e32 v2, vcc, v9, v2, vcc
	v_mov_b32_e32 v18, v3
	global_store_dwordx2 v[1:2], v[18:19], off
.LBB0_27:
	s_or_b64 exec, exec, s[4:5]
	s_and_b64 vcc, exec, s[0:1]
	v_mov_b32_e32 v1, 1.0
	s_cbranch_vccnz .LBB0_29
; %bb.28:
	v_div_scale_f32 v1, s[4:5], v12, v12, 1.0
	v_div_scale_f32 v2, vcc, 1.0, v12, 1.0
	v_rcp_f32_e32 v3, v1
	v_fma_f32 v9, -v1, v3, 1.0
	v_fmac_f32_e32 v3, v9, v3
	v_mul_f32_e32 v9, v2, v3
	v_fma_f32 v10, -v1, v9, v2
	v_fmac_f32_e32 v9, v10, v3
	v_fma_f32 v1, -v1, v9, v2
	v_div_fmas_f32 v1, v1, v3, v9
	v_div_fixup_f32 v1, v1, v12, 1.0
.LBB0_29:
	v_cvt_f32_f16_e32 v9, v76
	v_cvt_f32_f16_sdwa v10, v76 dst_sel:DWORD dst_unused:UNUSED_PAD src0_sel:WORD_1
	v_cvt_f32_f16_e32 v11, v77
	v_cvt_f32_f16_sdwa v12, v77 dst_sel:DWORD dst_unused:UNUSED_PAD src0_sel:WORD_1
	v_add_u32_e32 v0, s6, v0
	v_lshl_add_u32 v2, v0, 7, v50
	v_mov_b32_e32 v3, 0
	v_mul_f32_e32 v9, v1, v9
	v_mul_f32_e32 v10, v1, v10
	v_mul_f32_e32 v11, v1, v11
	v_mul_f32_e32 v12, v1, v12
	v_lshlrev_b64 v[1:2], 2, v[2:3]
	;; [unrolled: 44-line block ×3, first 2 shown]
	v_mov_b32_e32 v3, s21
	v_add_co_u32_e32 v1, vcc, s20, v1
	v_addc_co_u32_e32 v2, vcc, v3, v2, vcc
	global_store_dwordx4 v[1:2], v[9:12], off
	s_and_saveexec_b64 s[4:5], s[2:3]
	s_cbranch_execz .LBB0_35
; %bb.34:
	v_ashrrev_i32_e32 v1, 31, v0
	v_lshlrev_b64 v[1:2], 3, v[0:1]
	v_mov_b32_e32 v3, s23
	v_add_co_u32_e32 v1, vcc, s22, v1
	v_addc_co_u32_e32 v2, vcc, v3, v2, vcc
	v_mov_b32_e32 v20, v5
	global_store_dwordx2 v[1:2], v[20:21], off
.LBB0_35:
	s_or_b64 exec, exec, s[4:5]
	s_and_b64 vcc, exec, s[0:1]
	v_mov_b32_e32 v1, 1.0
	s_cbranch_vccnz .LBB0_37
; %bb.36:
	v_div_scale_f32 v1, s[4:5], v14, v14, 1.0
	v_div_scale_f32 v2, vcc, 1.0, v14, 1.0
	v_rcp_f32_e32 v3, v1
	v_fma_f32 v4, -v1, v3, 1.0
	v_fmac_f32_e32 v3, v4, v3
	v_mul_f32_e32 v4, v2, v3
	v_fma_f32 v5, -v1, v4, v2
	v_fmac_f32_e32 v4, v5, v3
	v_fma_f32 v1, -v1, v4, v2
	v_div_fmas_f32 v1, v1, v3, v4
	v_div_fixup_f32 v1, v1, v14, 1.0
.LBB0_37:
	v_add_u32_e32 v0, s6, v0
	v_cvt_f32_f16_e32 v2, v72
	v_cvt_f32_f16_sdwa v3, v72 dst_sel:DWORD dst_unused:UNUSED_PAD src0_sel:WORD_1
	v_cvt_f32_f16_e32 v4, v73
	v_cvt_f32_f16_sdwa v5, v73 dst_sel:DWORD dst_unused:UNUSED_PAD src0_sel:WORD_1
	v_lshl_add_u32 v9, v0, 7, v50
	v_mov_b32_e32 v10, 0
	v_lshlrev_b64 v[9:10], 2, v[9:10]
	v_mul_f32_e32 v2, v1, v2
	v_mul_f32_e32 v3, v1, v3
	v_mul_f32_e32 v4, v1, v4
	v_mul_f32_e32 v5, v1, v5
	v_mov_b32_e32 v1, s21
	v_add_co_u32_e32 v9, vcc, s20, v9
	v_addc_co_u32_e32 v10, vcc, v1, v10, vcc
	global_store_dwordx4 v[9:10], v[2:5], off
	s_and_saveexec_b64 s[4:5], s[2:3]
	s_cbranch_execz .LBB0_39
; %bb.38:
	v_ashrrev_i32_e32 v1, 31, v0
	v_lshlrev_b64 v[1:2], 3, v[0:1]
	v_mov_b32_e32 v3, s23
	v_add_co_u32_e32 v1, vcc, s22, v1
	v_addc_co_u32_e32 v2, vcc, v3, v2, vcc
	v_mov_b32_e32 v21, v6
	global_store_dwordx2 v[1:2], v[21:22], off
.LBB0_39:
	s_or_b64 exec, exec, s[4:5]
	s_and_b64 vcc, exec, s[0:1]
	v_mov_b32_e32 v1, 1.0
	s_cbranch_vccnz .LBB0_41
; %bb.40:
	v_div_scale_f32 v1, s[4:5], v15, v15, 1.0
	v_div_scale_f32 v2, vcc, 1.0, v15, 1.0
	v_rcp_f32_e32 v3, v1
	v_fma_f32 v4, -v1, v3, 1.0
	v_fmac_f32_e32 v3, v4, v3
	v_mul_f32_e32 v4, v2, v3
	v_fma_f32 v5, -v1, v4, v2
	v_fmac_f32_e32 v4, v5, v3
	v_fma_f32 v1, -v1, v4, v2
	v_div_fmas_f32 v1, v1, v3, v4
	v_div_fixup_f32 v1, v1, v15, 1.0
.LBB0_41:
	v_add_u32_e32 v0, s6, v0
	v_cvt_f32_f16_e32 v2, v70
	v_cvt_f32_f16_sdwa v3, v70 dst_sel:DWORD dst_unused:UNUSED_PAD src0_sel:WORD_1
	v_cvt_f32_f16_e32 v4, v71
	v_cvt_f32_f16_sdwa v5, v71 dst_sel:DWORD dst_unused:UNUSED_PAD src0_sel:WORD_1
	v_lshl_add_u32 v9, v0, 7, v50
	v_mov_b32_e32 v10, 0
	v_lshlrev_b64 v[9:10], 2, v[9:10]
	v_mul_f32_e32 v2, v1, v2
	v_mul_f32_e32 v3, v1, v3
	v_mul_f32_e32 v4, v1, v4
	v_mul_f32_e32 v5, v1, v5
	;; [unrolled: 44-line block ×3, first 2 shown]
	v_mov_b32_e32 v1, s21
	v_add_co_u32_e32 v6, vcc, s20, v6
	v_addc_co_u32_e32 v7, vcc, v1, v7, vcc
	global_store_dwordx4 v[6:7], v[2:5], off
	s_and_b64 exec, exec, s[2:3]
	s_cbranch_execz .LBB0_13
; %bb.46:
	v_ashrrev_i32_e32 v1, 31, v0
	v_lshlrev_b64 v[0:1], 3, v[0:1]
	v_mov_b32_e32 v2, s23
	v_add_co_u32_e32 v0, vcc, s22, v0
	v_addc_co_u32_e32 v1, vcc, v2, v1, vcc
	v_mov_b32_e32 v23, v8
	global_store_dwordx2 v[0:1], v[23:24], off
	s_endpgm
	.section	.rodata,"a",@progbits
	.p2align	6, 0x0
	.amdhsa_kernel _ZL15flash_attn_tileILi128ELi128ELi8ELi8ELb0EEvPKcS1_S1_S1_S1_PKiPfP15HIP_vector_typeIfLj2EEffffjfiS5_IjLj3EEiiiiiiiiiiiliiliiiiil
		.amdhsa_group_segment_fixed_size 29696
		.amdhsa_private_segment_fixed_size 40
		.amdhsa_kernarg_size 464
		.amdhsa_user_sgpr_count 6
		.amdhsa_user_sgpr_private_segment_buffer 1
		.amdhsa_user_sgpr_dispatch_ptr 0
		.amdhsa_user_sgpr_queue_ptr 0
		.amdhsa_user_sgpr_kernarg_segment_ptr 1
		.amdhsa_user_sgpr_dispatch_id 0
		.amdhsa_user_sgpr_flat_scratch_init 0
		.amdhsa_user_sgpr_private_segment_size 0
		.amdhsa_uses_dynamic_stack 0
		.amdhsa_system_sgpr_private_segment_wavefront_offset 1
		.amdhsa_system_sgpr_workgroup_id_x 1
		.amdhsa_system_sgpr_workgroup_id_y 1
		.amdhsa_system_sgpr_workgroup_id_z 1
		.amdhsa_system_sgpr_workgroup_info 0
		.amdhsa_system_vgpr_workitem_id 1
		.amdhsa_next_free_vgpr 128
		.amdhsa_next_free_sgpr 98
		.amdhsa_reserve_vcc 1
		.amdhsa_reserve_flat_scratch 0
		.amdhsa_float_round_mode_32 0
		.amdhsa_float_round_mode_16_64 0
		.amdhsa_float_denorm_mode_32 3
		.amdhsa_float_denorm_mode_16_64 3
		.amdhsa_dx10_clamp 1
		.amdhsa_ieee_mode 1
		.amdhsa_fp16_overflow 0
		.amdhsa_exception_fp_ieee_invalid_op 0
		.amdhsa_exception_fp_denorm_src 0
		.amdhsa_exception_fp_ieee_div_zero 0
		.amdhsa_exception_fp_ieee_overflow 0
		.amdhsa_exception_fp_ieee_underflow 0
		.amdhsa_exception_fp_ieee_inexact 0
		.amdhsa_exception_int_div_zero 0
	.end_amdhsa_kernel
	.section	.text._ZL15flash_attn_tileILi128ELi128ELi8ELi8ELb0EEvPKcS1_S1_S1_S1_PKiPfP15HIP_vector_typeIfLj2EEffffjfiS5_IjLj3EEiiiiiiiiiiiliiliiiiil,"axG",@progbits,_ZL15flash_attn_tileILi128ELi128ELi8ELi8ELb0EEvPKcS1_S1_S1_S1_PKiPfP15HIP_vector_typeIfLj2EEffffjfiS5_IjLj3EEiiiiiiiiiiiliiliiiiil,comdat
.Lfunc_end0:
	.size	_ZL15flash_attn_tileILi128ELi128ELi8ELi8ELb0EEvPKcS1_S1_S1_S1_PKiPfP15HIP_vector_typeIfLj2EEffffjfiS5_IjLj3EEiiiiiiiiiiiliiliiiiil, .Lfunc_end0-_ZL15flash_attn_tileILi128ELi128ELi8ELi8ELb0EEvPKcS1_S1_S1_S1_PKiPfP15HIP_vector_typeIfLj2EEffffjfiS5_IjLj3EEiiiiiiiiiiiliiliiiiil
                                        ; -- End function
	.set _ZL15flash_attn_tileILi128ELi128ELi8ELi8ELb0EEvPKcS1_S1_S1_S1_PKiPfP15HIP_vector_typeIfLj2EEffffjfiS5_IjLj3EEiiiiiiiiiiiliiliiiiil.num_vgpr, 128
	.set _ZL15flash_attn_tileILi128ELi128ELi8ELi8ELb0EEvPKcS1_S1_S1_S1_PKiPfP15HIP_vector_typeIfLj2EEffffjfiS5_IjLj3EEiiiiiiiiiiiliiliiiiil.num_agpr, 0
	.set _ZL15flash_attn_tileILi128ELi128ELi8ELi8ELb0EEvPKcS1_S1_S1_S1_PKiPfP15HIP_vector_typeIfLj2EEffffjfiS5_IjLj3EEiiiiiiiiiiiliiliiiiil.numbered_sgpr, 44
	.set _ZL15flash_attn_tileILi128ELi128ELi8ELi8ELb0EEvPKcS1_S1_S1_S1_PKiPfP15HIP_vector_typeIfLj2EEffffjfiS5_IjLj3EEiiiiiiiiiiiliiliiiiil.num_named_barrier, 0
	.set _ZL15flash_attn_tileILi128ELi128ELi8ELi8ELb0EEvPKcS1_S1_S1_S1_PKiPfP15HIP_vector_typeIfLj2EEffffjfiS5_IjLj3EEiiiiiiiiiiiliiliiiiil.private_seg_size, 40
	.set _ZL15flash_attn_tileILi128ELi128ELi8ELi8ELb0EEvPKcS1_S1_S1_S1_PKiPfP15HIP_vector_typeIfLj2EEffffjfiS5_IjLj3EEiiiiiiiiiiiliiliiiiil.uses_vcc, 1
	.set _ZL15flash_attn_tileILi128ELi128ELi8ELi8ELb0EEvPKcS1_S1_S1_S1_PKiPfP15HIP_vector_typeIfLj2EEffffjfiS5_IjLj3EEiiiiiiiiiiiliiliiiiil.uses_flat_scratch, 0
	.set _ZL15flash_attn_tileILi128ELi128ELi8ELi8ELb0EEvPKcS1_S1_S1_S1_PKiPfP15HIP_vector_typeIfLj2EEffffjfiS5_IjLj3EEiiiiiiiiiiiliiliiiiil.has_dyn_sized_stack, 0
	.set _ZL15flash_attn_tileILi128ELi128ELi8ELi8ELb0EEvPKcS1_S1_S1_S1_PKiPfP15HIP_vector_typeIfLj2EEffffjfiS5_IjLj3EEiiiiiiiiiiiliiliiiiil.has_recursion, 0
	.set _ZL15flash_attn_tileILi128ELi128ELi8ELi8ELb0EEvPKcS1_S1_S1_S1_PKiPfP15HIP_vector_typeIfLj2EEffffjfiS5_IjLj3EEiiiiiiiiiiiliiliiiiil.has_indirect_call, 0
	.section	.AMDGPU.csdata,"",@progbits
; Kernel info:
; codeLenInByte = 34116
; TotalNumSgprs: 48
; NumVgprs: 128
; ScratchSize: 40
; MemoryBound: 0
; FloatMode: 240
; IeeeMode: 1
; LDSByteSize: 29696 bytes/workgroup (compile time only)
; SGPRBlocks: 12
; VGPRBlocks: 31
; NumSGPRsForWavesPerEU: 102
; NumVGPRsForWavesPerEU: 128
; Occupancy: 2
; WaveLimiterHint : 1
; COMPUTE_PGM_RSRC2:SCRATCH_EN: 1
; COMPUTE_PGM_RSRC2:USER_SGPR: 6
; COMPUTE_PGM_RSRC2:TRAP_HANDLER: 0
; COMPUTE_PGM_RSRC2:TGID_X_EN: 1
; COMPUTE_PGM_RSRC2:TGID_Y_EN: 1
; COMPUTE_PGM_RSRC2:TGID_Z_EN: 1
; COMPUTE_PGM_RSRC2:TIDIG_COMP_CNT: 1
	.section	.text._ZL25flash_attn_mask_to_KV_maxILi8EEvPK7__half2Piiii,"axG",@progbits,_ZL25flash_attn_mask_to_KV_maxILi8EEvPK7__half2Piiii,comdat
	.globl	_ZL25flash_attn_mask_to_KV_maxILi8EEvPK7__half2Piiii ; -- Begin function _ZL25flash_attn_mask_to_KV_maxILi8EEvPK7__half2Piiii
	.p2align	8
	.type	_ZL25flash_attn_mask_to_KV_maxILi8EEvPK7__half2Piiii,@function
_ZL25flash_attn_mask_to_KV_maxILi8EEvPK7__half2Piiii: ; @_ZL25flash_attn_mask_to_KV_maxILi8EEvPK7__half2Piiii
; %bb.0:
	s_load_dwordx4 s[8:11], s[4:5], 0x0
	v_cmp_gt_u32_e32 vcc, 32, v0
	s_and_saveexec_b64 s[0:1], vcc
; %bb.1:
	v_lshlrev_b32_e32 v1, 2, v0
	v_mov_b32_e32 v2, 1
	ds_write_b32 v1, v2
; %bb.2:
	s_or_b64 exec, exec, s[0:1]
	s_load_dwordx4 s[12:15], s[4:5], 0x10
	s_load_dword s33, s[4:5], 0x20
	v_and_b32_e32 v1, 31, v0
	v_lshlrev_b32_e32 v6, 2, v1
	v_lshrrev_b32_e32 v5, 3, v0
	s_waitcnt lgkmcnt(0)
	s_mul_i32 s1, s6, s13
	s_mul_i32 s0, s14, s7
	s_lshl_b32 s1, s1, 3
	s_add_i32 s0, s0, s1
	s_ashr_i32 s1, s0, 31
	s_lshl_b64 s[0:1], s[0:1], 2
	s_add_u32 s40, s8, s0
	s_addc_u32 s41, s9, s1
	v_cmp_eq_u32_e64 s[0:1], 0, v1
	v_mbcnt_lo_u32_b32 v1, -1, 0
	s_lshl_b32 s12, s12, 8
	s_mov_b64 s[4:5], 0
	v_mov_b32_e32 v2, 0
	s_movk_i32 s42, 0x204
	v_mbcnt_hi_u32_b32 v7, -1, v1
	s_barrier
                                        ; implicit-def: $sgpr2_sgpr3
	s_branch .LBB1_5
.LBB1_3:                                ;   in Loop: Header=BB1_5 Depth=1
	s_or_b64 exec, exec, s[8:9]
	s_waitcnt lgkmcnt(0)
	s_barrier
	ds_read_b32 v10, v6
	s_waitcnt lgkmcnt(0)
	s_barrier
	ds_bpermute_b32 v1, v1, v10
	v_cmp_ne_u32_e32 vcc, 0, v10
	s_waitcnt lgkmcnt(0)
	v_cmp_ne_u32_e64 s[2:3], 0, v1
	s_and_b64 s[2:3], vcc, s[2:3]
	v_cndmask_b32_e64 v1, 0, 1, s[2:3]
	ds_bpermute_b32 v1, v3, v1
	s_waitcnt lgkmcnt(0)
	v_cmp_ne_u32_e32 vcc, 0, v1
	s_and_b64 s[2:3], vcc, s[2:3]
	v_cndmask_b32_e64 v1, 0, 1, s[2:3]
	ds_bpermute_b32 v1, v4, v1
	s_waitcnt lgkmcnt(0)
	v_cmp_ne_u32_e32 vcc, 0, v1
	s_and_b64 s[2:3], vcc, s[2:3]
	v_cndmask_b32_e64 v1, 0, 1, s[2:3]
	ds_bpermute_b32 v1, v8, v1
	s_waitcnt lgkmcnt(0)
	v_cmp_ne_u32_e32 vcc, 0, v1
	s_and_b64 s[2:3], vcc, s[2:3]
	v_cndmask_b32_e64 v1, 0, 1, s[2:3]
	ds_bpermute_b32 v1, v9, v1
	s_xor_b64 s[2:3], s[2:3], -1
	s_waitcnt lgkmcnt(0)
	v_cmp_eq_u32_e32 vcc, 0, v1
	s_or_b64 s[2:3], vcc, s[2:3]
.LBB1_4:                                ;   in Loop: Header=BB1_5 Depth=1
	s_and_b64 s[8:9], exec, s[2:3]
	s_or_b64 s[4:5], s[8:9], s[4:5]
	v_mov_b32_e32 v1, s12
	s_mov_b32 s12, s43
	s_andn2_b64 exec, exec, s[4:5]
	s_cbranch_execz .LBB1_36
.LBB1_5:                                ; =>This Inner Loop Header: Depth=1
	s_add_i32 s43, s12, 0xffffff00
	s_or_b64 s[2:3], s[2:3], exec
	s_cmp_lt_i32 s43, 0
	s_cbranch_scc1 .LBB1_4
; %bb.6:                                ;   in Loop: Header=BB1_5 Depth=1
	s_lshr_b32 s2, s43, 1
	v_add_u32_e32 v1, s2, v0
	v_lshlrev_b64 v[3:4], 2, v[1:2]
	v_mov_b32_e32 v8, s41
	v_add_co_u32_e32 v3, vcc, s40, v3
	v_addc_co_u32_e32 v4, vcc, v8, v4, vcc
	global_load_dword v3, v[3:4], off
	v_mov_b32_e32 v4, 0
	s_waitcnt vmcnt(0)
	v_cmp_class_f16_e64 s[2:3], v3, s42
	v_cmp_class_f16_sdwa s[8:9], v3, s42 src0_sel:WORD_1 src1_sel:DWORD
	s_and_b64 s[8:9], s[2:3], s[8:9]
	s_and_saveexec_b64 s[2:3], s[8:9]
	s_cbranch_execz .LBB1_34
; %bb.7:                                ;   in Loop: Header=BB1_5 Depth=1
	v_add_u32_e32 v3, s13, v1
	v_ashrrev_i32_e32 v4, 31, v3
	v_lshlrev_b64 v[8:9], 2, v[3:4]
	v_mov_b32_e32 v1, s41
	v_add_co_u32_e32 v8, vcc, s40, v8
	v_addc_co_u32_e32 v9, vcc, v1, v9, vcc
	global_load_dword v1, v[8:9], off
	v_mov_b32_e32 v4, 0
	s_waitcnt vmcnt(0)
	v_cmp_class_f16_e64 s[14:15], v1, s42
	s_and_saveexec_b64 s[8:9], s[14:15]
	s_cbranch_execz .LBB1_33
; %bb.8:                                ;   in Loop: Header=BB1_5 Depth=1
	v_cmp_class_f16_sdwa s[16:17], v1, s42 src0_sel:WORD_1 src1_sel:DWORD
	v_mov_b32_e32 v4, 0
	s_and_saveexec_b64 s[14:15], s[16:17]
	s_cbranch_execz .LBB1_32
; %bb.9:                                ;   in Loop: Header=BB1_5 Depth=1
	v_add_u32_e32 v3, s13, v3
	v_ashrrev_i32_e32 v4, 31, v3
	v_lshlrev_b64 v[8:9], 2, v[3:4]
	v_mov_b32_e32 v1, s41
	v_add_co_u32_e32 v8, vcc, s40, v8
	v_addc_co_u32_e32 v9, vcc, v1, v9, vcc
	global_load_dword v1, v[8:9], off
	v_mov_b32_e32 v4, 0
	s_waitcnt vmcnt(0)
	v_cmp_class_f16_e64 s[18:19], v1, s42
	s_and_saveexec_b64 s[16:17], s[18:19]
	s_cbranch_execz .LBB1_31
; %bb.10:                               ;   in Loop: Header=BB1_5 Depth=1
	v_cmp_class_f16_sdwa s[20:21], v1, s42 src0_sel:WORD_1 src1_sel:DWORD
	v_mov_b32_e32 v4, 0
	s_and_saveexec_b64 s[18:19], s[20:21]
	s_cbranch_execz .LBB1_30
; %bb.11:                               ;   in Loop: Header=BB1_5 Depth=1
	v_add_u32_e32 v3, s13, v3
	v_ashrrev_i32_e32 v4, 31, v3
	v_lshlrev_b64 v[8:9], 2, v[3:4]
	v_mov_b32_e32 v1, s41
	v_add_co_u32_e32 v8, vcc, s40, v8
	v_addc_co_u32_e32 v9, vcc, v1, v9, vcc
	global_load_dword v1, v[8:9], off
	v_mov_b32_e32 v4, 0
	s_waitcnt vmcnt(0)
	v_cmp_class_f16_e64 s[22:23], v1, s42
	s_and_saveexec_b64 s[20:21], s[22:23]
	s_cbranch_execz .LBB1_29
; %bb.12:                               ;   in Loop: Header=BB1_5 Depth=1
	v_cmp_class_f16_sdwa s[24:25], v1, s42 src0_sel:WORD_1 src1_sel:DWORD
	v_mov_b32_e32 v4, 0
	s_and_saveexec_b64 s[22:23], s[24:25]
	s_cbranch_execz .LBB1_28
; %bb.13:                               ;   in Loop: Header=BB1_5 Depth=1
	;; [unrolled: 18-line block ×5, first 2 shown]
	v_add_u32_e32 v3, s13, v3
	v_ashrrev_i32_e32 v4, 31, v3
	v_lshlrev_b64 v[3:4], 2, v[3:4]
	v_mov_b32_e32 v1, s41
	v_add_co_u32_e32 v3, vcc, s40, v3
	v_addc_co_u32_e32 v4, vcc, v1, v4, vcc
	global_load_dword v1, v[3:4], off
	v_mov_b32_e32 v4, 0
	s_waitcnt vmcnt(0)
	v_cmp_class_f16_e64 s[44:45], v1, s42
	s_and_saveexec_b64 s[38:39], s[44:45]
; %bb.20:                               ;   in Loop: Header=BB1_5 Depth=1
	v_cmp_class_f16_sdwa s[44:45], v1, s42 src0_sel:WORD_1 src1_sel:DWORD
	v_cndmask_b32_e64 v4, 0, 1, s[44:45]
; %bb.21:                               ;   in Loop: Header=BB1_5 Depth=1
	s_or_b64 exec, exec, s[38:39]
.LBB1_22:                               ;   in Loop: Header=BB1_5 Depth=1
	s_or_b64 exec, exec, s[36:37]
.LBB1_23:                               ;   in Loop: Header=BB1_5 Depth=1
	s_or_b64 exec, exec, s[34:35]
.LBB1_24:                               ;   in Loop: Header=BB1_5 Depth=1
	s_or_b64 exec, exec, s[30:31]
.LBB1_25:                               ;   in Loop: Header=BB1_5 Depth=1
	s_or_b64 exec, exec, s[28:29]
.LBB1_26:                               ;   in Loop: Header=BB1_5 Depth=1
	s_or_b64 exec, exec, s[26:27]
.LBB1_27:                               ;   in Loop: Header=BB1_5 Depth=1
	s_or_b64 exec, exec, s[24:25]
.LBB1_28:                               ;   in Loop: Header=BB1_5 Depth=1
	s_or_b64 exec, exec, s[22:23]
.LBB1_29:                               ;   in Loop: Header=BB1_5 Depth=1
	s_or_b64 exec, exec, s[20:21]
.LBB1_30:                               ;   in Loop: Header=BB1_5 Depth=1
	s_or_b64 exec, exec, s[18:19]
.LBB1_31:                               ;   in Loop: Header=BB1_5 Depth=1
	s_or_b64 exec, exec, s[16:17]
.LBB1_32:                               ;   in Loop: Header=BB1_5 Depth=1
	s_or_b64 exec, exec, s[14:15]
.LBB1_33:                               ;   in Loop: Header=BB1_5 Depth=1
	s_or_b64 exec, exec, s[8:9]
.LBB1_34:                               ;   in Loop: Header=BB1_5 Depth=1
	s_or_b64 exec, exec, s[2:3]
	v_and_b32_e32 v1, 0x60, v7
	v_add_u32_e32 v9, 32, v1
	v_xor_b32_e32 v1, 16, v7
	v_cmp_lt_i32_e32 vcc, v1, v9
	v_cndmask_b32_e32 v1, v7, v1, vcc
	v_lshlrev_b32_e32 v1, 2, v1
	ds_bpermute_b32 v3, v1, v4
	v_cmp_ne_u32_e32 vcc, 0, v4
	v_xor_b32_e32 v11, 1, v7
	s_waitcnt lgkmcnt(0)
	v_cmp_ne_u32_e64 s[2:3], 0, v3
	v_xor_b32_e32 v3, 8, v7
	s_and_b64 s[2:3], vcc, s[2:3]
	v_cmp_lt_i32_e32 vcc, v3, v9
	v_cndmask_b32_e32 v3, v7, v3, vcc
	v_cndmask_b32_e64 v4, 0, 1, s[2:3]
	v_lshlrev_b32_e32 v3, 2, v3
	ds_bpermute_b32 v4, v3, v4
	s_waitcnt lgkmcnt(0)
	v_cmp_ne_u32_e32 vcc, 0, v4
	v_xor_b32_e32 v4, 4, v7
	s_and_b64 s[2:3], vcc, s[2:3]
	v_cmp_lt_i32_e32 vcc, v4, v9
	v_cndmask_b32_e32 v4, v7, v4, vcc
	v_cndmask_b32_e64 v8, 0, 1, s[2:3]
	v_lshlrev_b32_e32 v4, 2, v4
	ds_bpermute_b32 v8, v4, v8
	s_waitcnt lgkmcnt(0)
	v_cmp_ne_u32_e32 vcc, 0, v8
	;; [unrolled: 9-line block ×3, first 2 shown]
	s_and_b64 s[2:3], vcc, s[2:3]
	v_cmp_lt_i32_e32 vcc, v11, v9
	v_cndmask_b32_e32 v9, v7, v11, vcc
	v_cndmask_b32_e64 v10, 0, 1, s[2:3]
	v_lshlrev_b32_e32 v9, 2, v9
	ds_bpermute_b32 v10, v9, v10
	s_and_saveexec_b64 s[8:9], s[0:1]
	s_cbranch_execz .LBB1_3
; %bb.35:                               ;   in Loop: Header=BB1_5 Depth=1
	s_waitcnt lgkmcnt(0)
	v_cmp_ne_u32_e32 vcc, 0, v10
	s_and_b64 s[2:3], vcc, s[2:3]
	v_cndmask_b32_e64 v10, 0, 1, s[2:3]
	ds_write_b32 v5, v10
	s_branch .LBB1_3
.LBB1_36:
	s_or_b64 exec, exec, s[4:5]
	v_cmp_eq_u32_e32 vcc, 0, v0
	s_and_saveexec_b64 s[0:1], vcc
	s_cbranch_execz .LBB1_38
; %bb.37:
	s_mul_i32 s0, s33, s7
	s_add_i32 s0, s0, s6
	s_ashr_i32 s1, s0, 31
	s_lshl_b64 s[0:1], s[0:1], 2
	s_add_u32 s0, s10, s0
	s_addc_u32 s1, s11, s1
	v_mov_b32_e32 v0, 0
	global_store_dword v0, v1, s[0:1]
.LBB1_38:
	s_endpgm
	.section	.rodata,"a",@progbits
	.p2align	6, 0x0
	.amdhsa_kernel _ZL25flash_attn_mask_to_KV_maxILi8EEvPK7__half2Piiii
		.amdhsa_group_segment_fixed_size 128
		.amdhsa_private_segment_fixed_size 0
		.amdhsa_kernarg_size 288
		.amdhsa_user_sgpr_count 6
		.amdhsa_user_sgpr_private_segment_buffer 1
		.amdhsa_user_sgpr_dispatch_ptr 0
		.amdhsa_user_sgpr_queue_ptr 0
		.amdhsa_user_sgpr_kernarg_segment_ptr 1
		.amdhsa_user_sgpr_dispatch_id 0
		.amdhsa_user_sgpr_flat_scratch_init 0
		.amdhsa_user_sgpr_private_segment_size 0
		.amdhsa_uses_dynamic_stack 0
		.amdhsa_system_sgpr_private_segment_wavefront_offset 0
		.amdhsa_system_sgpr_workgroup_id_x 1
		.amdhsa_system_sgpr_workgroup_id_y 1
		.amdhsa_system_sgpr_workgroup_id_z 0
		.amdhsa_system_sgpr_workgroup_info 0
		.amdhsa_system_vgpr_workitem_id 0
		.amdhsa_next_free_vgpr 12
		.amdhsa_next_free_sgpr 46
		.amdhsa_reserve_vcc 1
		.amdhsa_reserve_flat_scratch 0
		.amdhsa_float_round_mode_32 0
		.amdhsa_float_round_mode_16_64 0
		.amdhsa_float_denorm_mode_32 3
		.amdhsa_float_denorm_mode_16_64 3
		.amdhsa_dx10_clamp 1
		.amdhsa_ieee_mode 1
		.amdhsa_fp16_overflow 0
		.amdhsa_exception_fp_ieee_invalid_op 0
		.amdhsa_exception_fp_denorm_src 0
		.amdhsa_exception_fp_ieee_div_zero 0
		.amdhsa_exception_fp_ieee_overflow 0
		.amdhsa_exception_fp_ieee_underflow 0
		.amdhsa_exception_fp_ieee_inexact 0
		.amdhsa_exception_int_div_zero 0
	.end_amdhsa_kernel
	.section	.text._ZL25flash_attn_mask_to_KV_maxILi8EEvPK7__half2Piiii,"axG",@progbits,_ZL25flash_attn_mask_to_KV_maxILi8EEvPK7__half2Piiii,comdat
.Lfunc_end1:
	.size	_ZL25flash_attn_mask_to_KV_maxILi8EEvPK7__half2Piiii, .Lfunc_end1-_ZL25flash_attn_mask_to_KV_maxILi8EEvPK7__half2Piiii
                                        ; -- End function
	.set _ZL25flash_attn_mask_to_KV_maxILi8EEvPK7__half2Piiii.num_vgpr, 12
	.set _ZL25flash_attn_mask_to_KV_maxILi8EEvPK7__half2Piiii.num_agpr, 0
	.set _ZL25flash_attn_mask_to_KV_maxILi8EEvPK7__half2Piiii.numbered_sgpr, 46
	.set _ZL25flash_attn_mask_to_KV_maxILi8EEvPK7__half2Piiii.num_named_barrier, 0
	.set _ZL25flash_attn_mask_to_KV_maxILi8EEvPK7__half2Piiii.private_seg_size, 0
	.set _ZL25flash_attn_mask_to_KV_maxILi8EEvPK7__half2Piiii.uses_vcc, 1
	.set _ZL25flash_attn_mask_to_KV_maxILi8EEvPK7__half2Piiii.uses_flat_scratch, 0
	.set _ZL25flash_attn_mask_to_KV_maxILi8EEvPK7__half2Piiii.has_dyn_sized_stack, 0
	.set _ZL25flash_attn_mask_to_KV_maxILi8EEvPK7__half2Piiii.has_recursion, 0
	.set _ZL25flash_attn_mask_to_KV_maxILi8EEvPK7__half2Piiii.has_indirect_call, 0
	.section	.AMDGPU.csdata,"",@progbits
; Kernel info:
; codeLenInByte = 1360
; TotalNumSgprs: 50
; NumVgprs: 12
; ScratchSize: 0
; MemoryBound: 0
; FloatMode: 240
; IeeeMode: 1
; LDSByteSize: 128 bytes/workgroup (compile time only)
; SGPRBlocks: 6
; VGPRBlocks: 2
; NumSGPRsForWavesPerEU: 50
; NumVGPRsForWavesPerEU: 12
; Occupancy: 10
; WaveLimiterHint : 0
; COMPUTE_PGM_RSRC2:SCRATCH_EN: 0
; COMPUTE_PGM_RSRC2:USER_SGPR: 6
; COMPUTE_PGM_RSRC2:TRAP_HANDLER: 0
; COMPUTE_PGM_RSRC2:TGID_X_EN: 1
; COMPUTE_PGM_RSRC2:TGID_Y_EN: 1
; COMPUTE_PGM_RSRC2:TGID_Z_EN: 0
; COMPUTE_PGM_RSRC2:TIDIG_COMP_CNT: 0
	.section	.text._ZL33flash_attn_stream_k_fixup_uniformILi128ELi8ELi8EEvPfPK15HIP_vector_typeIfLj2EEiiiiiiS1_IjLj3EES5_S5_,"axG",@progbits,_ZL33flash_attn_stream_k_fixup_uniformILi128ELi8ELi8EEvPfPK15HIP_vector_typeIfLj2EEiiiiiiS1_IjLj3EES5_S5_,comdat
	.globl	_ZL33flash_attn_stream_k_fixup_uniformILi128ELi8ELi8EEvPfPK15HIP_vector_typeIfLj2EEiiiiiiS1_IjLj3EES5_S5_ ; -- Begin function _ZL33flash_attn_stream_k_fixup_uniformILi128ELi8ELi8EEvPfPK15HIP_vector_typeIfLj2EEiiiiiiS1_IjLj3EES5_S5_
	.p2align	8
	.type	_ZL33flash_attn_stream_k_fixup_uniformILi128ELi8ELi8EEvPfPK15HIP_vector_typeIfLj2EEiiiiiiS1_IjLj3EES5_S5_,@function
_ZL33flash_attn_stream_k_fixup_uniformILi128ELi8ELi8EEvPfPK15HIP_vector_typeIfLj2EEiiiiiiS1_IjLj3EES5_S5_: ; @_ZL33flash_attn_stream_k_fixup_uniformILi128ELi8ELi8EEvPfPK15HIP_vector_typeIfLj2EEiiiiiiS1_IjLj3EES5_S5_
; %bb.0:
	s_load_dwordx8 s[12:19], s[4:5], 0x1c
	s_load_dwordx2 s[10:11], s[4:5], 0x10
	s_load_dwordx4 s[0:3], s[4:5], 0x3c
	s_waitcnt lgkmcnt(0)
	s_mul_hi_u32 s9, s15, s6
	s_add_i32 s9, s6, s9
	s_lshr_b32 s9, s9, s16
	s_mul_i32 s15, s9, s17
	s_sub_i32 s15, s6, s15
	s_mul_hi_u32 s16, s15, s18
	s_add_i32 s16, s15, s16
	s_lshr_b32 s16, s16, s19
	s_mul_i32 s0, s16, s0
	s_sub_i32 s0, s15, s0
	;; [unrolled: 5-line block ×3, first 2 shown]
	s_lshl_b32 s0, s17, 3
	s_lshl_b32 s15, s1, 3
	s_add_i32 s0, s0, s7
	s_cmp_lt_i32 s0, s10
	s_cselect_b64 s[0:1], -1, 0
	s_add_i32 s2, s15, s8
	s_cmp_lt_i32 s2, s13
	s_cselect_b64 s[2:3], -1, 0
	s_and_b64 s[0:1], s[0:1], s[2:3]
	s_andn2_b64 vcc, exec, s[0:1]
	s_cbranch_vccnz .LBB2_6
; %bb.1:
	s_load_dwordx4 s[0:3], s[4:5], 0x0
	s_mul_i32 s4, s9, s10
	s_add_i32 s4, s4, s7
	s_mul_i32 s4, s4, s11
	s_mul_i32 s16, s16, s13
	s_add_i32 s4, s4, s8
	s_add_i32 s4, s4, s16
	s_mul_i32 s5, s11, s17
	s_add_i32 s4, s4, s15
	s_lshl_b32 s5, s5, 10
	s_lshl_b32 s4, s4, 7
	s_add_i32 s5, s5, s4
	v_or_b32_e32 v1, s5, v0
	v_ashrrev_i32_e32 v2, 31, v1
	v_lshlrev_b64 v[1:2], 2, v[1:2]
	s_waitcnt lgkmcnt(0)
	v_mov_b32_e32 v3, s1
	v_add_co_u32_e32 v1, vcc, s0, v1
	v_addc_co_u32_e32 v2, vcc, v3, v2, vcc
	global_load_dword v8, v[1:2], off
	s_mul_i32 s9, s14, s6
	s_lshl_b32 s4, s7, 3
	s_add_i32 s11, s9, s14
	s_add_i32 s0, s4, s8
	s_lshl_b32 s1, s11, 6
	s_add_i32 s0, s0, s1
	s_sub_i32 s0, s0, 64
	s_ashr_i32 s1, s0, 31
	s_lshl_b64 s[0:1], s[0:1], 3
	s_add_u32 s0, s2, s0
	s_addc_u32 s1, s3, s1
	s_load_dword s5, s[0:1], 0x4
	s_add_i32 s10, s11, -2
	s_cmp_lt_i32 s10, s9
	s_cbranch_scc1 .LBB2_4
; %bb.2:
	s_lshl_b32 s16, s12, 8
	s_ashr_i32 s17, s16, 31
	s_lshl_b64 s[16:17], s[16:17], 2
	s_add_u32 s10, s2, s16
	s_addc_u32 s13, s3, s17
	s_add_i32 s6, s6, 1
	s_load_dword s0, s[0:1], 0x0
	s_mul_i32 s1, s14, s6
	s_lshl_b32 s7, s7, 10
	s_lshl_b32 s14, s8, 7
	;; [unrolled: 1-line block ×3, first 2 shown]
	s_add_i32 s7, s14, s7
	s_lshl_b32 s1, s1, 6
	s_add_i32 s7, s7, s6
	s_add_i32 s1, s8, s1
	s_lshl_b32 s6, s12, 6
	s_add_i32 s1, s1, s6
	v_or_b32_e32 v0, s7, v0
	s_add_i32 s1, s1, s4
	s_add_i32 s11, s11, -1
	v_add_u32_e32 v3, 0xffffc000, v0
	s_add_i32 s4, s1, 0xffffff80
	s_waitcnt lgkmcnt(0)
	v_mov_b32_e32 v7, s5
	v_mov_b32_e32 v6, s0
	;; [unrolled: 1-line block ×3, first 2 shown]
	s_mov_b32 s6, 0x3fb8aa3b
	s_mov_b32 s7, 0xc2ce8ed0
	s_mov_b32 s8, 0x42b17218
	v_mov_b32_e32 v5, 0x7f800000
	s_mov_b32 s12, 0xc1a00000
.LBB2_3:                                ; =>This Inner Loop Header: Depth=1
	v_ashrrev_i32_e32 v4, 31, v3
	v_lshlrev_b64 v[9:10], 2, v[3:4]
	s_ashr_i32 s5, s4, 31
	v_add_co_u32_e32 v9, vcc, s10, v9
	v_addc_co_u32_e32 v10, vcc, v0, v10, vcc
	global_load_dword v4, v[9:10], off
	s_lshl_b64 s[0:1], s[4:5], 3
	s_add_u32 s0, s2, s0
	s_addc_u32 s1, s3, s1
	s_load_dwordx2 s[14:15], s[0:1], 0x0
	s_waitcnt vmcnt(1)
	v_mov_b32_e32 v9, v8
	v_max_f32_e32 v8, v6, v6
	v_mov_b32_e32 v10, v7
	s_add_i32 s11, s11, -1
	s_waitcnt lgkmcnt(0)
	v_max_f32_e64 v7, s14, s14
	v_max_f32_e32 v7, v8, v7
	v_sub_f32_e32 v11, s14, v7
	v_sub_f32_e32 v8, v6, v7
	v_mul_f32_e32 v12, 0x3fb8aa3b, v11
	v_mov_b32_e32 v6, v7
	v_mul_f32_e32 v7, 0x3fb8aa3b, v8
	v_fma_f32 v15, v11, s6, -v12
	v_rndne_f32_e32 v16, v12
	v_fma_f32 v13, v8, s6, -v7
	v_rndne_f32_e32 v14, v7
	v_fmac_f32_e32 v15, 0x32a5705f, v11
	v_sub_f32_e32 v12, v12, v16
	v_fmac_f32_e32 v13, 0x32a5705f, v8
	v_sub_f32_e32 v7, v7, v14
	v_add_f32_e32 v12, v12, v15
	v_cvt_i32_f32_e32 v16, v16
	v_add_f32_e32 v7, v7, v13
	v_exp_f32_e32 v12, v12
	v_cvt_i32_f32_e32 v14, v14
	v_exp_f32_e32 v7, v7
	v_cmp_ngt_f32_e32 vcc, s7, v11
	v_ldexp_f32 v12, v12, v16
	v_cmp_ngt_f32_e64 s[0:1], s7, v8
	v_ldexp_f32 v7, v7, v14
	v_cndmask_b32_e32 v12, 0, v12, vcc
	v_cmp_nlt_f32_e32 vcc, s8, v11
	v_cndmask_b32_e64 v7, 0, v7, s[0:1]
	v_cmp_nlt_f32_e64 s[0:1], s8, v8
	v_cndmask_b32_e32 v12, v5, v12, vcc
	v_cmp_le_f32_e32 vcc, s12, v11
	v_cndmask_b32_e64 v7, v5, v7, s[0:1]
	v_cmp_le_f32_e64 s[0:1], s12, v8
	v_cndmask_b32_e32 v8, 0, v12, vcc
	s_sub_i32 s4, s4, 64
	v_cndmask_b32_e64 v11, 0, v7, s[0:1]
	v_mul_f32_e32 v7, s15, v8
	v_add_u32_e32 v3, 0xffffe000, v3
	s_cmp_le_i32 s11, s9
	v_fmac_f32_e32 v7, v10, v11
	s_waitcnt vmcnt(0)
	v_mul_f32_e32 v8, v4, v8
	v_fmac_f32_e32 v8, v9, v11
	s_cbranch_scc0 .LBB2_3
	s_branch .LBB2_5
.LBB2_4:
	s_waitcnt lgkmcnt(0)
	v_mov_b32_e32 v7, s5
.LBB2_5:
	s_waitcnt vmcnt(0)
	v_div_scale_f32 v0, s[0:1], v7, v7, v8
	v_div_scale_f32 v3, vcc, v8, v7, v8
	v_rcp_f32_e32 v4, v0
	v_fma_f32 v5, -v0, v4, 1.0
	v_fmac_f32_e32 v4, v5, v4
	v_mul_f32_e32 v5, v3, v4
	v_fma_f32 v6, -v0, v5, v3
	v_fmac_f32_e32 v5, v6, v4
	v_fma_f32 v0, -v0, v5, v3
	v_div_fmas_f32 v0, v0, v4, v5
	v_div_fixup_f32 v0, v0, v7, v8
	global_store_dword v[1:2], v0, off
.LBB2_6:
	s_endpgm
	.section	.rodata,"a",@progbits
	.p2align	6, 0x0
	.amdhsa_kernel _ZL33flash_attn_stream_k_fixup_uniformILi128ELi8ELi8EEvPfPK15HIP_vector_typeIfLj2EEiiiiiiS1_IjLj3EES5_S5_
		.amdhsa_group_segment_fixed_size 0
		.amdhsa_private_segment_fixed_size 0
		.amdhsa_kernarg_size 76
		.amdhsa_user_sgpr_count 6
		.amdhsa_user_sgpr_private_segment_buffer 1
		.amdhsa_user_sgpr_dispatch_ptr 0
		.amdhsa_user_sgpr_queue_ptr 0
		.amdhsa_user_sgpr_kernarg_segment_ptr 1
		.amdhsa_user_sgpr_dispatch_id 0
		.amdhsa_user_sgpr_flat_scratch_init 0
		.amdhsa_user_sgpr_private_segment_size 0
		.amdhsa_uses_dynamic_stack 0
		.amdhsa_system_sgpr_private_segment_wavefront_offset 0
		.amdhsa_system_sgpr_workgroup_id_x 1
		.amdhsa_system_sgpr_workgroup_id_y 1
		.amdhsa_system_sgpr_workgroup_id_z 1
		.amdhsa_system_sgpr_workgroup_info 0
		.amdhsa_system_vgpr_workitem_id 0
		.amdhsa_next_free_vgpr 17
		.amdhsa_next_free_sgpr 20
		.amdhsa_reserve_vcc 1
		.amdhsa_reserve_flat_scratch 0
		.amdhsa_float_round_mode_32 0
		.amdhsa_float_round_mode_16_64 0
		.amdhsa_float_denorm_mode_32 3
		.amdhsa_float_denorm_mode_16_64 3
		.amdhsa_dx10_clamp 1
		.amdhsa_ieee_mode 1
		.amdhsa_fp16_overflow 0
		.amdhsa_exception_fp_ieee_invalid_op 0
		.amdhsa_exception_fp_denorm_src 0
		.amdhsa_exception_fp_ieee_div_zero 0
		.amdhsa_exception_fp_ieee_overflow 0
		.amdhsa_exception_fp_ieee_underflow 0
		.amdhsa_exception_fp_ieee_inexact 0
		.amdhsa_exception_int_div_zero 0
	.end_amdhsa_kernel
	.section	.text._ZL33flash_attn_stream_k_fixup_uniformILi128ELi8ELi8EEvPfPK15HIP_vector_typeIfLj2EEiiiiiiS1_IjLj3EES5_S5_,"axG",@progbits,_ZL33flash_attn_stream_k_fixup_uniformILi128ELi8ELi8EEvPfPK15HIP_vector_typeIfLj2EEiiiiiiS1_IjLj3EES5_S5_,comdat
.Lfunc_end2:
	.size	_ZL33flash_attn_stream_k_fixup_uniformILi128ELi8ELi8EEvPfPK15HIP_vector_typeIfLj2EEiiiiiiS1_IjLj3EES5_S5_, .Lfunc_end2-_ZL33flash_attn_stream_k_fixup_uniformILi128ELi8ELi8EEvPfPK15HIP_vector_typeIfLj2EEiiiiiiS1_IjLj3EES5_S5_
                                        ; -- End function
	.set _ZL33flash_attn_stream_k_fixup_uniformILi128ELi8ELi8EEvPfPK15HIP_vector_typeIfLj2EEiiiiiiS1_IjLj3EES5_S5_.num_vgpr, 17
	.set _ZL33flash_attn_stream_k_fixup_uniformILi128ELi8ELi8EEvPfPK15HIP_vector_typeIfLj2EEiiiiiiS1_IjLj3EES5_S5_.num_agpr, 0
	.set _ZL33flash_attn_stream_k_fixup_uniformILi128ELi8ELi8EEvPfPK15HIP_vector_typeIfLj2EEiiiiiiS1_IjLj3EES5_S5_.numbered_sgpr, 20
	.set _ZL33flash_attn_stream_k_fixup_uniformILi128ELi8ELi8EEvPfPK15HIP_vector_typeIfLj2EEiiiiiiS1_IjLj3EES5_S5_.num_named_barrier, 0
	.set _ZL33flash_attn_stream_k_fixup_uniformILi128ELi8ELi8EEvPfPK15HIP_vector_typeIfLj2EEiiiiiiS1_IjLj3EES5_S5_.private_seg_size, 0
	.set _ZL33flash_attn_stream_k_fixup_uniformILi128ELi8ELi8EEvPfPK15HIP_vector_typeIfLj2EEiiiiiiS1_IjLj3EES5_S5_.uses_vcc, 1
	.set _ZL33flash_attn_stream_k_fixup_uniformILi128ELi8ELi8EEvPfPK15HIP_vector_typeIfLj2EEiiiiiiS1_IjLj3EES5_S5_.uses_flat_scratch, 0
	.set _ZL33flash_attn_stream_k_fixup_uniformILi128ELi8ELi8EEvPfPK15HIP_vector_typeIfLj2EEiiiiiiS1_IjLj3EES5_S5_.has_dyn_sized_stack, 0
	.set _ZL33flash_attn_stream_k_fixup_uniformILi128ELi8ELi8EEvPfPK15HIP_vector_typeIfLj2EEiiiiiiS1_IjLj3EES5_S5_.has_recursion, 0
	.set _ZL33flash_attn_stream_k_fixup_uniformILi128ELi8ELi8EEvPfPK15HIP_vector_typeIfLj2EEiiiiiiS1_IjLj3EES5_S5_.has_indirect_call, 0
	.section	.AMDGPU.csdata,"",@progbits
; Kernel info:
; codeLenInByte = 860
; TotalNumSgprs: 24
; NumVgprs: 17
; ScratchSize: 0
; MemoryBound: 0
; FloatMode: 240
; IeeeMode: 1
; LDSByteSize: 0 bytes/workgroup (compile time only)
; SGPRBlocks: 2
; VGPRBlocks: 4
; NumSGPRsForWavesPerEU: 24
; NumVGPRsForWavesPerEU: 17
; Occupancy: 10
; WaveLimiterHint : 0
; COMPUTE_PGM_RSRC2:SCRATCH_EN: 0
; COMPUTE_PGM_RSRC2:USER_SGPR: 6
; COMPUTE_PGM_RSRC2:TRAP_HANDLER: 0
; COMPUTE_PGM_RSRC2:TGID_X_EN: 1
; COMPUTE_PGM_RSRC2:TGID_Y_EN: 1
; COMPUTE_PGM_RSRC2:TGID_Z_EN: 1
; COMPUTE_PGM_RSRC2:TIDIG_COMP_CNT: 0
	.section	.text._ZL33flash_attn_stream_k_fixup_generalILi128ELi8ELi8EEvPfPK15HIP_vector_typeIfLj2EEiiiiS1_IjLj3EES5_S5_S5_,"axG",@progbits,_ZL33flash_attn_stream_k_fixup_generalILi128ELi8ELi8EEvPfPK15HIP_vector_typeIfLj2EEiiiiS1_IjLj3EES5_S5_S5_,comdat
	.globl	_ZL33flash_attn_stream_k_fixup_generalILi128ELi8ELi8EEvPfPK15HIP_vector_typeIfLj2EEiiiiS1_IjLj3EES5_S5_S5_ ; -- Begin function _ZL33flash_attn_stream_k_fixup_generalILi128ELi8ELi8EEvPfPK15HIP_vector_typeIfLj2EEiiiiS1_IjLj3EES5_S5_S5_
	.p2align	8
	.type	_ZL33flash_attn_stream_k_fixup_generalILi128ELi8ELi8EEvPfPK15HIP_vector_typeIfLj2EEiiiiS1_IjLj3EES5_S5_S5_,@function
_ZL33flash_attn_stream_k_fixup_generalILi128ELi8ELi8EEvPfPK15HIP_vector_typeIfLj2EEiiiiS1_IjLj3EES5_S5_S5_: ; @_ZL33flash_attn_stream_k_fixup_generalILi128ELi8ELi8EEvPfPK15HIP_vector_typeIfLj2EEiiiiS1_IjLj3EES5_S5_S5_
; %bb.0:
	s_load_dwordx4 s[0:3], s[4:5], 0x10
	s_load_dword s22, s[4:5], 0x50
	s_mov_b32 s12, 0
	s_waitcnt lgkmcnt(0)
	s_mul_hi_i32 s13, s3, s6
	s_cmp_lg_u64 s[12:13], 0
	s_mul_i32 s9, s3, s6
	s_cbranch_scc0 .LBB3_20
; %bb.1:
	s_add_u32 s10, s22, 0
	s_addc_u32 s11, 0, 0
	s_xor_b64 s[10:11], s[10:11], 0
	v_cvt_f32_u32_e32 v1, s10
	v_cvt_f32_u32_e32 v2, s11
	s_sub_u32 s12, 0, s10
	s_subb_u32 s18, 0, s11
	v_madmk_f32 v1, v2, 0x4f800000, v1
	v_rcp_f32_e32 v1, v1
	v_mul_f32_e32 v1, 0x5f7ffffc, v1
	v_mul_f32_e32 v2, 0x2f800000, v1
	v_trunc_f32_e32 v2, v2
	v_madmk_f32 v1, v2, 0xcf800000, v1
	v_cvt_u32_f32_e32 v2, v2
	v_cvt_u32_f32_e32 v1, v1
	v_readfirstlane_b32 s19, v2
	v_readfirstlane_b32 s14, v1
	s_mul_i32 s15, s12, s19
	s_mul_hi_u32 s21, s12, s14
	s_mul_i32 s20, s18, s14
	s_add_i32 s15, s21, s15
	s_add_i32 s15, s15, s20
	s_mul_i32 s23, s12, s14
	s_mul_i32 s21, s14, s15
	s_mul_hi_u32 s24, s14, s23
	s_mul_hi_u32 s20, s14, s15
	s_add_u32 s21, s24, s21
	s_addc_u32 s20, 0, s20
	s_mul_hi_u32 s25, s19, s23
	s_mul_i32 s23, s19, s23
	s_add_u32 s21, s21, s23
	s_mul_hi_u32 s24, s19, s15
	s_addc_u32 s20, s20, s25
	s_addc_u32 s21, s24, 0
	s_mul_i32 s15, s19, s15
	s_add_u32 s15, s20, s15
	s_addc_u32 s20, 0, s21
	s_add_u32 s21, s14, s15
	s_cselect_b64 s[14:15], -1, 0
	s_cmp_lg_u64 s[14:15], 0
	s_addc_u32 s19, s19, s20
	s_mul_i32 s14, s12, s19
	s_mul_hi_u32 s15, s12, s21
	s_add_i32 s14, s15, s14
	s_mul_i32 s18, s18, s21
	s_add_i32 s14, s14, s18
	s_mul_i32 s12, s12, s21
	s_mul_hi_u32 s18, s19, s12
	s_mul_i32 s20, s19, s12
	s_mul_i32 s24, s21, s14
	s_mul_hi_u32 s12, s21, s12
	s_mul_hi_u32 s23, s21, s14
	s_add_u32 s12, s12, s24
	s_addc_u32 s23, 0, s23
	s_add_u32 s12, s12, s20
	s_mul_hi_u32 s15, s19, s14
	s_addc_u32 s12, s23, s18
	s_addc_u32 s15, s15, 0
	s_mul_i32 s14, s19, s14
	s_add_u32 s12, s12, s14
	s_addc_u32 s18, 0, s15
	s_add_u32 s20, s21, s12
	s_cselect_b64 s[14:15], -1, 0
	s_cmp_lg_u64 s[14:15], 0
	s_addc_u32 s18, s19, s18
	s_ashr_i32 s14, s13, 31
	s_add_u32 s12, s9, s14
	s_mov_b32 s15, s14
	s_addc_u32 s13, s13, s14
	s_xor_b64 s[12:13], s[12:13], s[14:15]
	s_mul_i32 s21, s12, s18
	s_mul_hi_u32 s23, s12, s20
	s_mul_hi_u32 s19, s12, s18
	s_add_u32 s21, s23, s21
	s_addc_u32 s19, 0, s19
	s_mul_hi_u32 s24, s13, s20
	s_mul_i32 s20, s13, s20
	s_add_u32 s20, s21, s20
	s_mul_hi_u32 s23, s13, s18
	s_addc_u32 s19, s19, s24
	s_addc_u32 s20, s23, 0
	s_mul_i32 s18, s13, s18
	s_add_u32 s23, s19, s18
	s_addc_u32 s24, 0, s20
	s_mul_i32 s18, s10, s24
	s_mul_hi_u32 s19, s10, s23
	s_add_i32 s18, s19, s18
	s_mul_i32 s19, s11, s23
	s_add_i32 s25, s18, s19
	s_sub_i32 s20, s13, s25
	s_mul_i32 s18, s10, s23
	s_sub_u32 s12, s12, s18
	s_cselect_b64 s[18:19], -1, 0
	s_cmp_lg_u64 s[18:19], 0
	s_subb_u32 s26, s20, s11
	s_sub_u32 s27, s12, s10
	s_cselect_b64 s[20:21], -1, 0
	s_cmp_lg_u64 s[20:21], 0
	s_subb_u32 s20, s26, 0
	s_cmp_ge_u32 s20, s11
	s_cselect_b32 s21, -1, 0
	s_cmp_ge_u32 s27, s10
	s_cselect_b32 s26, -1, 0
	s_cmp_eq_u32 s20, s11
	s_cselect_b32 s20, s26, s21
	s_add_u32 s21, s23, 1
	s_addc_u32 s26, s24, 0
	s_add_u32 s27, s23, 2
	s_addc_u32 s28, s24, 0
	s_cmp_lg_u32 s20, 0
	s_cselect_b32 s20, s27, s21
	s_cselect_b32 s21, s28, s26
	s_cmp_lg_u64 s[18:19], 0
	s_subb_u32 s13, s13, s25
	s_cmp_ge_u32 s13, s11
	s_cselect_b32 s18, -1, 0
	s_cmp_ge_u32 s12, s10
	s_cselect_b32 s10, -1, 0
	s_cmp_eq_u32 s13, s11
	s_cselect_b32 s10, s10, s18
	s_cmp_lg_u32 s10, 0
	s_cselect_b32 s11, s21, s24
	s_cselect_b32 s10, s20, s23
	s_xor_b64 s[12:13], s[14:15], 0
	s_xor_b64 s[10:11], s[10:11], s[12:13]
	s_sub_u32 s10, s10, s12
	s_load_dwordx4 s[12:15], s[4:5], 0x44
	s_cbranch_execnz .LBB3_3
.LBB3_2:
	v_cvt_f32_u32_e32 v1, s22
	s_sub_i32 s10, 0, s22
	v_rcp_iflag_f32_e32 v1, v1
	v_mul_f32_e32 v1, 0x4f7ffffe, v1
	v_cvt_u32_f32_e32 v1, v1
	v_readfirstlane_b32 s11, v1
	s_mul_i32 s10, s10, s11
	s_mul_hi_u32 s10, s11, s10
	s_add_i32 s11, s11, s10
	s_mul_hi_u32 s10, s9, s11
	s_waitcnt lgkmcnt(0)
	s_mul_i32 s15, s10, s22
	s_sub_i32 s9, s9, s15
	s_add_i32 s11, s10, 1
	s_sub_i32 s15, s9, s22
	s_cmp_ge_u32 s9, s22
	s_cselect_b32 s10, s11, s10
	s_cselect_b32 s9, s15, s9
	s_add_i32 s11, s10, 1
	s_cmp_ge_u32 s9, s22
	s_cselect_b32 s10, s11, s10
.LBB3_3:
	s_add_i32 s9, s6, 1
	s_mul_hi_i32 s21, s3, s9
	s_mov_b32 s20, 0
	s_cmp_lg_u64 s[20:21], 0
	s_mul_i32 s9, s3, s9
	s_cbranch_scc0 .LBB3_21
; %bb.4:
	s_add_u32 s16, s22, 0
	s_addc_u32 s17, 0, 0
	s_xor_b64 s[18:19], s[16:17], 0
	v_cvt_f32_u32_e32 v1, s18
	v_cvt_f32_u32_e32 v2, s19
	s_sub_u32 s11, 0, s18
	s_waitcnt lgkmcnt(0)
	s_subb_u32 s15, 0, s19
	v_madmk_f32 v1, v2, 0x4f800000, v1
	v_rcp_f32_e32 v1, v1
	v_mul_f32_e32 v1, 0x5f7ffffc, v1
	v_mul_f32_e32 v2, 0x2f800000, v1
	v_trunc_f32_e32 v2, v2
	v_madmk_f32 v1, v2, 0xcf800000, v1
	v_cvt_u32_f32_e32 v2, v2
	v_cvt_u32_f32_e32 v1, v1
	v_readfirstlane_b32 s20, v2
	v_readfirstlane_b32 s23, v1
	s_mul_i32 s24, s11, s20
	s_mul_hi_u32 s26, s11, s23
	s_mul_i32 s25, s15, s23
	s_add_i32 s24, s26, s24
	s_add_i32 s24, s24, s25
	s_mul_i32 s27, s11, s23
	s_mul_i32 s26, s23, s24
	s_mul_hi_u32 s28, s23, s27
	s_mul_hi_u32 s25, s23, s24
	s_add_u32 s26, s28, s26
	s_addc_u32 s25, 0, s25
	s_mul_hi_u32 s29, s20, s27
	s_mul_i32 s27, s20, s27
	s_add_u32 s26, s26, s27
	s_mul_hi_u32 s28, s20, s24
	s_addc_u32 s25, s25, s29
	s_addc_u32 s26, s28, 0
	s_mul_i32 s24, s20, s24
	s_add_u32 s24, s25, s24
	s_addc_u32 s26, 0, s26
	s_add_u32 s23, s23, s24
	s_cselect_b64 s[24:25], -1, 0
	s_cmp_lg_u64 s[24:25], 0
	s_addc_u32 s20, s20, s26
	s_mul_i32 s24, s11, s20
	s_mul_hi_u32 s25, s11, s23
	s_add_i32 s24, s25, s24
	s_mul_i32 s15, s15, s23
	s_add_i32 s24, s24, s15
	s_mul_i32 s11, s11, s23
	s_mul_hi_u32 s25, s20, s11
	s_mul_i32 s26, s20, s11
	s_mul_i32 s28, s23, s24
	s_mul_hi_u32 s11, s23, s11
	s_mul_hi_u32 s27, s23, s24
	s_add_u32 s11, s11, s28
	s_addc_u32 s27, 0, s27
	s_add_u32 s11, s11, s26
	s_mul_hi_u32 s15, s20, s24
	s_addc_u32 s11, s27, s25
	s_addc_u32 s15, s15, 0
	s_mul_i32 s24, s20, s24
	s_add_u32 s11, s11, s24
	s_addc_u32 s15, 0, s15
	s_add_u32 s11, s23, s11
	s_cselect_b64 s[24:25], -1, 0
	s_cmp_lg_u64 s[24:25], 0
	s_addc_u32 s15, s20, s15
	s_ashr_i32 s24, s21, 31
	s_add_u32 s20, s9, s24
	s_mov_b32 s25, s24
	s_addc_u32 s21, s21, s24
	s_xor_b64 s[20:21], s[20:21], s[24:25]
	s_mul_i32 s26, s20, s15
	s_mul_hi_u32 s27, s20, s11
	s_mul_hi_u32 s23, s20, s15
	s_add_u32 s26, s27, s26
	s_addc_u32 s23, 0, s23
	s_mul_hi_u32 s28, s21, s11
	s_mul_i32 s11, s21, s11
	s_add_u32 s11, s26, s11
	s_mul_hi_u32 s27, s21, s15
	s_addc_u32 s11, s23, s28
	s_addc_u32 s23, s27, 0
	s_mul_i32 s15, s21, s15
	s_add_u32 s11, s11, s15
	s_addc_u32 s15, 0, s23
	s_mul_i32 s23, s18, s15
	s_mul_hi_u32 s26, s18, s11
	s_add_i32 s23, s26, s23
	s_mul_i32 s26, s19, s11
	s_add_i32 s23, s23, s26
	s_sub_i32 s28, s21, s23
	s_mul_i32 s26, s18, s11
	s_sub_u32 s20, s20, s26
	s_cselect_b64 s[26:27], -1, 0
	s_cmp_lg_u64 s[26:27], 0
	s_subb_u32 s30, s28, s19
	s_sub_u32 s31, s20, s18
	s_cselect_b64 s[28:29], -1, 0
	s_cmp_lg_u64 s[28:29], 0
	s_subb_u32 s28, s30, 0
	s_cmp_ge_u32 s28, s19
	s_cselect_b32 s29, -1, 0
	s_cmp_ge_u32 s31, s18
	s_cselect_b32 s30, -1, 0
	s_cmp_eq_u32 s28, s19
	s_cselect_b32 s28, s30, s29
	s_add_u32 s29, s11, 1
	s_addc_u32 s30, s15, 0
	s_add_u32 s31, s11, 2
	s_addc_u32 s33, s15, 0
	s_cmp_lg_u32 s28, 0
	s_cselect_b32 s28, s31, s29
	s_cselect_b32 s29, s33, s30
	s_cmp_lg_u64 s[26:27], 0
	s_subb_u32 s21, s21, s23
	s_cmp_ge_u32 s21, s19
	s_cselect_b32 s23, -1, 0
	s_cmp_ge_u32 s20, s18
	s_cselect_b32 s18, -1, 0
	s_cmp_eq_u32 s21, s19
	s_cselect_b32 s18, s18, s23
	s_cmp_lg_u32 s18, 0
	s_cselect_b32 s19, s29, s15
	s_cselect_b32 s18, s28, s11
	s_xor_b64 s[20:21], s[24:25], 0
	s_xor_b64 s[18:19], s[18:19], s[20:21]
	s_sub_u32 s18, s18, s20
	s_cbranch_execnz .LBB3_6
.LBB3_5:
	v_cvt_f32_u32_e32 v1, s22
	s_sub_i32 s11, 0, s22
	v_rcp_iflag_f32_e32 v1, v1
	v_mul_f32_e32 v1, 0x4f7ffffe, v1
	v_cvt_u32_f32_e32 v1, v1
	s_waitcnt lgkmcnt(0)
	v_readfirstlane_b32 s15, v1
	s_mul_i32 s11, s11, s15
	s_mul_hi_u32 s11, s15, s11
	s_add_i32 s15, s15, s11
	s_mul_hi_u32 s11, s9, s15
	s_mul_i32 s16, s11, s22
	s_sub_i32 s9, s9, s16
	s_add_i32 s15, s11, 1
	s_sub_i32 s16, s9, s22
	s_cmp_ge_u32 s9, s22
	s_cselect_b32 s11, s15, s11
	s_cselect_b32 s9, s16, s9
	s_add_i32 s15, s11, 1
	s_cmp_ge_u32 s9, s22
	s_cselect_b32 s18, s15, s11
.LBB3_6:
	s_cmp_eq_u32 s10, s18
	s_waitcnt lgkmcnt(0)
	s_mul_hi_u32 s9, s10, s12
	s_cselect_b64 s[16:17], -1, 0
	s_add_i32 s9, s9, s10
	s_lshr_b32 s11, s9, s13
	s_mul_i32 s9, s11, s14
	s_cmp_eq_u32 s9, s10
	s_mul_hi_u32 s9, s18, s12
	s_cselect_b64 s[20:21], -1, 0
	s_add_i32 s9, s9, s18
	s_lshr_b32 s9, s9, s13
	s_cmp_eq_u32 s11, s9
	s_mul_i32 s9, s9, s14
	s_cselect_b64 s[24:25], -1, 0
	s_cmp_lg_u32 s9, s18
	s_cselect_b64 s[18:19], -1, 0
	s_and_b64 s[18:19], s[24:25], s[18:19]
	s_or_b64 s[16:17], s[16:17], s[20:21]
	s_or_b64 s[16:17], s[16:17], s[18:19]
	s_and_b64 vcc, exec, s[16:17]
	s_cbranch_vccnz .LBB3_23
; %bb.7:
	s_load_dwordx8 s[24:31], s[4:5], 0x20
	s_load_dword s15, s[4:5], 0x40
	s_waitcnt lgkmcnt(0)
	s_mul_hi_u32 s9, s10, s24
	s_add_i32 s9, s9, s10
	s_lshr_b32 s9, s9, s25
	s_mul_i32 s16, s9, s26
	s_sub_i32 s16, s10, s16
	s_mul_hi_u32 s17, s16, s27
	s_add_i32 s17, s16, s17
	s_lshr_b32 s23, s17, s28
	s_mul_i32 s17, s23, s29
	s_sub_i32 s16, s16, s17
	;; [unrolled: 5-line block ×3, first 2 shown]
	s_mul_hi_u32 s16, s15, s12
	s_add_i32 s15, s15, s16
	s_lshr_b32 s25, s15, s13
	s_lshl_b32 s15, s25, 3
	s_lshl_b32 s24, s17, 3
	s_add_i32 s15, s15, s7
	s_cmp_lt_i32 s15, s0
	s_cselect_b64 s[16:17], -1, 0
	s_add_i32 s15, s24, s8
	s_cmp_lt_i32 s15, s2
	s_cselect_b64 s[18:19], -1, 0
	s_and_b64 s[16:17], s[16:17], s[18:19]
	s_andn2_b64 vcc, exec, s[16:17]
	s_cbranch_vccnz .LBB3_23
; %bb.8:
	s_load_dwordx4 s[16:19], s[4:5], 0x0
	s_mov_b32 s4, 0
	s_lshl_b32 s15, s7, 3
	s_lshl_b32 s20, s22, 8
	s_mov_b32 s21, s4
	s_add_i32 s15, s15, s8
	s_lshl_b64 s[20:21], s[20:21], 2
	s_waitcnt lgkmcnt(0)
	s_add_u32 s20, s18, s20
	s_mul_i32 s0, s9, s0
	s_addc_u32 s21, s19, s21
	s_add_i32 s0, s0, s7
	s_mul_i32 s0, s0, s1
	s_mul_i32 s23, s23, s2
	s_add_i32 s0, s0, s8
	s_add_i32 s0, s0, s23
	s_mul_i32 s2, s1, s25
	s_add_i32 s0, s0, s24
	s_lshl_b32 s2, s2, 10
	s_lshl_b32 s0, s0, 7
	s_add_i32 s2, s2, s0
	v_or_b32_e32 v1, s2, v0
	v_ashrrev_i32_e32 v2, 31, v1
	v_lshlrev_b64 v[1:2], 2, v[1:2]
	v_mov_b32_e32 v3, s17
	v_add_co_u32_e32 v1, vcc, s16, v1
	v_addc_co_u32_e32 v2, vcc, v3, v2, vcc
	global_load_dword v3, v[1:2], off
	v_cvt_f32_u32_e32 v4, s22
	s_lshl_b32 s0, s6, 6
	s_add_i32 s0, s15, s0
	s_ashr_i32 s1, s0, 31
	s_lshl_b64 s[0:1], s[0:1], 3
	v_rcp_iflag_f32_e32 v4, v4
	s_add_u32 s0, s18, s0
	s_addc_u32 s1, s19, s1
	s_load_dwordx2 s[0:1], s[0:1], 0x0
	v_mul_f32_e32 v4, 0x4f7ffffe, v4
	v_cvt_u32_f32_e32 v4, v4
	s_add_i32 s24, s6, -1
	v_lshl_or_b32 v0, s15, 7, v0
	s_waitcnt lgkmcnt(0)
	v_mov_b32_e32 v6, s1
	v_mov_b32_e32 v7, s0
	s_mov_b32 s2, 0x3fb8aa3b
	s_mov_b32 s16, 0xc2ce8ed0
	;; [unrolled: 1-line block ×4, first 2 shown]
	v_mov_b32_e32 v5, 0x7f800000
	s_mul_hi_i32 s5, s24, s3
	s_cmp_lg_u64 s[4:5], 0
	s_mul_i32 s8, s24, s3
	s_cbranch_scc0 .LBB3_19
.LBB3_9:
	s_add_u32 s0, s22, 0
	s_addc_u32 s1, 0, 0
	s_xor_b64 s[0:1], s[0:1], 0
	v_cvt_f32_u32_e32 v8, s0
	v_cvt_f32_u32_e32 v9, s1
	s_sub_u32 s9, 0, s0
	s_subb_u32 s25, 0, s1
	v_mac_f32_e32 v8, 0x4f800000, v9
	v_rcp_f32_e32 v8, v8
	v_mul_f32_e32 v8, 0x5f7ffffc, v8
	v_mul_f32_e32 v9, 0x2f800000, v8
	v_trunc_f32_e32 v9, v9
	v_mac_f32_e32 v8, 0xcf800000, v9
	v_cvt_u32_f32_e32 v9, v9
	v_cvt_u32_f32_e32 v8, v8
	v_readfirstlane_b32 s26, v9
	v_readfirstlane_b32 s6, v8
	s_mul_i32 s7, s9, s26
	s_mul_hi_u32 s28, s9, s6
	s_mul_i32 s27, s25, s6
	s_add_i32 s7, s28, s7
	s_mul_i32 s29, s9, s6
	s_add_i32 s7, s7, s27
	s_mul_i32 s28, s6, s7
	s_mul_hi_u32 s30, s6, s29
	s_mul_hi_u32 s27, s6, s7
	s_add_u32 s28, s30, s28
	s_addc_u32 s27, 0, s27
	s_mul_hi_u32 s31, s26, s29
	s_mul_i32 s29, s26, s29
	s_add_u32 s28, s28, s29
	s_mul_hi_u32 s30, s26, s7
	s_addc_u32 s27, s27, s31
	s_addc_u32 s28, s30, 0
	s_mul_i32 s7, s26, s7
	s_add_u32 s7, s27, s7
	s_addc_u32 s27, 0, s28
	s_add_u32 s28, s6, s7
	s_cselect_b64 s[6:7], -1, 0
	s_cmp_lg_u64 s[6:7], 0
	s_addc_u32 s26, s26, s27
	s_mul_i32 s6, s9, s26
	s_mul_hi_u32 s7, s9, s28
	s_add_i32 s6, s7, s6
	s_mul_i32 s25, s25, s28
	s_add_i32 s6, s6, s25
	s_mul_i32 s9, s9, s28
	s_mul_hi_u32 s25, s26, s9
	s_mul_i32 s27, s26, s9
	s_mul_i32 s30, s28, s6
	s_mul_hi_u32 s9, s28, s9
	s_mul_hi_u32 s29, s28, s6
	s_add_u32 s9, s9, s30
	s_addc_u32 s29, 0, s29
	s_add_u32 s9, s9, s27
	s_mul_hi_u32 s7, s26, s6
	s_addc_u32 s9, s29, s25
	s_addc_u32 s7, s7, 0
	s_mul_i32 s6, s26, s6
	s_add_u32 s6, s9, s6
	s_addc_u32 s9, 0, s7
	s_add_u32 s25, s28, s6
	s_cselect_b64 s[6:7], -1, 0
	s_cmp_lg_u64 s[6:7], 0
	s_addc_u32 s9, s26, s9
	s_ashr_i32 s6, s5, 31
	s_add_u32 s26, s8, s6
	s_mov_b32 s7, s6
	s_addc_u32 s27, s5, s6
	s_xor_b64 s[26:27], s[26:27], s[6:7]
	s_mul_i32 s28, s26, s9
	s_mul_hi_u32 s29, s26, s25
	s_mul_hi_u32 s5, s26, s9
	s_add_u32 s28, s29, s28
	s_addc_u32 s5, 0, s5
	s_mul_hi_u32 s30, s27, s25
	s_mul_i32 s25, s27, s25
	s_add_u32 s25, s28, s25
	s_mul_hi_u32 s29, s27, s9
	s_addc_u32 s5, s5, s30
	s_addc_u32 s25, s29, 0
	s_mul_i32 s9, s27, s9
	s_add_u32 s5, s5, s9
	s_addc_u32 s9, 0, s25
	s_mul_i32 s25, s0, s9
	s_mul_hi_u32 s28, s0, s5
	s_add_i32 s25, s28, s25
	s_mul_i32 s28, s1, s5
	s_add_i32 s25, s25, s28
	s_sub_i32 s30, s27, s25
	s_mul_i32 s28, s0, s5
	s_sub_u32 s26, s26, s28
	s_cselect_b64 s[28:29], -1, 0
	s_cmp_lg_u64 s[28:29], 0
	s_subb_u32 s33, s30, s1
	s_sub_u32 s34, s26, s0
	s_cselect_b64 s[30:31], -1, 0
	s_cmp_lg_u64 s[30:31], 0
	s_subb_u32 s30, s33, 0
	s_cmp_ge_u32 s30, s1
	s_cselect_b32 s31, -1, 0
	s_cmp_ge_u32 s34, s0
	s_cselect_b32 s33, -1, 0
	s_cmp_eq_u32 s30, s1
	s_cselect_b32 s30, s33, s31
	s_add_u32 s31, s5, 1
	s_addc_u32 s33, s9, 0
	s_add_u32 s34, s5, 2
	s_addc_u32 s35, s9, 0
	s_cmp_lg_u32 s30, 0
	s_cselect_b32 s30, s34, s31
	s_cselect_b32 s31, s35, s33
	s_cmp_lg_u64 s[28:29], 0
	s_subb_u32 s25, s27, s25
	s_cmp_ge_u32 s25, s1
	s_cselect_b32 s27, -1, 0
	s_cmp_ge_u32 s26, s0
	s_cselect_b32 s0, -1, 0
	s_cmp_eq_u32 s25, s1
	s_cselect_b32 s0, s0, s27
	s_cmp_lg_u32 s0, 0
	s_cselect_b32 s1, s31, s9
	s_cselect_b32 s0, s30, s5
	s_xor_b64 s[6:7], s[6:7], 0
	s_xor_b64 s[0:1], s[0:1], s[6:7]
	s_sub_u32 s6, s0, s6
	s_cbranch_execnz .LBB3_11
.LBB3_10:
	s_sub_i32 s0, 0, s22
	v_readfirstlane_b32 s1, v4
	s_mul_i32 s0, s0, s1
	s_mul_hi_u32 s0, s1, s0
	s_add_i32 s1, s1, s0
	s_mul_hi_u32 s0, s8, s1
	s_mul_i32 s5, s0, s22
	s_sub_i32 s5, s8, s5
	s_add_i32 s1, s0, 1
	s_sub_i32 s6, s5, s22
	s_cmp_ge_u32 s5, s22
	s_cselect_b32 s0, s1, s0
	s_cselect_b32 s5, s6, s5
	s_add_i32 s1, s0, 1
	s_cmp_ge_u32 s5, s22
	s_cselect_b32 s6, s1, s0
.LBB3_11:
	s_cmp_lg_u32 s10, s6
	s_mov_b64 s[8:9], -1
                                        ; implicit-def: $sgpr0_sgpr1
                                        ; implicit-def: $vgpr10
                                        ; implicit-def: $vgpr8
                                        ; implicit-def: $vgpr9
                                        ; implicit-def: $sgpr5
                                        ; implicit-def: $sgpr7
	s_cbranch_scc1 .LBB3_14
; %bb.12:
	s_andn2_b64 vcc, exec, s[8:9]
	s_cbranch_vccz .LBB3_17
.LBB3_13:
	s_andn2_b64 vcc, exec, s[0:1]
	s_cbranch_vccnz .LBB3_18
	s_branch .LBB3_22
.LBB3_14:
	s_add_i32 s0, s24, s22
	s_lshl_b32 s0, s0, 6
	s_add_i32 s0, s0, s15
	s_mov_b32 s1, s4
	s_lshl_b64 s[0:1], s[0:1], 3
	s_add_u32 s8, s18, s0
	s_mul_hi_u32 s0, s6, s12
	s_addc_u32 s9, s19, s1
	s_add_i32 s0, s0, s6
	s_lshr_b32 s5, s0, s13
	s_mul_i32 s0, s5, s14
	s_cmp_eq_u32 s0, s6
	s_cselect_b64 s[0:1], -1, 0
	s_cmp_lt_u32 s5, s11
	s_cselect_b64 s[26:27], -1, 0
	s_or_b64 s[26:27], s[26:27], s[0:1]
	s_mov_b64 s[0:1], -1
	s_and_b64 vcc, exec, s[26:27]
	s_mov_b32 s5, s24
	s_mov_b32 s7, s10
	s_cbranch_vccnz .LBB3_16
; %bb.15:
	s_add_i32 s5, s24, -1
	s_mov_b64 s[0:1], 0
	s_mov_b32 s7, s6
.LBB3_16:
	v_lshl_add_u32 v8, s24, 13, v0
	v_ashrrev_i32_e32 v9, 31, v8
	v_lshlrev_b64 v[8:9], 2, v[8:9]
	v_mov_b32_e32 v10, s21
	v_add_co_u32_e32 v8, vcc, s20, v8
	v_addc_co_u32_e32 v9, vcc, v10, v9, vcc
	global_load_dword v10, v[8:9], off
	s_load_dwordx2 s[8:9], s[8:9], 0x0
	v_max_f32_e32 v8, v7, v7
	s_waitcnt lgkmcnt(0)
	v_max_f32_e64 v9, s8, s8
	v_max_f32_e32 v8, v8, v9
	v_sub_f32_e32 v9, v7, v8
	v_sub_f32_e32 v11, s8, v8
	v_mul_f32_e32 v12, 0x3fb8aa3b, v9
	v_mul_f32_e32 v13, 0x3fb8aa3b, v11
	v_fma_f32 v14, v9, s2, -v12
	v_rndne_f32_e32 v15, v12
	v_fma_f32 v16, v11, s2, -v13
	v_rndne_f32_e32 v17, v13
	v_fmac_f32_e32 v14, 0x32a5705f, v9
	v_sub_f32_e32 v12, v12, v15
	v_fmac_f32_e32 v16, 0x32a5705f, v11
	v_sub_f32_e32 v13, v13, v17
	v_add_f32_e32 v12, v12, v14
	v_cvt_i32_f32_e32 v15, v15
	v_add_f32_e32 v13, v13, v16
	v_exp_f32_e32 v12, v12
	v_cvt_i32_f32_e32 v17, v17
	v_exp_f32_e32 v13, v13
	v_cmp_ngt_f32_e32 vcc, s16, v9
	v_ldexp_f32 v12, v12, v15
	v_cndmask_b32_e32 v12, 0, v12, vcc
	v_ldexp_f32 v13, v13, v17
	v_cmp_ngt_f32_e32 vcc, s16, v11
	v_cndmask_b32_e32 v13, 0, v13, vcc
	v_cmp_nlt_f32_e32 vcc, s17, v9
	v_cndmask_b32_e32 v12, v5, v12, vcc
	v_cmp_nlt_f32_e32 vcc, s17, v11
	v_cndmask_b32_e32 v13, v5, v13, vcc
	v_cmp_le_f32_e32 vcc, s23, v9
	v_cndmask_b32_e32 v12, 0, v12, vcc
	v_cmp_le_f32_e32 vcc, s23, v11
	v_cndmask_b32_e32 v11, 0, v13, vcc
	v_mul_f32_e32 v9, s9, v11
	v_fmac_f32_e32 v9, v6, v12
	s_waitcnt vmcnt(0)
	v_mul_f32_e32 v10, v10, v11
	v_fmac_f32_e32 v10, v3, v12
	s_cbranch_execnz .LBB3_13
.LBB3_17:
	s_add_i32 s5, s24, -1
	s_mov_b32 s7, s10
	v_mov_b32_e32 v9, v6
	v_mov_b32_e32 v8, v7
	s_waitcnt vmcnt(0)
	v_mov_b32_e32 v10, v3
	s_cbranch_execz .LBB3_22
.LBB3_18:
	s_mov_b32 s10, s7
	s_mov_b32 s24, s5
	v_mov_b32_e32 v6, v9
	v_mov_b32_e32 v7, v8
	s_waitcnt vmcnt(0)
	v_mov_b32_e32 v3, v10
	s_mul_hi_i32 s5, s24, s3
	s_cmp_lg_u64 s[4:5], 0
	s_mul_i32 s8, s24, s3
	s_cbranch_scc1 .LBB3_9
.LBB3_19:
                                        ; implicit-def: $sgpr6_sgpr7
	s_branch .LBB3_10
.LBB3_20:
                                        ; implicit-def: $sgpr10_sgpr11
	s_load_dwordx4 s[12:15], s[4:5], 0x44
	s_branch .LBB3_2
.LBB3_21:
                                        ; implicit-def: $sgpr18_sgpr19
	s_branch .LBB3_5
.LBB3_22:
	v_div_scale_f32 v0, s[0:1], v9, v9, v10
	s_waitcnt vmcnt(0)
	v_div_scale_f32 v3, vcc, v10, v9, v10
	v_rcp_f32_e32 v4, v0
	v_fma_f32 v5, -v0, v4, 1.0
	v_fmac_f32_e32 v4, v5, v4
	v_mul_f32_e32 v5, v3, v4
	v_fma_f32 v6, -v0, v5, v3
	v_fmac_f32_e32 v5, v6, v4
	v_fma_f32 v0, -v0, v5, v3
	v_div_fmas_f32 v0, v0, v4, v5
	v_div_fixup_f32 v0, v0, v9, v10
	global_store_dword v[1:2], v0, off
.LBB3_23:
	s_endpgm
	.section	.rodata,"a",@progbits
	.p2align	6, 0x0
	.amdhsa_kernel _ZL33flash_attn_stream_k_fixup_generalILi128ELi8ELi8EEvPfPK15HIP_vector_typeIfLj2EEiiiiS1_IjLj3EES5_S5_S5_
		.amdhsa_group_segment_fixed_size 0
		.amdhsa_private_segment_fixed_size 0
		.amdhsa_kernarg_size 336
		.amdhsa_user_sgpr_count 6
		.amdhsa_user_sgpr_private_segment_buffer 1
		.amdhsa_user_sgpr_dispatch_ptr 0
		.amdhsa_user_sgpr_queue_ptr 0
		.amdhsa_user_sgpr_kernarg_segment_ptr 1
		.amdhsa_user_sgpr_dispatch_id 0
		.amdhsa_user_sgpr_flat_scratch_init 0
		.amdhsa_user_sgpr_private_segment_size 0
		.amdhsa_uses_dynamic_stack 0
		.amdhsa_system_sgpr_private_segment_wavefront_offset 0
		.amdhsa_system_sgpr_workgroup_id_x 1
		.amdhsa_system_sgpr_workgroup_id_y 1
		.amdhsa_system_sgpr_workgroup_id_z 1
		.amdhsa_system_sgpr_workgroup_info 0
		.amdhsa_system_vgpr_workitem_id 0
		.amdhsa_next_free_vgpr 18
		.amdhsa_next_free_sgpr 36
		.amdhsa_reserve_vcc 1
		.amdhsa_reserve_flat_scratch 0
		.amdhsa_float_round_mode_32 0
		.amdhsa_float_round_mode_16_64 0
		.amdhsa_float_denorm_mode_32 3
		.amdhsa_float_denorm_mode_16_64 3
		.amdhsa_dx10_clamp 1
		.amdhsa_ieee_mode 1
		.amdhsa_fp16_overflow 0
		.amdhsa_exception_fp_ieee_invalid_op 0
		.amdhsa_exception_fp_denorm_src 0
		.amdhsa_exception_fp_ieee_div_zero 0
		.amdhsa_exception_fp_ieee_overflow 0
		.amdhsa_exception_fp_ieee_underflow 0
		.amdhsa_exception_fp_ieee_inexact 0
		.amdhsa_exception_int_div_zero 0
	.end_amdhsa_kernel
	.section	.text._ZL33flash_attn_stream_k_fixup_generalILi128ELi8ELi8EEvPfPK15HIP_vector_typeIfLj2EEiiiiS1_IjLj3EES5_S5_S5_,"axG",@progbits,_ZL33flash_attn_stream_k_fixup_generalILi128ELi8ELi8EEvPfPK15HIP_vector_typeIfLj2EEiiiiS1_IjLj3EES5_S5_S5_,comdat
.Lfunc_end3:
	.size	_ZL33flash_attn_stream_k_fixup_generalILi128ELi8ELi8EEvPfPK15HIP_vector_typeIfLj2EEiiiiS1_IjLj3EES5_S5_S5_, .Lfunc_end3-_ZL33flash_attn_stream_k_fixup_generalILi128ELi8ELi8EEvPfPK15HIP_vector_typeIfLj2EEiiiiS1_IjLj3EES5_S5_S5_
                                        ; -- End function
	.set _ZL33flash_attn_stream_k_fixup_generalILi128ELi8ELi8EEvPfPK15HIP_vector_typeIfLj2EEiiiiS1_IjLj3EES5_S5_S5_.num_vgpr, 18
	.set _ZL33flash_attn_stream_k_fixup_generalILi128ELi8ELi8EEvPfPK15HIP_vector_typeIfLj2EEiiiiS1_IjLj3EES5_S5_S5_.num_agpr, 0
	.set _ZL33flash_attn_stream_k_fixup_generalILi128ELi8ELi8EEvPfPK15HIP_vector_typeIfLj2EEiiiiS1_IjLj3EES5_S5_S5_.numbered_sgpr, 36
	.set _ZL33flash_attn_stream_k_fixup_generalILi128ELi8ELi8EEvPfPK15HIP_vector_typeIfLj2EEiiiiS1_IjLj3EES5_S5_S5_.num_named_barrier, 0
	.set _ZL33flash_attn_stream_k_fixup_generalILi128ELi8ELi8EEvPfPK15HIP_vector_typeIfLj2EEiiiiS1_IjLj3EES5_S5_S5_.private_seg_size, 0
	.set _ZL33flash_attn_stream_k_fixup_generalILi128ELi8ELi8EEvPfPK15HIP_vector_typeIfLj2EEiiiiS1_IjLj3EES5_S5_S5_.uses_vcc, 1
	.set _ZL33flash_attn_stream_k_fixup_generalILi128ELi8ELi8EEvPfPK15HIP_vector_typeIfLj2EEiiiiS1_IjLj3EES5_S5_S5_.uses_flat_scratch, 0
	.set _ZL33flash_attn_stream_k_fixup_generalILi128ELi8ELi8EEvPfPK15HIP_vector_typeIfLj2EEiiiiS1_IjLj3EES5_S5_S5_.has_dyn_sized_stack, 0
	.set _ZL33flash_attn_stream_k_fixup_generalILi128ELi8ELi8EEvPfPK15HIP_vector_typeIfLj2EEiiiiS1_IjLj3EES5_S5_S5_.has_recursion, 0
	.set _ZL33flash_attn_stream_k_fixup_generalILi128ELi8ELi8EEvPfPK15HIP_vector_typeIfLj2EEiiiiS1_IjLj3EES5_S5_S5_.has_indirect_call, 0
	.section	.AMDGPU.csdata,"",@progbits
; Kernel info:
; codeLenInByte = 2940
; TotalNumSgprs: 40
; NumVgprs: 18
; ScratchSize: 0
; MemoryBound: 0
; FloatMode: 240
; IeeeMode: 1
; LDSByteSize: 0 bytes/workgroup (compile time only)
; SGPRBlocks: 4
; VGPRBlocks: 4
; NumSGPRsForWavesPerEU: 40
; NumVGPRsForWavesPerEU: 18
; Occupancy: 10
; WaveLimiterHint : 0
; COMPUTE_PGM_RSRC2:SCRATCH_EN: 0
; COMPUTE_PGM_RSRC2:USER_SGPR: 6
; COMPUTE_PGM_RSRC2:TRAP_HANDLER: 0
; COMPUTE_PGM_RSRC2:TGID_X_EN: 1
; COMPUTE_PGM_RSRC2:TGID_Y_EN: 1
; COMPUTE_PGM_RSRC2:TGID_Z_EN: 1
; COMPUTE_PGM_RSRC2:TIDIG_COMP_CNT: 0
	.section	.text._ZL26flash_attn_combine_resultsILi128EEvPKfPK15HIP_vector_typeIfLj2EEPfi,"axG",@progbits,_ZL26flash_attn_combine_resultsILi128EEvPKfPK15HIP_vector_typeIfLj2EEPfi,comdat
	.globl	_ZL26flash_attn_combine_resultsILi128EEvPKfPK15HIP_vector_typeIfLj2EEPfi ; -- Begin function _ZL26flash_attn_combine_resultsILi128EEvPKfPK15HIP_vector_typeIfLj2EEPfi
	.p2align	8
	.type	_ZL26flash_attn_combine_resultsILi128EEvPKfPK15HIP_vector_typeIfLj2EEPfi,@function
_ZL26flash_attn_combine_resultsILi128EEvPKfPK15HIP_vector_typeIfLj2EEPfi: ; @_ZL26flash_attn_combine_resultsILi128EEvPKfPK15HIP_vector_typeIfLj2EEPfi
; %bb.0:
	s_load_dwordx2 s[12:13], s[4:5], 0x20
	s_load_dword s9, s[4:5], 0x18
	s_load_dwordx4 s[0:3], s[4:5], 0x0
	s_load_dwordx2 s[10:11], s[4:5], 0x10
	v_lshlrev_b32_e32 v4, 2, v0
	s_waitcnt lgkmcnt(0)
	s_mul_i32 s4, s12, s8
	s_add_i32 s4, s4, s6
	s_mul_i32 s8, s4, s13
	s_add_i32 s8, s8, s7
	s_lshl_b32 s12, s9, 1
	s_mul_i32 s4, s8, s9
	v_cmp_gt_i32_e32 vcc, s12, v0
	s_and_saveexec_b64 s[6:7], vcc
	s_cbranch_execz .LBB4_3
; %bb.1:
	s_ashr_i32 s5, s4, 31
	s_lshl_b64 s[14:15], s[4:5], 3
	s_add_u32 s2, s2, s14
	s_addc_u32 s3, s3, s15
	v_mov_b32_e32 v2, s3
	v_add_co_u32_e32 v1, vcc, s2, v4
	v_addc_co_u32_e32 v2, vcc, 0, v2, vcc
	v_add_u32_e32 v3, 0, v4
	s_mov_b64 s[2:3], 0
	v_mov_b32_e32 v5, v0
.LBB4_2:                                ; =>This Inner Loop Header: Depth=1
	global_load_dword v6, v[1:2], off
	v_add_co_u32_e32 v1, vcc, 0x200, v1
	v_add_u32_e32 v5, 0x80, v5
	v_addc_co_u32_e32 v2, vcc, 0, v2, vcc
	v_cmp_le_i32_e32 vcc, s12, v5
	s_or_b64 s[2:3], vcc, s[2:3]
	s_waitcnt vmcnt(0)
	ds_write_b32 v3, v6
	v_add_u32_e32 v3, 0x200, v3
	s_andn2_b64 exec, exec, s[2:3]
	s_cbranch_execnz .LBB4_2
.LBB4_3:
	s_or_b64 exec, exec, s[6:7]
	v_mov_b32_e32 v1, 0
	s_waitcnt lgkmcnt(0)
	s_barrier
	ds_read_b32 v5, v1
	s_cmp_lt_i32 s9, 2
	s_cbranch_scc1 .LBB4_11
; %bb.4:
	s_add_i32 s2, s9, -1
	s_add_i32 s3, s9, -2
	s_cmp_lt_u32 s3, 7
	s_cbranch_scc1 .LBB4_8
; %bb.5:
	s_mov_b32 s6, 0
	s_add_i32 s3, 0, 8
	s_and_b32 s5, s2, -8
.LBB4_6:                                ; =>This Inner Loop Header: Depth=1
	v_mov_b32_e32 v3, s3
	ds_read2_b32 v[1:2], v3 offset1:2
	ds_read2_b32 v[6:7], v3 offset0:4 offset1:6
	ds_read2_b32 v[8:9], v3 offset0:8 offset1:10
	;; [unrolled: 1-line block ×3, first 2 shown]
	s_mov_b32 s7, s6
	s_waitcnt lgkmcnt(3)
	v_max3_f32 v1, v5, v1, v2
	s_waitcnt lgkmcnt(2)
	v_max3_f32 v1, v1, v6, v7
	s_add_i32 s3, s3, 64
	s_add_i32 s6, s6, 8
	s_waitcnt lgkmcnt(1)
	v_max3_f32 v1, v1, v8, v9
	s_cmp_eq_u32 s5, s6
	s_waitcnt lgkmcnt(0)
	v_max3_f32 v5, v1, v10, v11
	s_cbranch_scc0 .LBB4_6
; %bb.7:
	s_add_i32 s3, s7, 9
	s_and_b32 s2, s2, 7
	s_cmp_eq_u32 s2, 0
	s_cbranch_scc0 .LBB4_9
	s_branch .LBB4_11
.LBB4_8:
	s_mov_b32 s3, 1
	s_and_b32 s2, s2, 7
	s_cmp_eq_u32 s2, 0
	s_cbranch_scc1 .LBB4_11
.LBB4_9:
	s_lshl_b32 s3, s3, 3
	s_add_i32 s3, s3, 0
.LBB4_10:                               ; =>This Inner Loop Header: Depth=1
	v_mov_b32_e32 v1, s3
	ds_read_b32 v1, v1
	s_waitcnt lgkmcnt(1)
	v_max_f32_e32 v2, v5, v5
	s_add_i32 s3, s3, 8
	s_add_i32 s2, s2, -1
	s_cmp_lg_u32 s2, 0
	s_waitcnt lgkmcnt(0)
	v_max_f32_e32 v1, v1, v1
	v_max_f32_e32 v5, v2, v1
	s_cbranch_scc1 .LBB4_10
.LBB4_11:
	s_cmp_lt_i32 s9, 1
	s_cbranch_scc1 .LBB4_16
; %bb.12:
	s_lshl_b32 s2, s4, 7
	s_ashr_i32 s3, s2, 31
	s_lshl_b64 s[2:3], s[2:3], 2
	s_add_u32 s0, s0, s2
	s_addc_u32 s1, s1, s3
	s_cmp_lt_u32 s9, 8
	s_cbranch_scc1 .LBB4_17
; %bb.13:
	s_and_b32 s2, s9, 0x7ffffff8
	v_or_b32_e32 v1, 0x380, v0
	s_mov_b32 s3, 0
	v_mov_b32_e32 v3, 0
	v_mov_b32_e32 v6, 0
	s_mov_b32 s4, 0x3fb8aa3b
	s_mov_b32 s5, 0xc2ce8ed0
	;; [unrolled: 1-line block ×3, first 2 shown]
	v_mov_b32_e32 v8, 0x7f800000
	v_mov_b32_e32 v9, s1
	s_mov_b32 s7, 0
	v_mov_b32_e32 v7, 0
.LBB4_14:                               ; =>This Inner Loop Header: Depth=1
	v_mov_b32_e32 v16, s3
	ds_read2_b64 v[10:13], v16 offset1:1
	s_add_i32 s7, s7, 8
	s_add_i32 s3, s3, 64
	s_cmp_eq_u32 s2, s7
	s_waitcnt lgkmcnt(0)
	v_sub_f32_e32 v2, v10, v5
	v_mul_f32_e32 v10, 0x3fb8aa3b, v2
	v_fma_f32 v14, v2, s4, -v10
	v_rndne_f32_e32 v15, v10
	v_fmac_f32_e32 v14, 0x32a5705f, v2
	v_sub_f32_e32 v10, v10, v15
	v_add_f32_e32 v10, v10, v14
	v_exp_f32_e32 v10, v10
	v_cvt_i32_f32_e32 v14, v15
	v_cmp_ngt_f32_e32 vcc, s5, v2
	v_ldexp_f32 v10, v10, v14
	v_cndmask_b32_e32 v10, 0, v10, vcc
	v_cmp_nlt_f32_e32 vcc, s6, v2
	v_add_u32_e32 v2, 0xfffffc80, v1
	v_lshlrev_b64 v[14:15], 2, v[2:3]
	v_cndmask_b32_e32 v10, v8, v10, vcc
	v_add_co_u32_e32 v14, vcc, s0, v14
	v_addc_co_u32_e32 v15, vcc, v9, v15, vcc
	global_load_dword v2, v[14:15], off
	v_fmac_f32_e32 v7, v10, v11
	s_waitcnt vmcnt(0)
	v_fmac_f32_e32 v6, v2, v10
	v_sub_f32_e32 v2, v12, v5
	v_mul_f32_e32 v10, 0x3fb8aa3b, v2
	v_fma_f32 v11, v2, s4, -v10
	v_rndne_f32_e32 v12, v10
	v_fmac_f32_e32 v11, 0x32a5705f, v2
	v_sub_f32_e32 v10, v10, v12
	v_add_f32_e32 v10, v10, v11
	v_exp_f32_e32 v10, v10
	v_cvt_i32_f32_e32 v11, v12
	v_cmp_ngt_f32_e32 vcc, s5, v2
	v_ldexp_f32 v10, v10, v11
	v_cndmask_b32_e32 v10, 0, v10, vcc
	v_cmp_nlt_f32_e32 vcc, s6, v2
	v_add_u32_e32 v2, 0xfffffd00, v1
	v_cndmask_b32_e32 v12, v8, v10, vcc
	v_lshlrev_b64 v[10:11], 2, v[2:3]
	v_fmac_f32_e32 v7, v12, v13
	v_add_co_u32_e32 v10, vcc, s0, v10
	v_addc_co_u32_e32 v11, vcc, v9, v11, vcc
	global_load_dword v2, v[10:11], off
	s_waitcnt vmcnt(0)
	v_fmac_f32_e32 v6, v2, v12
	ds_read2_b64 v[10:13], v16 offset0:2 offset1:3
	s_waitcnt lgkmcnt(0)
	v_sub_f32_e32 v2, v10, v5
	v_mul_f32_e32 v10, 0x3fb8aa3b, v2
	v_fma_f32 v14, v2, s4, -v10
	v_rndne_f32_e32 v15, v10
	v_fmac_f32_e32 v14, 0x32a5705f, v2
	v_sub_f32_e32 v10, v10, v15
	v_add_f32_e32 v10, v10, v14
	v_exp_f32_e32 v10, v10
	v_cvt_i32_f32_e32 v14, v15
	v_cmp_ngt_f32_e32 vcc, s5, v2
	v_ldexp_f32 v10, v10, v14
	v_cndmask_b32_e32 v10, 0, v10, vcc
	v_cmp_nlt_f32_e32 vcc, s6, v2
	v_add_u32_e32 v2, 0xfffffd80, v1
	v_lshlrev_b64 v[14:15], 2, v[2:3]
	v_cndmask_b32_e32 v10, v8, v10, vcc
	v_add_co_u32_e32 v14, vcc, s0, v14
	v_addc_co_u32_e32 v15, vcc, v9, v15, vcc
	global_load_dword v2, v[14:15], off
	v_fmac_f32_e32 v7, v10, v11
	s_waitcnt vmcnt(0)
	v_fmac_f32_e32 v6, v2, v10
	v_sub_f32_e32 v2, v12, v5
	v_mul_f32_e32 v10, 0x3fb8aa3b, v2
	v_fma_f32 v11, v2, s4, -v10
	v_rndne_f32_e32 v12, v10
	v_fmac_f32_e32 v11, 0x32a5705f, v2
	v_sub_f32_e32 v10, v10, v12
	v_add_f32_e32 v10, v10, v11
	v_exp_f32_e32 v10, v10
	v_cvt_i32_f32_e32 v11, v12
	v_cmp_ngt_f32_e32 vcc, s5, v2
	v_ldexp_f32 v10, v10, v11
	v_cndmask_b32_e32 v10, 0, v10, vcc
	v_cmp_nlt_f32_e32 vcc, s6, v2
	v_add_u32_e32 v2, 0xfffffe00, v1
	v_cndmask_b32_e32 v12, v8, v10, vcc
	v_lshlrev_b64 v[10:11], 2, v[2:3]
	v_fmac_f32_e32 v7, v12, v13
	v_add_co_u32_e32 v10, vcc, s0, v10
	v_addc_co_u32_e32 v11, vcc, v9, v11, vcc
	global_load_dword v2, v[10:11], off
	s_waitcnt vmcnt(0)
	v_fmac_f32_e32 v6, v2, v12
	ds_read2_b64 v[10:13], v16 offset0:4 offset1:5
	;; [unrolled: 46-line block ×3, first 2 shown]
	s_waitcnt lgkmcnt(0)
	v_sub_f32_e32 v2, v10, v5
	v_mul_f32_e32 v10, 0x3fb8aa3b, v2
	v_fma_f32 v14, v2, s4, -v10
	v_rndne_f32_e32 v15, v10
	v_fmac_f32_e32 v14, 0x32a5705f, v2
	v_sub_f32_e32 v10, v10, v15
	v_add_f32_e32 v10, v10, v14
	v_exp_f32_e32 v10, v10
	v_cvt_i32_f32_e32 v14, v15
	v_cmp_ngt_f32_e32 vcc, s5, v2
	v_ldexp_f32 v10, v10, v14
	v_cndmask_b32_e32 v10, 0, v10, vcc
	v_cmp_nlt_f32_e32 vcc, s6, v2
	v_add_u32_e32 v2, 0xffffff80, v1
	v_lshlrev_b64 v[14:15], 2, v[2:3]
	v_cndmask_b32_e32 v10, v8, v10, vcc
	v_add_co_u32_e32 v14, vcc, s0, v14
	v_addc_co_u32_e32 v15, vcc, v9, v15, vcc
	global_load_dword v2, v[14:15], off
	v_fmac_f32_e32 v7, v10, v11
	s_waitcnt vmcnt(0)
	v_fmac_f32_e32 v6, v2, v10
	v_sub_f32_e32 v2, v12, v5
	v_mul_f32_e32 v10, 0x3fb8aa3b, v2
	v_fma_f32 v11, v2, s4, -v10
	v_rndne_f32_e32 v12, v10
	v_fmac_f32_e32 v11, 0x32a5705f, v2
	v_sub_f32_e32 v10, v10, v12
	v_add_f32_e32 v10, v10, v11
	v_exp_f32_e32 v10, v10
	v_cvt_i32_f32_e32 v11, v12
	v_cmp_ngt_f32_e32 vcc, s5, v2
	v_ldexp_f32 v10, v10, v11
	v_cndmask_b32_e32 v10, 0, v10, vcc
	v_cmp_nlt_f32_e32 vcc, s6, v2
	v_mov_b32_e32 v2, v3
	v_cndmask_b32_e32 v12, v8, v10, vcc
	v_lshlrev_b64 v[10:11], 2, v[1:2]
	v_fmac_f32_e32 v7, v12, v13
	v_add_co_u32_e32 v10, vcc, s0, v10
	v_addc_co_u32_e32 v11, vcc, v9, v11, vcc
	global_load_dword v2, v[10:11], off
	v_add_u32_e32 v1, 0x400, v1
	s_waitcnt vmcnt(0)
	v_fmac_f32_e32 v6, v2, v12
	s_cbranch_scc0 .LBB4_14
; %bb.15:
	s_and_b32 s3, s9, 7
	s_cmp_eq_u32 s3, 0
	s_cbranch_scc0 .LBB4_18
	s_branch .LBB4_20
.LBB4_16:
	v_mov_b32_e32 v0, 0x7fc00000
	s_branch .LBB4_21
.LBB4_17:
	s_mov_b32 s2, 0
	v_mov_b32_e32 v6, 0
	v_mov_b32_e32 v7, 0
	s_and_b32 s3, s9, 7
	s_cmp_eq_u32 s3, 0
	s_cbranch_scc1 .LBB4_20
.LBB4_18:
	v_lshl_or_b32 v0, s2, 7, v0
	s_lshl_b32 s2, s2, 3
	s_add_i32 s2, s2, 0
	s_mov_b32 s4, 0x3fb8aa3b
	s_mov_b32 s5, 0xc2ce8ed0
	;; [unrolled: 1-line block ×3, first 2 shown]
	v_mov_b32_e32 v2, 0x7f800000
	v_mov_b32_e32 v1, 0
	;; [unrolled: 1-line block ×3, first 2 shown]
.LBB4_19:                               ; =>This Inner Loop Header: Depth=1
	v_lshlrev_b64 v[8:9], 2, v[0:1]
	s_add_i32 s3, s3, -1
	v_add_co_u32_e32 v8, vcc, s0, v8
	v_addc_co_u32_e32 v9, vcc, v3, v9, vcc
	global_load_dword v10, v[8:9], off
	v_mov_b32_e32 v8, s2
	ds_read_b64 v[8:9], v8
	s_add_i32 s2, s2, 8
	v_add_u32_e32 v0, 0x80, v0
	s_cmp_lg_u32 s3, 0
	s_waitcnt lgkmcnt(0)
	v_sub_f32_e32 v8, v8, v5
	v_mul_f32_e32 v11, 0x3fb8aa3b, v8
	v_fma_f32 v12, v8, s4, -v11
	v_rndne_f32_e32 v13, v11
	v_fmac_f32_e32 v12, 0x32a5705f, v8
	v_sub_f32_e32 v11, v11, v13
	v_add_f32_e32 v11, v11, v12
	v_cvt_i32_f32_e32 v13, v13
	v_exp_f32_e32 v11, v11
	v_cmp_ngt_f32_e32 vcc, s5, v8
	v_ldexp_f32 v11, v11, v13
	v_cndmask_b32_e32 v11, 0, v11, vcc
	v_cmp_nlt_f32_e32 vcc, s6, v8
	v_cndmask_b32_e32 v8, v2, v11, vcc
	v_fmac_f32_e32 v7, v8, v9
	s_waitcnt vmcnt(0)
	v_fmac_f32_e32 v6, v10, v8
	s_cbranch_scc1 .LBB4_19
.LBB4_20:
	v_div_scale_f32 v0, s[0:1], v7, v7, v6
	v_div_scale_f32 v1, vcc, v6, v7, v6
	v_rcp_f32_e32 v2, v0
	v_fma_f32 v3, -v0, v2, 1.0
	v_fmac_f32_e32 v2, v3, v2
	v_mul_f32_e32 v3, v1, v2
	s_waitcnt lgkmcnt(0)
	v_fma_f32 v5, -v0, v3, v1
	v_fmac_f32_e32 v3, v5, v2
	v_fma_f32 v0, -v0, v3, v1
	v_div_fmas_f32 v0, v0, v2, v3
	v_div_fixup_f32 v0, v0, v7, v6
.LBB4_21:
	s_lshl_b32 s0, s8, 7
	s_ashr_i32 s1, s0, 31
	s_lshl_b64 s[0:1], s[0:1], 2
	s_add_u32 s0, s10, s0
	s_addc_u32 s1, s11, s1
	global_store_dword v4, v0, s[0:1]
	s_endpgm
	.section	.rodata,"a",@progbits
	.p2align	6, 0x0
	.amdhsa_kernel _ZL26flash_attn_combine_resultsILi128EEvPKfPK15HIP_vector_typeIfLj2EEPfi
		.amdhsa_group_segment_fixed_size 0
		.amdhsa_private_segment_fixed_size 0
		.amdhsa_kernarg_size 288
		.amdhsa_user_sgpr_count 6
		.amdhsa_user_sgpr_private_segment_buffer 1
		.amdhsa_user_sgpr_dispatch_ptr 0
		.amdhsa_user_sgpr_queue_ptr 0
		.amdhsa_user_sgpr_kernarg_segment_ptr 1
		.amdhsa_user_sgpr_dispatch_id 0
		.amdhsa_user_sgpr_flat_scratch_init 0
		.amdhsa_user_sgpr_private_segment_size 0
		.amdhsa_uses_dynamic_stack 0
		.amdhsa_system_sgpr_private_segment_wavefront_offset 0
		.amdhsa_system_sgpr_workgroup_id_x 1
		.amdhsa_system_sgpr_workgroup_id_y 1
		.amdhsa_system_sgpr_workgroup_id_z 1
		.amdhsa_system_sgpr_workgroup_info 0
		.amdhsa_system_vgpr_workitem_id 0
		.amdhsa_next_free_vgpr 17
		.amdhsa_next_free_sgpr 16
		.amdhsa_reserve_vcc 1
		.amdhsa_reserve_flat_scratch 0
		.amdhsa_float_round_mode_32 0
		.amdhsa_float_round_mode_16_64 0
		.amdhsa_float_denorm_mode_32 3
		.amdhsa_float_denorm_mode_16_64 3
		.amdhsa_dx10_clamp 1
		.amdhsa_ieee_mode 1
		.amdhsa_fp16_overflow 0
		.amdhsa_exception_fp_ieee_invalid_op 0
		.amdhsa_exception_fp_denorm_src 0
		.amdhsa_exception_fp_ieee_div_zero 0
		.amdhsa_exception_fp_ieee_overflow 0
		.amdhsa_exception_fp_ieee_underflow 0
		.amdhsa_exception_fp_ieee_inexact 0
		.amdhsa_exception_int_div_zero 0
	.end_amdhsa_kernel
	.section	.text._ZL26flash_attn_combine_resultsILi128EEvPKfPK15HIP_vector_typeIfLj2EEPfi,"axG",@progbits,_ZL26flash_attn_combine_resultsILi128EEvPKfPK15HIP_vector_typeIfLj2EEPfi,comdat
.Lfunc_end4:
	.size	_ZL26flash_attn_combine_resultsILi128EEvPKfPK15HIP_vector_typeIfLj2EEPfi, .Lfunc_end4-_ZL26flash_attn_combine_resultsILi128EEvPKfPK15HIP_vector_typeIfLj2EEPfi
                                        ; -- End function
	.set _ZL26flash_attn_combine_resultsILi128EEvPKfPK15HIP_vector_typeIfLj2EEPfi.num_vgpr, 17
	.set _ZL26flash_attn_combine_resultsILi128EEvPKfPK15HIP_vector_typeIfLj2EEPfi.num_agpr, 0
	.set _ZL26flash_attn_combine_resultsILi128EEvPKfPK15HIP_vector_typeIfLj2EEPfi.numbered_sgpr, 16
	.set _ZL26flash_attn_combine_resultsILi128EEvPKfPK15HIP_vector_typeIfLj2EEPfi.num_named_barrier, 0
	.set _ZL26flash_attn_combine_resultsILi128EEvPKfPK15HIP_vector_typeIfLj2EEPfi.private_seg_size, 0
	.set _ZL26flash_attn_combine_resultsILi128EEvPKfPK15HIP_vector_typeIfLj2EEPfi.uses_vcc, 1
	.set _ZL26flash_attn_combine_resultsILi128EEvPKfPK15HIP_vector_typeIfLj2EEPfi.uses_flat_scratch, 0
	.set _ZL26flash_attn_combine_resultsILi128EEvPKfPK15HIP_vector_typeIfLj2EEPfi.has_dyn_sized_stack, 0
	.set _ZL26flash_attn_combine_resultsILi128EEvPKfPK15HIP_vector_typeIfLj2EEPfi.has_recursion, 0
	.set _ZL26flash_attn_combine_resultsILi128EEvPKfPK15HIP_vector_typeIfLj2EEPfi.has_indirect_call, 0
	.section	.AMDGPU.csdata,"",@progbits
; Kernel info:
; codeLenInByte = 1908
; TotalNumSgprs: 20
; NumVgprs: 17
; ScratchSize: 0
; MemoryBound: 0
; FloatMode: 240
; IeeeMode: 1
; LDSByteSize: 0 bytes/workgroup (compile time only)
; SGPRBlocks: 2
; VGPRBlocks: 4
; NumSGPRsForWavesPerEU: 20
; NumVGPRsForWavesPerEU: 17
; Occupancy: 10
; WaveLimiterHint : 0
; COMPUTE_PGM_RSRC2:SCRATCH_EN: 0
; COMPUTE_PGM_RSRC2:USER_SGPR: 6
; COMPUTE_PGM_RSRC2:TRAP_HANDLER: 0
; COMPUTE_PGM_RSRC2:TGID_X_EN: 1
; COMPUTE_PGM_RSRC2:TGID_Y_EN: 1
; COMPUTE_PGM_RSRC2:TGID_Z_EN: 1
; COMPUTE_PGM_RSRC2:TIDIG_COMP_CNT: 0
	.section	.text._ZL15flash_attn_tileILi128ELi128ELi4ELi8ELb0EEvPKcS1_S1_S1_S1_PKiPfP15HIP_vector_typeIfLj2EEffffjfiS5_IjLj3EEiiiiiiiiiiiliiliiiiil,"axG",@progbits,_ZL15flash_attn_tileILi128ELi128ELi4ELi8ELb0EEvPKcS1_S1_S1_S1_PKiPfP15HIP_vector_typeIfLj2EEffffjfiS5_IjLj3EEiiiiiiiiiiiliiliiiiil,comdat
	.globl	_ZL15flash_attn_tileILi128ELi128ELi4ELi8ELb0EEvPKcS1_S1_S1_S1_PKiPfP15HIP_vector_typeIfLj2EEffffjfiS5_IjLj3EEiiiiiiiiiiiliiliiiiil ; -- Begin function _ZL15flash_attn_tileILi128ELi128ELi4ELi8ELb0EEvPKcS1_S1_S1_S1_PKiPfP15HIP_vector_typeIfLj2EEffffjfiS5_IjLj3EEiiiiiiiiiiiliiliiiiil
	.p2align	8
	.type	_ZL15flash_attn_tileILi128ELi128ELi4ELi8ELb0EEvPKcS1_S1_S1_S1_PKiPfP15HIP_vector_typeIfLj2EEffffjfiS5_IjLj3EEiiiiiiiiiiiliiliiiiil,@function
_ZL15flash_attn_tileILi128ELi128ELi4ELi8ELb0EEvPKcS1_S1_S1_S1_PKiPfP15HIP_vector_typeIfLj2EEffffjfiS5_IjLj3EEiiiiiiiiiiiliiliiiiil: ; @_ZL15flash_attn_tileILi128ELi128ELi4ELi8ELb0EEvPKcS1_S1_S1_S1_PKiPfP15HIP_vector_typeIfLj2EEffffjfiS5_IjLj3EEiiiiiiiiiiiliiliiiiil
; %bb.0:
	s_load_dwordx4 s[60:63], s[4:5], 0x5c
	s_load_dwordx2 s[64:65], s[4:5], 0x80
	s_load_dwordx16 s[44:59], s[4:5], 0x0
	s_mov_b64 s[66:67], 0
	s_waitcnt lgkmcnt(0)
	s_ashr_i32 s0, s63, 31
	s_lshr_b32 s0, s0, 29
	s_add_i32 s0, s63, s0
	s_ashr_i32 s0, s0, 3
	v_cvt_f32_u32_e32 v2, s0
	s_sub_i32 s1, 0, s0
	v_rcp_iflag_f32_e32 v2, v2
	v_mul_f32_e32 v2, 0x4f7ffffe, v2
	v_cvt_u32_f32_e32 v2, v2
	v_readfirstlane_b32 s2, v2
	s_mul_i32 s1, s1, s2
	s_mul_hi_u32 s1, s2, s1
	s_add_i32 s2, s2, s1
	s_mul_hi_u32 s1, s8, s2
	s_mul_i32 s2, s1, s0
	s_sub_i32 s2, s8, s2
	s_add_i32 s3, s1, 1
	s_sub_i32 s9, s2, s0
	s_cmp_ge_u32 s2, s0
	s_cselect_b32 s1, s3, s1
	s_cselect_b32 s2, s9, s2
	s_add_i32 s3, s1, 1
	s_cmp_ge_u32 s2, s0
	s_cselect_b32 s33, s3, s1
	s_abs_i32 s0, s65
	v_cvt_f32_u32_e32 v2, s0
	s_lshl_b32 s1, s8, 3
	s_mul_i32 s8, s33, s63
	s_xor_b32 s2, s63, s65
	v_rcp_iflag_f32_e32 v2, v2
	s_sub_i32 s9, 0, s0
	s_sub_i32 s65, s1, s8
	s_abs_i32 s3, s63
	v_mul_f32_e32 v2, 0x4f7ffffe, v2
	v_cvt_u32_f32_e32 v2, v2
	s_ashr_i32 s2, s2, 31
	v_readfirstlane_b32 s1, v2
	s_mul_i32 s9, s9, s1
	s_mul_hi_u32 s8, s1, s9
	s_add_i32 s1, s1, s8
	s_mul_hi_u32 s1, s3, s1
	s_mul_i32 s8, s1, s0
	s_sub_i32 s3, s3, s8
	s_add_i32 s9, s1, 1
	s_sub_i32 s8, s3, s0
	s_cmp_ge_u32 s3, s0
	s_cselect_b32 s1, s9, s1
	s_cselect_b32 s3, s8, s3
	s_add_i32 s8, s1, 1
	s_cmp_ge_u32 s3, s0
	s_cselect_b32 s0, s8, s1
	s_xor_b32 s0, s0, s2
	s_sub_i32 s9, s0, s2
	s_abs_i32 s8, s9
	v_cvt_f32_u32_e32 v2, s8
	s_load_dwordx2 s[0:1], s[4:5], 0xb8
	s_cmp_eq_u64 s[50:51], 0
	v_rcp_iflag_f32_e32 v2, v2
	v_mul_f32_e32 v2, 0x4f7ffffe, v2
	v_cvt_u32_f32_e32 v2, v2
	v_readfirstlane_b32 s10, v2
	s_cbranch_scc1 .LBB5_2
; %bb.1:
	s_waitcnt lgkmcnt(0)
	s_abs_i32 s0, s0
	v_cvt_f32_u32_e32 v2, s0
	s_sub_i32 s13, 0, s0
	s_abs_i32 s12, s33
	s_ashr_i32 s11, s33, 31
	v_rcp_iflag_f32_e32 v2, v2
	s_load_dwordx2 s[2:3], s[4:5], 0xc8
	v_mul_f32_e32 v2, 0x4f7ffffe, v2
	v_cvt_u32_f32_e32 v2, v2
	v_readfirstlane_b32 s14, v2
	s_mul_i32 s13, s13, s14
	s_mul_hi_u32 s13, s14, s13
	s_add_i32 s14, s14, s13
	s_mul_hi_u32 s13, s12, s14
	s_mul_i32 s13, s13, s0
	s_sub_i32 s12, s12, s13
	s_sub_i32 s13, s12, s0
	s_cmp_ge_u32 s12, s0
	s_cselect_b32 s12, s13, s12
	s_sub_i32 s13, s12, s0
	s_cmp_ge_u32 s12, s0
	s_cselect_b32 s0, s13, s12
	s_xor_b32 s0, s0, s11
	s_sub_i32 s0, s0, s11
	s_ashr_i32 s11, s0, 31
	s_waitcnt lgkmcnt(0)
	s_mul_hi_u32 s12, s2, s0
	s_mul_i32 s11, s2, s11
	s_mul_i32 s3, s3, s0
	s_add_i32 s11, s12, s11
	s_add_i32 s11, s11, s3
	s_mul_i32 s0, s2, s0
	s_add_u32 s66, s50, s0
	s_addc_u32 s67, s51, s11
.LBB5_2:
	v_lshrrev_b32_e32 v2, 1, v1
	s_load_dwordx4 s[12:15], s[4:5], 0x70
	v_lshl_add_u32 v26, s6, 2, v2
	v_mul_hi_u32 v2, s60, v26
	v_lshlrev_b32_e32 v10, 4, v0
	v_lshlrev_b32_e32 v29, 3, v0
	s_waitcnt lgkmcnt(0)
	s_mul_i32 s0, s33, s14
	v_add_u32_e32 v2, v26, v2
	s_ashr_i32 s3, s0, 31
	v_lshrrev_b32_e32 v2, s61, v2
	s_mul_i32 s2, s65, s13
	s_add_u32 s0, s44, s0
	v_mul_lo_u32 v2, v2, s62
	s_addc_u32 s3, s45, s3
	s_ashr_i32 s11, s2, 31
	s_add_u32 s0, s0, s2
	s_addc_u32 s11, s3, s11
	s_ashr_i32 s15, s13, 31
	s_mov_b32 s14, s13
	s_ashr_i32 s13, s12, 31
	v_sub_u32_e32 v2, v26, v2
	s_lshr_b64 s[2:3], s[12:13], 2
	v_mad_u64_u32 v[4:5], s[2:3], s2, v2, 0
	s_lshr_b32 s2, s13, 2
	v_mov_b32_e32 v3, v5
	v_mad_u64_u32 v[5:6], s[2:3], s2, v2, v[3:4]
	v_lshlrev_b32_e32 v3, 2, v1
	v_or_b32_e32 v21, 1, v3
	v_lshlrev_b64 v[4:5], 2, v[4:5]
	s_lshr_b64 s[2:3], s[14:15], 2
	v_mov_b32_e32 v6, s11
	v_add_co_u32_e32 v8, vcc, s0, v4
	v_and_b32_e32 v27, 4, v3
	s_lshr_b32 s0, s15, 2
	v_and_b32_e32 v12, 5, v21
	v_addc_co_u32_e32 v9, vcc, v6, v5, vcc
	v_mul_lo_u32 v11, s0, v27
	v_mad_u64_u32 v[4:5], s[12:13], s2, v27, 0
	v_mad_u64_u32 v[6:7], s[12:13], s2, v12, 0
	v_add_co_u32_e32 v20, vcc, v8, v10
	v_or_b32_e32 v5, v5, v11
	v_mad_u64_u32 v[7:8], s[12:13], s0, v12, v[7:8]
	v_lshlrev_b64 v[4:5], 2, v[4:5]
	v_addc_co_u32_e32 v22, vcc, 0, v9, vcc
	v_add_co_u32_e32 v13, vcc, v20, v4
	v_addc_co_u32_e32 v14, vcc, v22, v5, vcc
	v_lshlrev_b64 v[4:5], 2, v[6:7]
	v_or_b32_e32 v23, 2, v3
	v_add_co_u32_e32 v15, vcc, v20, v4
	v_addc_co_u32_e32 v16, vcc, v22, v5, vcc
	global_load_dwordx4 v[5:8], v[13:14], off
	global_load_dwordx4 v[9:12], v[15:16], off
	v_and_b32_e32 v15, 6, v23
	v_mad_u64_u32 v[13:14], s[12:13], s2, v15, 0
	v_or_b32_e32 v24, 3, v3
	v_and_b32_e32 v19, 7, v24
	v_mov_b32_e32 v4, v14
	v_mad_u64_u32 v[17:18], s[2:3], s2, v19, 0
	s_cmp_eq_u64 s[54:55], 0
	s_waitcnt vmcnt(1)
	v_mad_u64_u32 v[14:15], s[12:13], s0, v15, v[4:5]
	v_mov_b32_e32 v4, v18
	v_mad_u64_u32 v[18:19], s[2:3], s0, v19, v[4:5]
	v_lshlrev_b64 v[13:14], 2, v[13:14]
	s_load_dword s0, s[4:5], 0x40
	v_add_co_u32_e32 v13, vcc, v20, v13
	v_addc_co_u32_e32 v14, vcc, v22, v14, vcc
	global_load_dwordx4 v[13:16], v[13:14], off
	v_lshlrev_b64 v[17:18], 2, v[17:18]
	s_waitcnt lgkmcnt(0)
	v_fma_mixlo_f16 v5, s0, v5, 0
	v_add_co_u32_e32 v17, vcc, v20, v17
	v_addc_co_u32_e32 v18, vcc, v22, v18, vcc
	global_load_dwordx4 v[17:20], v[17:18], off
	v_fma_mixlo_f16 v6, s0, v6, 0
	v_fma_mixlo_f16 v7, s0, v7, 0
	;; [unrolled: 1-line block ×3, first 2 shown]
	v_lshlrev_b32_e32 v6, 16, v6
	v_and_b32_e32 v5, 0xffff, v5
	v_lshlrev_b32_e32 v4, 10, v1
	v_add_u32_e32 v22, 0x2400, v29
	v_lshlrev_b32_e32 v8, 16, v8
	v_and_b32_e32 v7, 0xffff, v7
	v_or_b32_e32 v5, v6, v5
	v_add_u32_e32 v25, v22, v4
	s_waitcnt vmcnt(2)
	v_fma_mixlo_f16 v9, s0, v9, 0
	v_fma_mixlo_f16 v10, s0, v10, 0
	v_or3_b32 v6, v8, v7, 0
	v_or3_b32 v5, 0, 0, v5
	ds_write_b64 v25, v[5:6]
	v_lshlrev_b32_e32 v5, 16, v10
	v_and_b32_e32 v6, 0xffff, v9
	v_or_b32_e32 v5, v5, v6
	v_fma_mixlo_f16 v6, s0, v11, 0
	v_fma_mixlo_f16 v7, s0, v12, 0
	v_lshlrev_b32_e32 v7, 16, v7
	v_and_b32_e32 v6, 0xffff, v6
	v_lshl_add_u32 v8, v21, 8, v22
	v_or3_b32 v6, v7, v6, 0
	v_or3_b32 v5, 0, 0, v5
	ds_write_b64 v8, v[5:6]
	v_lshl_add_u32 v8, v23, 8, v22
	s_waitcnt vmcnt(1)
	v_fma_mixlo_f16 v5, s0, v13, 0
	v_fma_mixlo_f16 v6, s0, v14, 0
	v_lshlrev_b32_e32 v6, 16, v6
	v_and_b32_e32 v5, 0xffff, v5
	v_or_b32_e32 v5, v6, v5
	v_fma_mixlo_f16 v6, s0, v15, 0
	v_fma_mixlo_f16 v7, s0, v16, 0
	v_lshlrev_b32_e32 v7, 16, v7
	v_and_b32_e32 v6, 0xffff, v6
	v_or3_b32 v6, v7, v6, 0
	v_or3_b32 v5, 0, 0, v5
	ds_write_b64 v8, v[5:6]
	s_waitcnt vmcnt(0)
	v_fma_mixlo_f16 v5, s0, v17, 0
	v_fma_mixlo_f16 v6, s0, v18, 0
	v_lshlrev_b32_e32 v6, 16, v6
	v_and_b32_e32 v5, 0xffff, v5
	v_or_b32_e32 v5, v6, v5
	v_fma_mixlo_f16 v6, s0, v19, 0
	v_fma_mixlo_f16 v7, s0, v20, 0
	v_lshlrev_b32_e32 v7, 16, v7
	v_and_b32_e32 v6, 0xffff, v6
	v_lshl_add_u32 v8, v24, 8, v22
	v_or3_b32 v6, v7, v6, 0
	v_or3_b32 v5, 0, 0, v5
	ds_write_b64 v8, v[5:6]
	s_waitcnt lgkmcnt(0)
	s_barrier
	s_cbranch_scc1 .LBB5_4
; %bb.3:
	s_load_dword s0, s[4:5], 0xd0
	s_mov_b32 s3, 0
	s_waitcnt lgkmcnt(0)
	s_mul_i32 s0, s0, s33
	s_add_i32 s2, s0, s6
	s_lshl_b64 s[2:3], s[2:3], 2
	s_add_u32 s2, s54, s2
	s_addc_u32 s3, s55, s3
	s_load_dword s64, s[2:3], 0x0
.LBB5_4:
	s_lshl_b32 s6, s7, 6
	s_waitcnt lgkmcnt(0)
	s_cmp_lt_i32 s6, s64
	v_mbcnt_lo_u32_b32 v5, -1, 0
	s_cbranch_scc1 .LBB5_7
; %bb.5:
	v_mbcnt_hi_u32_b32 v30, -1, v5
	v_and_b32_e32 v6, 0x60, v30
	v_add_u32_e32 v31, 32, v6
	v_xor_b32_e32 v36, 16, v30
	v_xor_b32_e32 v35, 8, v30
	;; [unrolled: 1-line block ×5, first 2 shown]
	v_lshlrev_b32_e32 v28, 2, v0
	s_cbranch_execz .LBB5_8
; %bb.6:
	v_mov_b32_e32 v62, 0
	v_mov_b32_e32 v52, 0
	;; [unrolled: 1-line block ×16, first 2 shown]
	s_branch .LBB5_10
.LBB5_7:
                                        ; implicit-def: $vgpr30
                                        ; implicit-def: $vgpr31
                                        ; implicit-def: $vgpr36
                                        ; implicit-def: $vgpr35
                                        ; implicit-def: $vgpr34
                                        ; implicit-def: $vgpr32
                                        ; implicit-def: $vgpr33
	v_lshlrev_b32_e32 v28, 2, v0
.LBB5_8:
	s_load_dwordx2 s[2:3], s[4:5], 0x8c
	s_load_dwordx4 s[12:15], s[4:5], 0x98
	s_sub_i32 s0, 0, s8
	s_mul_i32 s0, s0, s10
	s_mul_hi_u32 s0, s10, s0
	s_waitcnt lgkmcnt(0)
	s_ashr_i32 s61, s2, 2
	s_ashr_i32 s2, s33, 31
	;; [unrolled: 1-line block ×3, first 2 shown]
	s_mul_hi_u32 s14, s12, s33
	s_mul_i32 s18, s12, s2
	s_add_i32 s14, s14, s18
	s_mul_i32 s13, s13, s33
	s_abs_i32 s16, s65
	s_add_i32 s10, s10, s0
	s_ashr_i32 s17, s65, 31
	s_ashr_i32 s9, s9, 31
	;; [unrolled: 1-line block ×3, first 2 shown]
	s_add_i32 s14, s14, s13
	s_mul_i32 s12, s12, s33
	s_mul_hi_u32 s0, s16, s10
	s_add_u32 s12, s46, s12
	s_addc_u32 s13, s47, s14
	s_mul_i32 s14, s0, s8
	s_sub_i32 s14, s16, s14
	s_xor_b32 s9, s17, s9
	s_add_i32 s16, s0, 1
	s_sub_i32 s17, s14, s8
	s_cmp_ge_u32 s14, s8
	s_cselect_b32 s0, s16, s0
	s_cselect_b32 s14, s17, s14
	s_add_i32 s16, s0, 1
	s_cmp_ge_u32 s14, s8
	s_load_dwordx2 s[10:11], s[4:5], 0xa8
	s_cselect_b32 s0, s16, s0
	s_xor_b32 s0, s0, s9
	s_sub_i32 s0, s0, s9
	s_mul_i32 s3, s0, s3
	s_ashr_i32 s8, s3, 31
	s_add_u32 s68, s12, s3
	s_waitcnt lgkmcnt(0)
	s_mul_hi_u32 s3, s10, s33
	s_mul_i32 s2, s10, s2
	s_addc_u32 s69, s13, s8
	s_add_i32 s2, s3, s2
	s_mul_i32 s3, s11, s33
	s_add_i32 s2, s2, s3
	s_mul_i32 s3, s10, s33
	s_add_u32 s3, s48, s3
	s_mul_i32 s0, s0, s15
	s_addc_u32 s2, s49, s2
	s_ashr_i32 s8, s0, 31
	v_lshrrev_b32_e32 v6, 3, v0
	v_and_b32_e32 v12, 28, v28
	s_add_u32 s70, s3, s0
	v_add_u32_e32 v3, v6, v3
	v_lshlrev_b32_e32 v7, 2, v12
	s_movk_i32 s0, 0x90
	v_mad_u32_u24 v37, v3, s0, v7
	v_mad_u64_u32 v[17:18], s[0:1], v2, s1, v[0:1]
	v_mov_b32_e32 v2, 0x4400
	v_lshl_add_u32 v41, v1, 9, v2
	v_lshrrev_b32_e32 v2, 4, v0
	v_lshl_add_u32 v1, v1, 1, v2
	v_mul_lo_u32 v6, s61, v3
	v_mul_lo_u32 v2, s60, v1
	v_add_u32_e32 v39, 0x2400, v4
	v_and_b32_e32 v4, 60, v28
	v_lshl_add_u32 v8, s61, 5, v6
	v_lshlrev_b32_e32 v3, 2, v4
	v_lshl_add_u32 v10, s60, 4, v2
	s_addc_u32 s71, s2, s8
	v_ashrrev_i32_e32 v7, 31, v6
	v_ashrrev_i32_e32 v9, 31, v8
	v_lshl_or_b32 v42, v1, 8, v3
	v_ashrrev_i32_e32 v3, 31, v2
	v_ashrrev_i32_e32 v11, 31, v10
	v_mbcnt_hi_u32_b32 v30, -1, v5
	s_add_u32 s54, s4, 0xd0
	v_lshlrev_b64 v[18:19], 2, v[6:7]
	v_lshlrev_b64 v[20:21], 2, v[8:9]
	v_and_b32_e32 v5, 0x60, v30
	v_lshlrev_b64 v[22:23], 2, v[2:3]
	v_lshlrev_b64 v[24:25], 2, v[10:11]
	v_mov_b32_e32 v56, 0
	v_add_u32_e32 v38, 0x1200, v37
	v_mul_u32_u24_e32 v40, 0x90, v0
	v_add_u32_e32 v43, 0x1000, v42
	s_addc_u32 s55, s5, 0
	v_mov_b32_e32 v1, 0xfeffffff
	v_lshlrev_b32_e32 v44, 2, v12
	v_add_u32_e32 v31, 32, v5
	v_xor_b32_e32 v36, 16, v30
	v_xor_b32_e32 v35, 8, v30
	;; [unrolled: 1-line block ×5, first 2 shown]
	v_mov_b32_e32 v45, s67
	s_mov_b32 s67, 0x3fb8aa3b
	s_mov_b32 s72, 0xc2ce8ed0
	;; [unrolled: 1-line block ×3, first 2 shown]
	v_mov_b32_e32 v46, 0x7f800000
	s_mov_b32 s74, 0x10001
	v_add_u32_e32 v47, v41, v29
	v_lshlrev_b32_e32 v48, 2, v4
	v_add_u32_e32 v49, 0x800, v29
	v_add_u32_e32 v50, 0x1000, v29
	;; [unrolled: 1-line block ×3, first 2 shown]
	v_mov_b32_e32 v57, 0
	v_mov_b32_e32 v59, 0
	;; [unrolled: 1-line block ×14, first 2 shown]
.LBB5_9:                                ; =>This Inner Loop Header: Depth=1
	s_mul_hi_i32 s1, s6, s61
	s_mul_i32 s0, s6, s61
	s_lshl_b64 s[0:1], s[0:1], 2
	s_add_u32 s0, s68, s0
	s_addc_u32 s2, s69, s1
	v_add_co_u32_e32 v5, vcc, s0, v20
	v_add_co_u32_e64 v6, s[0:1], s0, v18
	v_mov_b32_e32 v8, s2
	v_mov_b32_e32 v9, s2
	v_add_co_u32_e64 v7, s[8:9], v6, v44
	v_addc_co_u32_e64 v6, s[0:1], v8, v19, s[0:1]
	v_add_co_u32_e64 v5, s[2:3], v5, v44
	v_addc_co_u32_e32 v9, vcc, v9, v21, vcc
	v_addc_co_u32_e64 v8, vcc, 0, v6, s[8:9]
	v_addc_co_u32_e64 v6, vcc, 0, v9, s[2:3]
	global_load_dwordx4 v[9:12], v[7:8], off
	global_load_dwordx4 v[13:16], v[5:6], off
	v_mov_b32_e32 v64, 0
	v_mov_b32_e32 v67, 0
	;; [unrolled: 1-line block ×8, first 2 shown]
	v_cmp_lt_i32_e32 vcc, v36, v31
	v_cmp_lt_i32_e64 s[0:1], v35, v31
	v_cmp_lt_i32_e64 s[2:3], v34, v31
	;; [unrolled: 1-line block ×4, first 2 shown]
	s_mul_hi_i32 s13, s6, s60
	s_mul_i32 s12, s6, s60
	s_waitcnt vmcnt(1)
	ds_write_b128 v37, v[9:12]
	s_waitcnt vmcnt(0)
	ds_write_b128 v38, v[13:16]
	s_waitcnt lgkmcnt(0)
	s_barrier
	ds_read_b128 v[9:12], v39
	ds_read_b128 v[13:16], v40
	ds_read_b128 v[72:75], v40 offset:4608
	ds_read_b128 v[76:79], v39 offset:256
	;; [unrolled: 1-line block ×4, first 2 shown]
	s_waitcnt lgkmcnt(4)
	;;#ASMSTART
	v_dot2_f32_f16 v64, v13, v9, v64
	;;#ASMEND
	;;#ASMSTART
	v_dot2_f32_f16 v64, v14, v10, v64
	;;#ASMEND
	;;#ASMSTART
	v_dot2_f32_f16 v64, v15, v11, v64
	;;#ASMEND
	;;#ASMSTART
	v_dot2_f32_f16 v64, v16, v12, v64
	;;#ASMEND
	s_waitcnt lgkmcnt(2)
	;;#ASMSTART
	v_dot2_f32_f16 v67, v13, v76, v67
	;;#ASMEND
	;;#ASMSTART
	v_dot2_f32_f16 v67, v14, v77, v67
	;;#ASMEND
	;;#ASMSTART
	v_dot2_f32_f16 v67, v15, v78, v67
	;;#ASMEND
	;;#ASMSTART
	v_dot2_f32_f16 v67, v16, v79, v67
	;;#ASMEND
	;; [unrolled: 13-line block ×4, first 2 shown]
	;;#ASMSTART
	v_dot2_f32_f16 v68, v72, v9, v68
	;;#ASMEND
	;;#ASMSTART
	v_dot2_f32_f16 v68, v73, v10, v68
	;;#ASMEND
	;; [unrolled: 3-line block ×16, first 2 shown]
	ds_read_b128 v[9:12], v39 offset:16
	ds_read_b128 v[13:16], v40 offset:16
	;; [unrolled: 1-line block ×6, first 2 shown]
	s_waitcnt lgkmcnt(4)
	;;#ASMSTART
	v_dot2_f32_f16 v64, v13, v9, v64
	;;#ASMEND
	;;#ASMSTART
	v_dot2_f32_f16 v64, v14, v10, v64
	;;#ASMEND
	;;#ASMSTART
	v_dot2_f32_f16 v64, v15, v11, v64
	;;#ASMEND
	;;#ASMSTART
	v_dot2_f32_f16 v64, v16, v12, v64
	;;#ASMEND
	s_waitcnt lgkmcnt(2)
	;;#ASMSTART
	v_dot2_f32_f16 v67, v13, v76, v67
	;;#ASMEND
	;;#ASMSTART
	v_dot2_f32_f16 v67, v14, v77, v67
	;;#ASMEND
	;;#ASMSTART
	v_dot2_f32_f16 v67, v15, v78, v67
	;;#ASMEND
	;;#ASMSTART
	v_dot2_f32_f16 v67, v16, v79, v67
	;;#ASMEND
	;; [unrolled: 13-line block ×4, first 2 shown]
	;;#ASMSTART
	v_dot2_f32_f16 v68, v72, v9, v68
	;;#ASMEND
	;;#ASMSTART
	v_dot2_f32_f16 v68, v73, v10, v68
	;;#ASMEND
	;; [unrolled: 3-line block ×16, first 2 shown]
	ds_read_b128 v[9:12], v39 offset:32
	ds_read_b128 v[13:16], v40 offset:32
	;; [unrolled: 1-line block ×6, first 2 shown]
	s_waitcnt lgkmcnt(4)
	;;#ASMSTART
	v_dot2_f32_f16 v64, v13, v9, v64
	;;#ASMEND
	;;#ASMSTART
	v_dot2_f32_f16 v64, v14, v10, v64
	;;#ASMEND
	;;#ASMSTART
	v_dot2_f32_f16 v64, v15, v11, v64
	;;#ASMEND
	;;#ASMSTART
	v_dot2_f32_f16 v64, v16, v12, v64
	;;#ASMEND
	s_waitcnt lgkmcnt(2)
	;;#ASMSTART
	v_dot2_f32_f16 v67, v13, v76, v67
	;;#ASMEND
	;;#ASMSTART
	v_dot2_f32_f16 v67, v14, v77, v67
	;;#ASMEND
	;;#ASMSTART
	v_dot2_f32_f16 v67, v15, v78, v67
	;;#ASMEND
	;;#ASMSTART
	v_dot2_f32_f16 v67, v16, v79, v67
	;;#ASMEND
	;; [unrolled: 13-line block ×4, first 2 shown]
	;;#ASMSTART
	v_dot2_f32_f16 v68, v72, v9, v68
	;;#ASMEND
	;;#ASMSTART
	v_dot2_f32_f16 v68, v73, v10, v68
	;;#ASMEND
	;; [unrolled: 3-line block ×16, first 2 shown]
	ds_read_b128 v[9:12], v39 offset:48
	ds_read_b128 v[13:16], v40 offset:48
	;; [unrolled: 1-line block ×6, first 2 shown]
	s_waitcnt lgkmcnt(4)
	;;#ASMSTART
	v_dot2_f32_f16 v64, v13, v9, v64
	;;#ASMEND
	;;#ASMSTART
	v_dot2_f32_f16 v64, v14, v10, v64
	;;#ASMEND
	;;#ASMSTART
	v_dot2_f32_f16 v64, v15, v11, v64
	;;#ASMEND
	;;#ASMSTART
	v_dot2_f32_f16 v64, v16, v12, v64
	;;#ASMEND
	s_waitcnt lgkmcnt(2)
	;;#ASMSTART
	v_dot2_f32_f16 v67, v13, v76, v67
	;;#ASMEND
	;;#ASMSTART
	v_dot2_f32_f16 v67, v14, v77, v67
	;;#ASMEND
	;;#ASMSTART
	v_dot2_f32_f16 v67, v15, v78, v67
	;;#ASMEND
	;;#ASMSTART
	v_dot2_f32_f16 v67, v16, v79, v67
	;;#ASMEND
	;; [unrolled: 13-line block ×4, first 2 shown]
	;;#ASMSTART
	v_dot2_f32_f16 v68, v72, v9, v68
	;;#ASMEND
	;;#ASMSTART
	v_dot2_f32_f16 v68, v73, v10, v68
	;;#ASMEND
	;; [unrolled: 3-line block ×16, first 2 shown]
	ds_read_b128 v[9:12], v39 offset:64
	ds_read_b128 v[13:16], v40 offset:64
	;; [unrolled: 1-line block ×6, first 2 shown]
	s_waitcnt lgkmcnt(4)
	;;#ASMSTART
	v_dot2_f32_f16 v64, v13, v9, v64
	;;#ASMEND
	;;#ASMSTART
	v_dot2_f32_f16 v64, v14, v10, v64
	;;#ASMEND
	;;#ASMSTART
	v_dot2_f32_f16 v64, v15, v11, v64
	;;#ASMEND
	;;#ASMSTART
	v_dot2_f32_f16 v64, v16, v12, v64
	;;#ASMEND
	s_waitcnt lgkmcnt(2)
	;;#ASMSTART
	v_dot2_f32_f16 v67, v13, v76, v67
	;;#ASMEND
	;;#ASMSTART
	v_dot2_f32_f16 v67, v14, v77, v67
	;;#ASMEND
	;;#ASMSTART
	v_dot2_f32_f16 v67, v15, v78, v67
	;;#ASMEND
	;;#ASMSTART
	v_dot2_f32_f16 v67, v16, v79, v67
	;;#ASMEND
	;; [unrolled: 13-line block ×4, first 2 shown]
	;;#ASMSTART
	v_dot2_f32_f16 v68, v72, v9, v68
	;;#ASMEND
	;;#ASMSTART
	v_dot2_f32_f16 v68, v73, v10, v68
	;;#ASMEND
	;; [unrolled: 3-line block ×16, first 2 shown]
	ds_read_b128 v[9:12], v39 offset:80
	ds_read_b128 v[13:16], v40 offset:80
	;; [unrolled: 1-line block ×6, first 2 shown]
	s_waitcnt lgkmcnt(4)
	;;#ASMSTART
	v_dot2_f32_f16 v64, v13, v9, v64
	;;#ASMEND
	;;#ASMSTART
	v_dot2_f32_f16 v64, v14, v10, v64
	;;#ASMEND
	;;#ASMSTART
	v_dot2_f32_f16 v64, v15, v11, v64
	;;#ASMEND
	;;#ASMSTART
	v_dot2_f32_f16 v64, v16, v12, v64
	;;#ASMEND
	s_waitcnt lgkmcnt(2)
	;;#ASMSTART
	v_dot2_f32_f16 v67, v13, v76, v67
	;;#ASMEND
	;;#ASMSTART
	v_dot2_f32_f16 v67, v14, v77, v67
	;;#ASMEND
	;;#ASMSTART
	v_dot2_f32_f16 v67, v15, v78, v67
	;;#ASMEND
	;;#ASMSTART
	v_dot2_f32_f16 v67, v16, v79, v67
	;;#ASMEND
	;; [unrolled: 13-line block ×4, first 2 shown]
	;;#ASMSTART
	v_dot2_f32_f16 v68, v72, v9, v68
	;;#ASMEND
	;;#ASMSTART
	v_dot2_f32_f16 v68, v73, v10, v68
	;;#ASMEND
	;; [unrolled: 3-line block ×16, first 2 shown]
	ds_read_b128 v[9:12], v39 offset:96
	ds_read_b128 v[13:16], v40 offset:96
	;; [unrolled: 1-line block ×6, first 2 shown]
	s_waitcnt lgkmcnt(4)
	;;#ASMSTART
	v_dot2_f32_f16 v64, v13, v9, v64
	;;#ASMEND
	;;#ASMSTART
	v_dot2_f32_f16 v64, v14, v10, v64
	;;#ASMEND
	;;#ASMSTART
	v_dot2_f32_f16 v64, v15, v11, v64
	;;#ASMEND
	;;#ASMSTART
	v_dot2_f32_f16 v64, v16, v12, v64
	;;#ASMEND
	s_waitcnt lgkmcnt(2)
	;;#ASMSTART
	v_dot2_f32_f16 v67, v13, v76, v67
	;;#ASMEND
	;;#ASMSTART
	v_dot2_f32_f16 v67, v14, v77, v67
	;;#ASMEND
	;;#ASMSTART
	v_dot2_f32_f16 v67, v15, v78, v67
	;;#ASMEND
	;;#ASMSTART
	v_dot2_f32_f16 v67, v16, v79, v67
	;;#ASMEND
	;; [unrolled: 13-line block ×4, first 2 shown]
	;;#ASMSTART
	v_dot2_f32_f16 v68, v72, v9, v68
	;;#ASMEND
	;;#ASMSTART
	v_dot2_f32_f16 v68, v73, v10, v68
	;;#ASMEND
	;; [unrolled: 3-line block ×16, first 2 shown]
	ds_read_b128 v[9:12], v39 offset:112
	ds_read_b128 v[13:16], v40 offset:112
	;; [unrolled: 1-line block ×6, first 2 shown]
	s_waitcnt lgkmcnt(4)
	;;#ASMSTART
	v_dot2_f32_f16 v64, v13, v9, v64
	;;#ASMEND
	;;#ASMSTART
	v_dot2_f32_f16 v64, v14, v10, v64
	;;#ASMEND
	;;#ASMSTART
	v_dot2_f32_f16 v64, v15, v11, v64
	;;#ASMEND
	;;#ASMSTART
	v_dot2_f32_f16 v64, v16, v12, v64
	;;#ASMEND
	s_waitcnt lgkmcnt(2)
	;;#ASMSTART
	v_dot2_f32_f16 v67, v13, v76, v67
	;;#ASMEND
	;;#ASMSTART
	v_dot2_f32_f16 v67, v14, v77, v67
	;;#ASMEND
	;;#ASMSTART
	v_dot2_f32_f16 v67, v15, v78, v67
	;;#ASMEND
	;;#ASMSTART
	v_dot2_f32_f16 v67, v16, v79, v67
	;;#ASMEND
	;; [unrolled: 13-line block ×4, first 2 shown]
	;;#ASMSTART
	v_dot2_f32_f16 v68, v72, v9, v68
	;;#ASMEND
	;;#ASMSTART
	v_dot2_f32_f16 v68, v73, v10, v68
	;;#ASMEND
	;; [unrolled: 3-line block ×16, first 2 shown]
	s_barrier
	global_load_dwordx4 v[7:10], v[7:8], off offset:128
	s_nop 0
	global_load_dwordx4 v[11:14], v[5:6], off offset:128
	s_waitcnt vmcnt(1)
	ds_write_b128 v37, v[7:10]
	s_waitcnt vmcnt(0)
	ds_write_b128 v38, v[11:14]
	s_waitcnt lgkmcnt(0)
	s_barrier
	ds_read_b128 v[5:8], v39 offset:128
	ds_read_b128 v[9:12], v40
	ds_read_b128 v[13:16], v40 offset:4608
	ds_read_b128 v[72:75], v39 offset:384
	;; [unrolled: 1-line block ×4, first 2 shown]
	s_waitcnt lgkmcnt(4)
	;;#ASMSTART
	v_dot2_f32_f16 v64, v9, v5, v64
	;;#ASMEND
	;;#ASMSTART
	v_dot2_f32_f16 v64, v10, v6, v64
	;;#ASMEND
	;;#ASMSTART
	v_dot2_f32_f16 v64, v11, v7, v64
	;;#ASMEND
	;;#ASMSTART
	v_dot2_f32_f16 v64, v12, v8, v64
	;;#ASMEND
	s_waitcnt lgkmcnt(2)
	;;#ASMSTART
	v_dot2_f32_f16 v67, v9, v72, v67
	;;#ASMEND
	;;#ASMSTART
	v_dot2_f32_f16 v67, v10, v73, v67
	;;#ASMEND
	;;#ASMSTART
	v_dot2_f32_f16 v67, v11, v74, v67
	;;#ASMEND
	;;#ASMSTART
	v_dot2_f32_f16 v67, v12, v75, v67
	;;#ASMEND
	;; [unrolled: 13-line block ×4, first 2 shown]
	;;#ASMSTART
	v_dot2_f32_f16 v68, v13, v5, v68
	;;#ASMEND
	;;#ASMSTART
	v_dot2_f32_f16 v68, v14, v6, v68
	;;#ASMEND
	;;#ASMSTART
	v_dot2_f32_f16 v68, v15, v7, v68
	;;#ASMEND
	;;#ASMSTART
	v_dot2_f32_f16 v68, v16, v8, v68
	;;#ASMEND
	;;#ASMSTART
	v_dot2_f32_f16 v71, v13, v72, v71
	;;#ASMEND
	;;#ASMSTART
	v_dot2_f32_f16 v71, v14, v73, v71
	;;#ASMEND
	;;#ASMSTART
	v_dot2_f32_f16 v71, v15, v74, v71
	;;#ASMEND
	;;#ASMSTART
	v_dot2_f32_f16 v71, v16, v75, v71
	;;#ASMEND
	;;#ASMSTART
	v_dot2_f32_f16 v69, v13, v76, v69
	;;#ASMEND
	;;#ASMSTART
	v_dot2_f32_f16 v69, v14, v77, v69
	;;#ASMEND
	;;#ASMSTART
	v_dot2_f32_f16 v69, v15, v78, v69
	;;#ASMEND
	;;#ASMSTART
	v_dot2_f32_f16 v69, v16, v79, v69
	;;#ASMEND
	;;#ASMSTART
	v_dot2_f32_f16 v70, v13, v80, v70
	;;#ASMEND
	;;#ASMSTART
	v_dot2_f32_f16 v70, v14, v81, v70
	;;#ASMEND
	;;#ASMSTART
	v_dot2_f32_f16 v70, v15, v82, v70
	;;#ASMEND
	;;#ASMSTART
	v_dot2_f32_f16 v70, v16, v83, v70
	;;#ASMEND
	ds_read_b128 v[5:8], v39 offset:144
	ds_read_b128 v[9:12], v40 offset:16
	;; [unrolled: 1-line block ×6, first 2 shown]
	s_waitcnt lgkmcnt(4)
	;;#ASMSTART
	v_dot2_f32_f16 v64, v9, v5, v64
	;;#ASMEND
	;;#ASMSTART
	v_dot2_f32_f16 v64, v10, v6, v64
	;;#ASMEND
	;;#ASMSTART
	v_dot2_f32_f16 v64, v11, v7, v64
	;;#ASMEND
	;;#ASMSTART
	v_dot2_f32_f16 v64, v12, v8, v64
	;;#ASMEND
	s_waitcnt lgkmcnt(2)
	;;#ASMSTART
	v_dot2_f32_f16 v67, v9, v72, v67
	;;#ASMEND
	;;#ASMSTART
	v_dot2_f32_f16 v67, v10, v73, v67
	;;#ASMEND
	;;#ASMSTART
	v_dot2_f32_f16 v67, v11, v74, v67
	;;#ASMEND
	;;#ASMSTART
	v_dot2_f32_f16 v67, v12, v75, v67
	;;#ASMEND
	;; [unrolled: 13-line block ×4, first 2 shown]
	;;#ASMSTART
	v_dot2_f32_f16 v68, v13, v5, v68
	;;#ASMEND
	;;#ASMSTART
	v_dot2_f32_f16 v68, v14, v6, v68
	;;#ASMEND
	;; [unrolled: 3-line block ×16, first 2 shown]
	ds_read_b128 v[5:8], v39 offset:160
	ds_read_b128 v[9:12], v40 offset:32
	;; [unrolled: 1-line block ×6, first 2 shown]
	s_waitcnt lgkmcnt(4)
	;;#ASMSTART
	v_dot2_f32_f16 v64, v9, v5, v64
	;;#ASMEND
	;;#ASMSTART
	v_dot2_f32_f16 v64, v10, v6, v64
	;;#ASMEND
	;;#ASMSTART
	v_dot2_f32_f16 v64, v11, v7, v64
	;;#ASMEND
	;;#ASMSTART
	v_dot2_f32_f16 v64, v12, v8, v64
	;;#ASMEND
	s_waitcnt lgkmcnt(2)
	;;#ASMSTART
	v_dot2_f32_f16 v67, v9, v72, v67
	;;#ASMEND
	;;#ASMSTART
	v_dot2_f32_f16 v67, v10, v73, v67
	;;#ASMEND
	;;#ASMSTART
	v_dot2_f32_f16 v67, v11, v74, v67
	;;#ASMEND
	;;#ASMSTART
	v_dot2_f32_f16 v67, v12, v75, v67
	;;#ASMEND
	;; [unrolled: 13-line block ×4, first 2 shown]
	;;#ASMSTART
	v_dot2_f32_f16 v68, v13, v5, v68
	;;#ASMEND
	;;#ASMSTART
	v_dot2_f32_f16 v68, v14, v6, v68
	;;#ASMEND
	;; [unrolled: 3-line block ×16, first 2 shown]
	ds_read_b128 v[5:8], v39 offset:176
	ds_read_b128 v[9:12], v40 offset:48
	;; [unrolled: 1-line block ×6, first 2 shown]
	s_waitcnt lgkmcnt(4)
	;;#ASMSTART
	v_dot2_f32_f16 v64, v9, v5, v64
	;;#ASMEND
	;;#ASMSTART
	v_dot2_f32_f16 v64, v10, v6, v64
	;;#ASMEND
	;;#ASMSTART
	v_dot2_f32_f16 v64, v11, v7, v64
	;;#ASMEND
	;;#ASMSTART
	v_dot2_f32_f16 v64, v12, v8, v64
	;;#ASMEND
	s_waitcnt lgkmcnt(2)
	;;#ASMSTART
	v_dot2_f32_f16 v67, v9, v72, v67
	;;#ASMEND
	;;#ASMSTART
	v_dot2_f32_f16 v67, v10, v73, v67
	;;#ASMEND
	;;#ASMSTART
	v_dot2_f32_f16 v67, v11, v74, v67
	;;#ASMEND
	;;#ASMSTART
	v_dot2_f32_f16 v67, v12, v75, v67
	;;#ASMEND
	;; [unrolled: 13-line block ×4, first 2 shown]
	;;#ASMSTART
	v_dot2_f32_f16 v68, v13, v5, v68
	;;#ASMEND
	;;#ASMSTART
	v_dot2_f32_f16 v68, v14, v6, v68
	;;#ASMEND
	;; [unrolled: 3-line block ×16, first 2 shown]
	ds_read_b128 v[5:8], v39 offset:192
	ds_read_b128 v[9:12], v40 offset:64
	;; [unrolled: 1-line block ×6, first 2 shown]
	s_waitcnt lgkmcnt(4)
	;;#ASMSTART
	v_dot2_f32_f16 v64, v9, v5, v64
	;;#ASMEND
	;;#ASMSTART
	v_dot2_f32_f16 v64, v10, v6, v64
	;;#ASMEND
	;;#ASMSTART
	v_dot2_f32_f16 v64, v11, v7, v64
	;;#ASMEND
	;;#ASMSTART
	v_dot2_f32_f16 v64, v12, v8, v64
	;;#ASMEND
	s_waitcnt lgkmcnt(2)
	;;#ASMSTART
	v_dot2_f32_f16 v67, v9, v72, v67
	;;#ASMEND
	;;#ASMSTART
	v_dot2_f32_f16 v67, v10, v73, v67
	;;#ASMEND
	;;#ASMSTART
	v_dot2_f32_f16 v67, v11, v74, v67
	;;#ASMEND
	;;#ASMSTART
	v_dot2_f32_f16 v67, v12, v75, v67
	;;#ASMEND
	;; [unrolled: 13-line block ×4, first 2 shown]
	;;#ASMSTART
	v_dot2_f32_f16 v68, v13, v5, v68
	;;#ASMEND
	;;#ASMSTART
	v_dot2_f32_f16 v68, v14, v6, v68
	;;#ASMEND
	;; [unrolled: 3-line block ×16, first 2 shown]
	ds_read_b128 v[5:8], v39 offset:208
	ds_read_b128 v[9:12], v40 offset:80
	;; [unrolled: 1-line block ×6, first 2 shown]
	s_waitcnt lgkmcnt(4)
	;;#ASMSTART
	v_dot2_f32_f16 v64, v9, v5, v64
	;;#ASMEND
	;;#ASMSTART
	v_dot2_f32_f16 v64, v10, v6, v64
	;;#ASMEND
	;;#ASMSTART
	v_dot2_f32_f16 v64, v11, v7, v64
	;;#ASMEND
	;;#ASMSTART
	v_dot2_f32_f16 v64, v12, v8, v64
	;;#ASMEND
	s_waitcnt lgkmcnt(2)
	;;#ASMSTART
	v_dot2_f32_f16 v67, v9, v72, v67
	;;#ASMEND
	;;#ASMSTART
	v_dot2_f32_f16 v67, v10, v73, v67
	;;#ASMEND
	;;#ASMSTART
	v_dot2_f32_f16 v67, v11, v74, v67
	;;#ASMEND
	;;#ASMSTART
	v_dot2_f32_f16 v67, v12, v75, v67
	;;#ASMEND
	;; [unrolled: 13-line block ×4, first 2 shown]
	;;#ASMSTART
	v_dot2_f32_f16 v68, v13, v5, v68
	;;#ASMEND
	;;#ASMSTART
	v_dot2_f32_f16 v68, v14, v6, v68
	;;#ASMEND
	;; [unrolled: 3-line block ×16, first 2 shown]
	ds_read_b128 v[5:8], v39 offset:224
	ds_read_b128 v[9:12], v40 offset:96
	;; [unrolled: 1-line block ×6, first 2 shown]
	s_waitcnt lgkmcnt(4)
	;;#ASMSTART
	v_dot2_f32_f16 v64, v9, v5, v64
	;;#ASMEND
	;;#ASMSTART
	v_dot2_f32_f16 v64, v10, v6, v64
	;;#ASMEND
	;;#ASMSTART
	v_dot2_f32_f16 v64, v11, v7, v64
	;;#ASMEND
	;;#ASMSTART
	v_dot2_f32_f16 v64, v12, v8, v64
	;;#ASMEND
	s_waitcnt lgkmcnt(2)
	;;#ASMSTART
	v_dot2_f32_f16 v67, v9, v72, v67
	;;#ASMEND
	;;#ASMSTART
	v_dot2_f32_f16 v67, v10, v73, v67
	;;#ASMEND
	;;#ASMSTART
	v_dot2_f32_f16 v67, v11, v74, v67
	;;#ASMEND
	;;#ASMSTART
	v_dot2_f32_f16 v67, v12, v75, v67
	;;#ASMEND
	;; [unrolled: 13-line block ×4, first 2 shown]
	;;#ASMSTART
	v_dot2_f32_f16 v68, v13, v5, v68
	;;#ASMEND
	;;#ASMSTART
	v_dot2_f32_f16 v68, v14, v6, v68
	;;#ASMEND
	;;#ASMSTART
	v_dot2_f32_f16 v68, v15, v7, v68
	;;#ASMEND
	;;#ASMSTART
	v_dot2_f32_f16 v68, v16, v8, v68
	;;#ASMEND
	;;#ASMSTART
	v_dot2_f32_f16 v71, v13, v72, v71
	;;#ASMEND
	;;#ASMSTART
	v_dot2_f32_f16 v71, v14, v73, v71
	;;#ASMEND
	;;#ASMSTART
	v_dot2_f32_f16 v71, v15, v74, v71
	;;#ASMEND
	;;#ASMSTART
	v_dot2_f32_f16 v71, v16, v75, v71
	;;#ASMEND
	;;#ASMSTART
	v_dot2_f32_f16 v69, v13, v76, v69
	;;#ASMEND
	;;#ASMSTART
	v_dot2_f32_f16 v69, v14, v77, v69
	;;#ASMEND
	;;#ASMSTART
	v_dot2_f32_f16 v69, v15, v78, v69
	;;#ASMEND
	;;#ASMSTART
	v_dot2_f32_f16 v69, v16, v79, v69
	;;#ASMEND
	;;#ASMSTART
	v_dot2_f32_f16 v70, v13, v80, v70
	;;#ASMEND
	;;#ASMSTART
	v_dot2_f32_f16 v70, v14, v81, v70
	;;#ASMEND
	;;#ASMSTART
	v_dot2_f32_f16 v70, v15, v82, v70
	;;#ASMEND
	;;#ASMSTART
	v_dot2_f32_f16 v70, v16, v83, v70
	;;#ASMEND
	ds_read_b128 v[72:75], v39 offset:240
	ds_read_b128 v[76:79], v40 offset:112
	;; [unrolled: 1-line block ×6, first 2 shown]
	s_waitcnt lgkmcnt(4)
	;;#ASMSTART
	v_dot2_f32_f16 v64, v76, v72, v64
	;;#ASMEND
	;;#ASMSTART
	v_dot2_f32_f16 v64, v77, v73, v64
	;;#ASMEND
	;;#ASMSTART
	v_dot2_f32_f16 v64, v78, v74, v64
	;;#ASMEND
	;;#ASMSTART
	v_dot2_f32_f16 v64, v79, v75, v64
	;;#ASMEND
	s_waitcnt lgkmcnt(2)
	;;#ASMSTART
	v_dot2_f32_f16 v67, v76, v80, v67
	;;#ASMEND
	;;#ASMSTART
	v_dot2_f32_f16 v67, v77, v81, v67
	;;#ASMEND
	;;#ASMSTART
	v_dot2_f32_f16 v67, v78, v82, v67
	;;#ASMEND
	;;#ASMSTART
	v_dot2_f32_f16 v67, v79, v83, v67
	;;#ASMEND
	;; [unrolled: 13-line block ×4, first 2 shown]
	;;#ASMSTART
	v_dot2_f32_f16 v68, v5, v72, v68
	;;#ASMEND
	;;#ASMSTART
	v_dot2_f32_f16 v68, v6, v73, v68
	;;#ASMEND
	;; [unrolled: 3-line block ×8, first 2 shown]
	v_mov_b32_e32 v73, v1
	v_add_u32_e32 v1, s6, v17
	;;#ASMSTART
	v_dot2_f32_f16 v69, v5, v13, v69
	;;#ASMEND
	v_mov_b32_e32 v72, v2
	;;#ASMSTART
	v_dot2_f32_f16 v69, v6, v14, v69
	;;#ASMEND
	v_ashrrev_i32_e32 v2, 31, v1
	;;#ASMSTART
	v_dot2_f32_f16 v69, v7, v15, v69
	;;#ASMEND
	v_lshlrev_b64 v[1:2], 1, v[1:2]
	;;#ASMSTART
	v_dot2_f32_f16 v69, v8, v16, v69
	;;#ASMEND
	;;#ASMSTART
	v_dot2_f32_f16 v70, v5, v9, v70
	;;#ASMEND
	v_cndmask_b32_e32 v13, v30, v36, vcc
	;;#ASMSTART
	v_dot2_f32_f16 v70, v6, v10, v70
	;;#ASMEND
	v_add_co_u32_e32 v1, vcc, s66, v1
	v_cndmask_b32_e64 v14, v30, v35, s[0:1]
	;;#ASMSTART
	v_dot2_f32_f16 v70, v7, v11, v70
	;;#ASMEND
	v_addc_co_u32_e32 v2, vcc, v45, v2, vcc
	;;#ASMSTART
	v_dot2_f32_f16 v70, v8, v12, v70
	;;#ASMEND
	v_lshlrev_b32_e32 v8, 2, v14
	global_load_ushort v14, v[1:2], off
	s_nop 0
	global_load_ushort v1, v[1:2], off offset:64
	v_lshlrev_b32_e32 v7, 2, v13
	v_cndmask_b32_e64 v15, v30, v34, s[2:3]
	v_lshlrev_b32_e32 v11, 2, v15
	v_cndmask_b32_e64 v16, v30, v32, s[8:9]
	;; [unrolled: 2-line block ×3, first 2 shown]
	v_lshlrev_b32_e32 v74, 2, v5
	s_lshl_b64 s[0:1], s[12:13], 2
	s_add_u32 s0, s70, s0
	s_addc_u32 s2, s71, s1
	s_or_b32 s3, s6, 32
	v_add_co_u32_e32 v6, vcc, s0, v24
	v_add_co_u32_e64 v5, s[0:1], s0, v22
	v_mov_b32_e32 v10, s2
	s_mul_hi_i32 s11, s3, s60
	s_mul_i32 s10, s3, s60
	v_add_co_u32_e64 v9, s[8:9], v6, v48
	v_addc_co_u32_e64 v6, s[0:1], v10, v23, s[0:1]
	v_mov_b32_e32 v13, s2
	v_add_co_u32_e64 v5, s[2:3], v5, v48
	s_lshl_b64 s[0:1], s[10:11], 2
	v_addc_co_u32_e32 v10, vcc, v13, v25, vcc
	v_addc_co_u32_e64 v6, vcc, 0, v6, s[2:3]
	s_add_u32 s2, s70, s0
	v_addc_co_u32_e64 v10, vcc, 0, v10, s[8:9]
	s_addc_u32 s3, s71, s1
	v_add_co_u32_e32 v13, vcc, s2, v22
	v_add_co_u32_e64 v13, s[0:1], v13, v48
	v_mov_b32_e32 v16, s3
	s_waitcnt vmcnt(0)
	s_barrier
	v_cvt_f32_f16_e32 v75, v14
	v_cvt_f32_f16_e32 v76, v1
	v_add_f32_e32 v64, v64, v75
	v_add_f32_e32 v68, v68, v76
	;; [unrolled: 1-line block ×4, first 2 shown]
	v_max3_f32 v1, v73, v1, v2
	ds_bpermute_b32 v2, v7, v1
	v_add_f32_e32 v65, v65, v75
	v_add_f32_e32 v69, v69, v76
	;; [unrolled: 1-line block ×4, first 2 shown]
	s_waitcnt lgkmcnt(0)
	v_max_f32_e32 v2, v2, v2
	v_max_f32_e32 v1, v1, v2
	ds_bpermute_b32 v2, v8, v1
	v_add_f32_e32 v66, v66, v75
	v_add_f32_e32 v70, v70, v76
	v_mov_b32_e32 v75, v3
	v_add_f32_e32 v3, 0x40051340, v65
	s_waitcnt lgkmcnt(0)
	v_max_f32_e32 v2, v2, v2
	v_max_f32_e32 v1, v1, v2
	ds_bpermute_b32 v2, v11, v1
	v_add_f32_e32 v76, 0x40051340, v69
	v_add_f32_e32 v14, 0x40051340, v71
	v_max3_f32 v3, v75, v3, v76
	v_mov_b32_e32 v76, v4
	s_waitcnt lgkmcnt(0)
	v_max_f32_e32 v2, v2, v2
	v_max_f32_e32 v1, v1, v2
	ds_bpermute_b32 v2, v12, v1
	v_add_f32_e32 v4, 0x40051340, v66
	v_add_f32_e32 v77, 0x40051340, v70
	v_max3_f32 v4, v76, v4, v77
	ds_bpermute_b32 v77, v7, v3
	s_waitcnt lgkmcnt(1)
	v_max_f32_e32 v2, v2, v2
	v_max_f32_e32 v1, v1, v2
	ds_bpermute_b32 v2, v74, v1
	s_waitcnt lgkmcnt(1)
	v_max_f32_e32 v77, v77, v77
	v_max_f32_e32 v3, v3, v77
	s_waitcnt lgkmcnt(0)
	v_max_f32_e32 v2, v2, v2
	v_max_f32_e32 v1, v1, v2
	v_add_f32_e32 v2, 0x40051340, v67
	v_max3_f32 v2, v72, v2, v14
	ds_bpermute_b32 v14, v7, v2
	ds_bpermute_b32 v7, v7, v4
	s_waitcnt lgkmcnt(1)
	v_max_f32_e32 v14, v14, v14
	s_waitcnt lgkmcnt(0)
	v_max_f32_e32 v7, v7, v7
	v_max_f32_e32 v4, v4, v7
	ds_bpermute_b32 v7, v8, v3
	v_max_f32_e32 v2, v2, v14
	ds_bpermute_b32 v14, v8, v2
	s_waitcnt lgkmcnt(1)
	v_max_f32_e32 v7, v7, v7
	v_max_f32_e32 v3, v3, v7
	ds_bpermute_b32 v7, v8, v4
	s_waitcnt lgkmcnt(1)
	v_max_f32_e32 v14, v14, v14
	;; [unrolled: 4-line block ×6, first 2 shown]
	v_max_f32_e32 v2, v2, v14
	ds_bpermute_b32 v14, v74, v2
	v_sub_f32_e32 v11, v68, v1
	s_waitcnt lgkmcnt(1)
	v_max_f32_e32 v7, v7, v7
	v_max_f32_e32 v4, v4, v7
	ds_bpermute_b32 v7, v12, v3
	s_waitcnt lgkmcnt(1)
	v_max_f32_e32 v14, v14, v14
	v_max_f32_e32 v2, v2, v14
	v_mov_b32_e32 v14, s3
	v_addc_co_u32_e32 v14, vcc, v14, v23, vcc
	s_waitcnt lgkmcnt(0)
	v_max_f32_e32 v7, v7, v7
	v_max_f32_e32 v3, v3, v7
	ds_bpermute_b32 v7, v12, v4
	v_addc_co_u32_e64 v14, vcc, 0, v14, s[0:1]
	v_add_co_u32_e32 v15, vcc, s2, v24
	s_waitcnt lgkmcnt(0)
	v_max_f32_e32 v7, v7, v7
	v_max_f32_e32 v4, v4, v7
	ds_bpermute_b32 v8, v74, v4
	ds_bpermute_b32 v7, v74, v3
	v_addc_co_u32_e32 v16, vcc, v16, v25, vcc
	v_add_co_u32_e32 v15, vcc, v15, v48
	s_waitcnt lgkmcnt(1)
	v_max_f32_e32 v8, v8, v8
	v_max_f32_e32 v4, v4, v8
	v_sub_f32_e32 v8, v64, v1
	s_waitcnt lgkmcnt(0)
	v_max_f32_e32 v7, v7, v7
	v_mul_f32_e32 v64, 0x3fb8aa3b, v8
	v_max_f32_e32 v3, v3, v7
	v_sub_f32_e32 v7, v73, v1
	v_sub_f32_e32 v12, v67, v2
	v_mul_f32_e32 v67, 0x3fb8aa3b, v11
	v_fma_f32 v73, v8, s67, -v64
	v_addc_co_u32_e32 v16, vcc, 0, v16, vcc
	v_mul_f32_e32 v68, 0x3fb8aa3b, v7
	v_cmp_ngt_f32_e64 s[50:51], s72, v8
	v_cmp_nlt_f32_e64 s[2:3], s73, v8
	v_fmac_f32_e32 v73, 0x32a5705f, v8
	v_fma_f32 v8, v11, s67, -v67
	v_cmp_ngt_f32_e64 s[10:11], s72, v11
	v_cmp_nlt_f32_e32 vcc, s73, v11
	v_fmac_f32_e32 v8, 0x32a5705f, v11
	v_fma_f32 v11, v7, s67, -v68
	v_cmp_ngt_f32_e64 s[12:13], s72, v7
	v_cmp_nlt_f32_e64 s[0:1], s73, v7
	v_fmac_f32_e32 v11, 0x32a5705f, v7
	v_mul_f32_e32 v7, 0x3fb8aa3b, v12
	v_fma_f32 v74, v12, s67, -v7
	v_cmp_ngt_f32_e64 s[18:19], s72, v12
	v_cmp_nlt_f32_e64 s[8:9], s73, v12
	v_fmac_f32_e32 v74, 0x32a5705f, v12
	v_sub_f32_e32 v12, v71, v2
	v_mul_f32_e32 v71, 0x3fb8aa3b, v12
	v_fma_f32 v77, v12, s67, -v71
	v_cmp_ngt_f32_e64 s[22:23], s72, v12
	v_cmp_nlt_f32_e64 s[14:15], s73, v12
	v_fmac_f32_e32 v77, 0x32a5705f, v12
	v_sub_f32_e32 v12, v72, v2
	;; [unrolled: 6-line block ×8, first 2 shown]
	v_mul_f32_e32 v76, 0x3fb8aa3b, v12
	v_fma_f32 v85, v12, s67, -v76
	v_rndne_f32_e32 v86, v64
	v_cmp_ngt_f32_e64 s[48:49], s72, v12
	v_cmp_nlt_f32_e64 s[42:43], s73, v12
	v_fmac_f32_e32 v85, 0x32a5705f, v12
	v_sub_f32_e32 v12, v64, v86
	v_rndne_f32_e32 v87, v67
	v_rndne_f32_e32 v89, v7
	v_add_f32_e32 v73, v12, v73
	v_sub_f32_e32 v12, v67, v87
	v_rndne_f32_e32 v88, v68
	v_sub_f32_e32 v7, v7, v89
	v_rndne_f32_e32 v90, v71
	v_add_f32_e32 v67, v12, v8
	v_sub_f32_e32 v8, v68, v88
	v_add_f32_e32 v74, v7, v74
	v_sub_f32_e32 v7, v71, v90
	v_rndne_f32_e32 v91, v72
	v_rndne_f32_e32 v70, v66
	v_add_f32_e32 v68, v8, v11
	v_add_f32_e32 v77, v7, v77
	v_sub_f32_e32 v7, v72, v91
	v_rndne_f32_e32 v92, v65
	v_sub_f32_e32 v11, v66, v70
	v_rndne_f32_e32 v12, v83
	v_add_f32_e32 v78, v7, v78
	v_sub_f32_e32 v7, v65, v92
	v_add_f32_e32 v71, v11, v82
	v_sub_f32_e32 v11, v83, v12
	v_rndne_f32_e32 v65, v76
	v_rndne_f32_e32 v93, v69
	v_add_f32_e32 v64, v11, v84
	v_sub_f32_e32 v11, v76, v65
	v_add_f32_e32 v79, v7, v79
	v_sub_f32_e32 v7, v69, v93
	v_add_f32_e32 v66, v11, v85
	v_cvt_i32_f32_e32 v11, v86
	v_exp_f32_e32 v69, v73
	v_exp_f32_e32 v67, v67
	;; [unrolled: 1-line block ×4, first 2 shown]
	v_ldexp_f32 v11, v69, v11
	v_cvt_i32_f32_e32 v69, v87
	v_exp_f32_e32 v73, v77
	v_exp_f32_e32 v74, v78
	v_add_f32_e32 v80, v7, v80
	v_ldexp_f32 v67, v67, v69
	v_cvt_i32_f32_e32 v69, v88
	v_rndne_f32_e32 v7, v75
	v_sub_f32_e32 v8, v75, v7
	v_exp_f32_e32 v75, v79
	v_ldexp_f32 v68, v68, v69
	v_cvt_i32_f32_e32 v69, v89
	v_add_f32_e32 v8, v8, v81
	v_cvt_i32_f32_e32 v12, v12
	v_exp_f32_e32 v64, v64
	v_ldexp_f32 v69, v72, v69
	v_cvt_i32_f32_e32 v72, v90
	v_exp_f32_e32 v76, v80
	v_cvt_i32_f32_e32 v7, v7
	v_exp_f32_e32 v8, v8
	v_ldexp_f32 v72, v73, v72
	v_cvt_i32_f32_e32 v73, v91
	v_ldexp_f32 v12, v64, v12
	v_cndmask_b32_e64 v11, 0, v11, s[50:51]
	v_cndmask_b32_e64 v12, 0, v12, s[46:47]
	v_ldexp_f32 v73, v74, v73
	v_cvt_i32_f32_e32 v74, v92
	v_mov_b32_e32 v77, v52
	v_cvt_i32_f32_e32 v52, v70
	v_cndmask_b32_e64 v64, v46, v11, s[2:3]
	v_ldexp_f32 v74, v75, v74
	v_cvt_i32_f32_e32 v75, v93
	v_cndmask_b32_e64 v70, 0, v74, s[30:31]
	v_cndmask_b32_e64 v74, v46, v12, s[38:39]
	global_load_dwordx4 v[9:12], v[9:10], off
	v_ldexp_f32 v75, v76, v75
	v_mov_b32_e32 v76, v54
	v_mov_b32_e32 v54, v55
	v_ldexp_f32 v55, v8, v7
	global_load_dwordx4 v[5:8], v[5:6], off
	v_mov_b32_e32 v78, v53
	v_exp_f32_e32 v53, v71
	v_cndmask_b32_e64 v71, 0, v75, s[36:37]
	v_cndmask_b32_e64 v55, 0, v55, s[40:41]
	;; [unrolled: 1-line block ×3, first 2 shown]
	v_ldexp_f32 v52, v53, v52
	v_cvt_i32_f32_e32 v53, v65
	v_exp_f32_e32 v65, v66
	v_cndmask_b32_e64 v66, 0, v68, s[12:13]
	v_cndmask_b32_e64 v68, 0, v72, s[22:23]
	;; [unrolled: 1-line block ×3, first 2 shown]
	v_ldexp_f32 v53, v65, v53
	v_cndmask_b32_e64 v65, 0, v67, s[10:11]
	v_cndmask_b32_e64 v67, 0, v69, s[18:19]
	v_cndmask_b32_e32 v65, v46, v65, vcc
	v_cndmask_b32_e64 v69, 0, v73, s[26:27]
	v_cndmask_b32_e64 v53, 0, v53, s[48:49]
	;; [unrolled: 1-line block ×7, first 2 shown]
	v_add_f32_e32 v55, v64, v65
	v_cndmask_b32_e64 v69, v46, v69, s[16:17]
	v_cndmask_b32_e64 v73, v46, v52, s[34:35]
	;; [unrolled: 1-line block ×3, first 2 shown]
	v_add_f32_e32 v53, v67, v68
	v_fmac_f32_e32 v55, v54, v66
	v_add_f32_e32 v54, v70, v71
	v_fmac_f32_e32 v53, v78, v69
	v_add_f32_e32 v52, v73, v74
	v_fmac_f32_e32 v54, v76, v72
	v_cvt_f16_f32_e32 v64, v64
	v_cvt_f16_f32_e32 v76, v65
	;; [unrolled: 1-line block ×11, first 2 shown]
	v_fmac_f32_e32 v52, v77, v75
	v_cvt_f16_f32_e32 v74, v75
	v_mul_u32_u24_e32 v75, 0x10001, v65
	v_mul_u32_u24_e32 v77, 0x10001, v67
	v_pack_b32_f16 v65, v69, v72
	v_pack_b32_f16 v64, v64, v66
	;; [unrolled: 1-line block ×4, first 2 shown]
	ds_write2_b64 v47, v[64:65], v[66:67] offset1:32
	s_waitcnt vmcnt(0)
	ds_write_b128 v42, v[5:8]
	ds_write_b128 v43, v[9:12]
	s_waitcnt lgkmcnt(0)
	s_barrier
	ds_read_b128 v[5:8], v41
	ds_read2_b64 v[9:12], v29 offset1:32
	v_mul_u32_u24_e32 v74, 0x10001, v74
	v_mul_u32_u24_e32 v71, 0x10001, v71
	v_pk_mul_f16 v63, v63, v75
	v_pk_mul_f16 v68, v61, v77
	;; [unrolled: 1-line block ×4, first 2 shown]
	s_waitcnt lgkmcnt(1)
	v_mul_u32_u24_sdwa v61, v5, s74 dst_sel:DWORD dst_unused:UNUSED_PAD src0_sel:WORD_0 src1_sel:DWORD
	v_mul_u32_u24_sdwa v65, v5, s74 dst_sel:DWORD dst_unused:UNUSED_PAD src0_sel:WORD_1 src1_sel:DWORD
	v_mul_u32_u24_sdwa v66, v6, s74 dst_sel:DWORD dst_unused:UNUSED_PAD src0_sel:WORD_0 src1_sel:DWORD
	v_mul_u32_u24_sdwa v64, v6, s74 dst_sel:DWORD dst_unused:UNUSED_PAD src0_sel:WORD_1 src1_sel:DWORD
	v_pk_mul_f16 v59, v59, v71
	v_mul_u32_u24_sdwa v67, v7, s74 dst_sel:DWORD dst_unused:UNUSED_PAD src0_sel:WORD_0 src1_sel:DWORD
	v_mul_u32_u24_sdwa v69, v7, s74 dst_sel:DWORD dst_unused:UNUSED_PAD src0_sel:WORD_1 src1_sel:DWORD
	v_mul_u32_u24_sdwa v70, v8, s74 dst_sel:DWORD dst_unused:UNUSED_PAD src0_sel:WORD_0 src1_sel:DWORD
	v_mul_u32_u24_sdwa v72, v8, s74 dst_sel:DWORD dst_unused:UNUSED_PAD src0_sel:WORD_1 src1_sel:DWORD
	ds_read_b128 v[5:8], v41 offset:16
	s_waitcnt lgkmcnt(1)
	v_pk_fma_f16 v73, v10, v61, v63
	v_pk_mul_f16 v61, v9, v61
	v_pk_fma_f16 v74, v9, v64, v57
	v_pk_fma_f16 v76, v10, v64, v56
	v_pk_mul_f16 v56, v9, v65
	v_pk_mul_f16 v9, v9, v66
	v_pk_fma_f16 v68, v10, v65, v68
	v_pk_fma_f16 v10, v10, v66, v59
	;; [unrolled: 1-line block ×4, first 2 shown]
	ds_read2_b64 v[56:59], v29 offset0:64 offset1:96
	v_pk_fma_f16 v75, v62, v75, v61
	ds_read_b128 v[61:64], v41 offset:32
	v_pk_fma_f16 v65, v11, v72, v74
	v_pk_fma_f16 v66, v12, v72, v76
	s_waitcnt lgkmcnt(2)
	v_mul_u32_u24_sdwa v71, v5, s74 dst_sel:DWORD dst_unused:UNUSED_PAD src0_sel:WORD_0 src1_sel:DWORD
	v_pk_fma_f16 v72, v12, v67, v73
	v_pk_fma_f16 v67, v11, v67, v75
	v_mul_u32_u24_sdwa v73, v5, s74 dst_sel:DWORD dst_unused:UNUSED_PAD src0_sel:WORD_1 src1_sel:DWORD
	v_pk_fma_f16 v68, v12, v69, v68
	v_pk_fma_f16 v60, v11, v69, v60
	v_mul_u32_u24_sdwa v69, v6, s74 dst_sel:DWORD dst_unused:UNUSED_PAD src0_sel:WORD_0 src1_sel:DWORD
	v_pk_fma_f16 v10, v12, v70, v10
	v_pk_fma_f16 v9, v11, v70, v9
	v_mul_u32_u24_sdwa v11, v6, s74 dst_sel:DWORD dst_unused:UNUSED_PAD src0_sel:WORD_1 src1_sel:DWORD
	s_waitcnt lgkmcnt(1)
	v_pk_fma_f16 v65, v56, v11, v65
	v_pk_fma_f16 v66, v57, v11, v66
	;; [unrolled: 1-line block ×8, first 2 shown]
	ds_read2_b64 v[9:12], v29 offset0:128 offset1:160
	v_mul_u32_u24_sdwa v70, v7, s74 dst_sel:DWORD dst_unused:UNUSED_PAD src0_sel:WORD_0 src1_sel:DWORD
	v_mul_u32_u24_sdwa v74, v7, s74 dst_sel:DWORD dst_unused:UNUSED_PAD src0_sel:WORD_1 src1_sel:DWORD
	v_mul_u32_u24_sdwa v75, v8, s74 dst_sel:DWORD dst_unused:UNUSED_PAD src0_sel:WORD_0 src1_sel:DWORD
	v_mul_u32_u24_sdwa v76, v8, s74 dst_sel:DWORD dst_unused:UNUSED_PAD src0_sel:WORD_1 src1_sel:DWORD
	ds_read_b128 v[5:8], v41 offset:48
	v_pk_fma_f16 v65, v58, v76, v65
	v_pk_fma_f16 v66, v59, v76, v66
	;; [unrolled: 1-line block ×8, first 2 shown]
	ds_read2_b64 v[56:59], v29 offset0:192 offset1:224
	s_waitcnt lgkmcnt(3)
	v_mul_u32_u24_sdwa v69, v61, s74 dst_sel:DWORD dst_unused:UNUSED_PAD src0_sel:WORD_0 src1_sel:DWORD
	v_mul_u32_u24_sdwa v61, v61, s74 dst_sel:DWORD dst_unused:UNUSED_PAD src0_sel:WORD_1 src1_sel:DWORD
	v_mul_u32_u24_sdwa v70, v62, s74 dst_sel:DWORD dst_unused:UNUSED_PAD src0_sel:WORD_0 src1_sel:DWORD
	v_mul_u32_u24_sdwa v62, v62, s74 dst_sel:DWORD dst_unused:UNUSED_PAD src0_sel:WORD_1 src1_sel:DWORD
	;; [unrolled: 2-line block ×4, first 2 shown]
	s_waitcnt lgkmcnt(2)
	v_pk_fma_f16 v65, v9, v62, v65
	v_pk_fma_f16 v66, v10, v62, v66
	;; [unrolled: 1-line block ×8, first 2 shown]
	ds_read_b128 v[60:63], v41 offset:64
	v_pk_fma_f16 v65, v11, v64, v65
	v_pk_fma_f16 v64, v12, v64, v66
	s_waitcnt lgkmcnt(2)
	v_mul_u32_u24_sdwa v66, v5, s74 dst_sel:DWORD dst_unused:UNUSED_PAD src0_sel:WORD_0 src1_sel:DWORD
	v_pk_fma_f16 v70, v12, v74, v71
	v_pk_fma_f16 v67, v11, v74, v67
	v_mul_u32_u24_sdwa v71, v5, s74 dst_sel:DWORD dst_unused:UNUSED_PAD src0_sel:WORD_1 src1_sel:DWORD
	v_pk_fma_f16 v68, v12, v75, v68
	v_pk_fma_f16 v69, v11, v75, v69
	v_mul_u32_u24_sdwa v72, v6, s74 dst_sel:DWORD dst_unused:UNUSED_PAD src0_sel:WORD_0 src1_sel:DWORD
	v_pk_fma_f16 v10, v12, v76, v10
	v_pk_fma_f16 v9, v11, v76, v9
	v_mul_u32_u24_sdwa v11, v6, s74 dst_sel:DWORD dst_unused:UNUSED_PAD src0_sel:WORD_1 src1_sel:DWORD
	s_waitcnt lgkmcnt(1)
	v_pk_fma_f16 v65, v56, v11, v65
	v_pk_fma_f16 v64, v57, v11, v64
	;; [unrolled: 1-line block ×8, first 2 shown]
	ds_read2_b64 v[9:12], v49 offset1:32
	v_mul_u32_u24_sdwa v73, v7, s74 dst_sel:DWORD dst_unused:UNUSED_PAD src0_sel:WORD_0 src1_sel:DWORD
	v_mul_u32_u24_sdwa v74, v7, s74 dst_sel:DWORD dst_unused:UNUSED_PAD src0_sel:WORD_1 src1_sel:DWORD
	v_mul_u32_u24_sdwa v75, v8, s74 dst_sel:DWORD dst_unused:UNUSED_PAD src0_sel:WORD_0 src1_sel:DWORD
	v_mul_u32_u24_sdwa v76, v8, s74 dst_sel:DWORD dst_unused:UNUSED_PAD src0_sel:WORD_1 src1_sel:DWORD
	ds_read_b128 v[5:8], v41 offset:80
	v_pk_fma_f16 v65, v58, v76, v65
	v_pk_fma_f16 v64, v59, v76, v64
	;; [unrolled: 1-line block ×8, first 2 shown]
	ds_read2_b64 v[56:59], v49 offset0:64 offset1:96
	s_waitcnt lgkmcnt(3)
	v_mul_u32_u24_sdwa v69, v60, s74 dst_sel:DWORD dst_unused:UNUSED_PAD src0_sel:WORD_0 src1_sel:DWORD
	v_mul_u32_u24_sdwa v60, v60, s74 dst_sel:DWORD dst_unused:UNUSED_PAD src0_sel:WORD_1 src1_sel:DWORD
	v_mul_u32_u24_sdwa v71, v61, s74 dst_sel:DWORD dst_unused:UNUSED_PAD src0_sel:WORD_0 src1_sel:DWORD
	v_mul_u32_u24_sdwa v61, v61, s74 dst_sel:DWORD dst_unused:UNUSED_PAD src0_sel:WORD_1 src1_sel:DWORD
	;; [unrolled: 2-line block ×4, first 2 shown]
	s_waitcnt lgkmcnt(2)
	v_pk_fma_f16 v65, v9, v61, v65
	v_pk_fma_f16 v64, v10, v61, v64
	v_pk_fma_f16 v70, v10, v69, v70
	v_pk_fma_f16 v68, v10, v60, v68
	v_pk_fma_f16 v10, v10, v71, v72
	v_pk_fma_f16 v66, v9, v69, v66
	v_pk_fma_f16 v67, v9, v60, v67
	v_pk_fma_f16 v9, v9, v71, v73
	ds_read_b128 v[60:63], v41 offset:96
	v_pk_fma_f16 v65, v11, v77, v65
	v_pk_fma_f16 v64, v12, v77, v64
	s_waitcnt lgkmcnt(2)
	v_mul_u32_u24_sdwa v69, v5, s74 dst_sel:DWORD dst_unused:UNUSED_PAD src0_sel:WORD_0 src1_sel:DWORD
	v_pk_fma_f16 v70, v12, v74, v70
	v_pk_fma_f16 v66, v11, v74, v66
	v_mul_u32_u24_sdwa v71, v5, s74 dst_sel:DWORD dst_unused:UNUSED_PAD src0_sel:WORD_1 src1_sel:DWORD
	v_pk_fma_f16 v68, v12, v75, v68
	v_pk_fma_f16 v67, v11, v75, v67
	v_mul_u32_u24_sdwa v72, v6, s74 dst_sel:DWORD dst_unused:UNUSED_PAD src0_sel:WORD_0 src1_sel:DWORD
	v_pk_fma_f16 v10, v12, v76, v10
	v_pk_fma_f16 v9, v11, v76, v9
	v_mul_u32_u24_sdwa v11, v6, s74 dst_sel:DWORD dst_unused:UNUSED_PAD src0_sel:WORD_1 src1_sel:DWORD
	s_waitcnt lgkmcnt(1)
	v_pk_fma_f16 v65, v56, v11, v65
	v_pk_fma_f16 v64, v57, v11, v64
	;; [unrolled: 1-line block ×8, first 2 shown]
	ds_read2_b64 v[9:12], v49 offset0:128 offset1:160
	v_mul_u32_u24_sdwa v73, v7, s74 dst_sel:DWORD dst_unused:UNUSED_PAD src0_sel:WORD_0 src1_sel:DWORD
	v_mul_u32_u24_sdwa v74, v7, s74 dst_sel:DWORD dst_unused:UNUSED_PAD src0_sel:WORD_1 src1_sel:DWORD
	v_mul_u32_u24_sdwa v75, v8, s74 dst_sel:DWORD dst_unused:UNUSED_PAD src0_sel:WORD_0 src1_sel:DWORD
	v_mul_u32_u24_sdwa v76, v8, s74 dst_sel:DWORD dst_unused:UNUSED_PAD src0_sel:WORD_1 src1_sel:DWORD
	ds_read_b128 v[5:8], v41 offset:112
	v_pk_fma_f16 v65, v58, v76, v65
	v_pk_fma_f16 v64, v59, v76, v64
	;; [unrolled: 1-line block ×8, first 2 shown]
	ds_read2_b64 v[56:59], v49 offset0:192 offset1:224
	s_waitcnt lgkmcnt(3)
	v_mul_u32_u24_sdwa v69, v60, s74 dst_sel:DWORD dst_unused:UNUSED_PAD src0_sel:WORD_0 src1_sel:DWORD
	v_mul_u32_u24_sdwa v60, v60, s74 dst_sel:DWORD dst_unused:UNUSED_PAD src0_sel:WORD_1 src1_sel:DWORD
	v_mul_u32_u24_sdwa v71, v61, s74 dst_sel:DWORD dst_unused:UNUSED_PAD src0_sel:WORD_0 src1_sel:DWORD
	v_mul_u32_u24_sdwa v61, v61, s74 dst_sel:DWORD dst_unused:UNUSED_PAD src0_sel:WORD_1 src1_sel:DWORD
	;; [unrolled: 2-line block ×4, first 2 shown]
	s_waitcnt lgkmcnt(2)
	v_pk_fma_f16 v65, v9, v61, v65
	v_pk_fma_f16 v64, v10, v61, v64
	;; [unrolled: 1-line block ×8, first 2 shown]
	ds_read_b128 v[60:63], v41 offset:128
	v_pk_fma_f16 v65, v11, v77, v65
	v_pk_fma_f16 v64, v12, v77, v64
	s_waitcnt lgkmcnt(2)
	v_mul_u32_u24_sdwa v69, v5, s74 dst_sel:DWORD dst_unused:UNUSED_PAD src0_sel:WORD_0 src1_sel:DWORD
	v_pk_fma_f16 v70, v12, v74, v70
	v_pk_fma_f16 v66, v11, v74, v66
	v_mul_u32_u24_sdwa v71, v5, s74 dst_sel:DWORD dst_unused:UNUSED_PAD src0_sel:WORD_1 src1_sel:DWORD
	v_pk_fma_f16 v68, v12, v75, v68
	v_pk_fma_f16 v67, v11, v75, v67
	v_mul_u32_u24_sdwa v72, v6, s74 dst_sel:DWORD dst_unused:UNUSED_PAD src0_sel:WORD_0 src1_sel:DWORD
	v_pk_fma_f16 v10, v12, v76, v10
	v_pk_fma_f16 v9, v11, v76, v9
	v_mul_u32_u24_sdwa v11, v6, s74 dst_sel:DWORD dst_unused:UNUSED_PAD src0_sel:WORD_1 src1_sel:DWORD
	s_waitcnt lgkmcnt(1)
	v_pk_fma_f16 v65, v56, v11, v65
	v_pk_fma_f16 v64, v57, v11, v64
	;; [unrolled: 1-line block ×8, first 2 shown]
	ds_read2_b64 v[9:12], v50 offset1:32
	v_mul_u32_u24_sdwa v73, v7, s74 dst_sel:DWORD dst_unused:UNUSED_PAD src0_sel:WORD_0 src1_sel:DWORD
	v_mul_u32_u24_sdwa v74, v7, s74 dst_sel:DWORD dst_unused:UNUSED_PAD src0_sel:WORD_1 src1_sel:DWORD
	v_mul_u32_u24_sdwa v75, v8, s74 dst_sel:DWORD dst_unused:UNUSED_PAD src0_sel:WORD_0 src1_sel:DWORD
	v_mul_u32_u24_sdwa v76, v8, s74 dst_sel:DWORD dst_unused:UNUSED_PAD src0_sel:WORD_1 src1_sel:DWORD
	ds_read_b128 v[5:8], v41 offset:144
	v_pk_fma_f16 v65, v58, v76, v65
	v_pk_fma_f16 v64, v59, v76, v64
	;; [unrolled: 1-line block ×8, first 2 shown]
	ds_read2_b64 v[56:59], v50 offset0:64 offset1:96
	s_waitcnt lgkmcnt(3)
	v_mul_u32_u24_sdwa v69, v60, s74 dst_sel:DWORD dst_unused:UNUSED_PAD src0_sel:WORD_0 src1_sel:DWORD
	v_mul_u32_u24_sdwa v60, v60, s74 dst_sel:DWORD dst_unused:UNUSED_PAD src0_sel:WORD_1 src1_sel:DWORD
	v_mul_u32_u24_sdwa v71, v61, s74 dst_sel:DWORD dst_unused:UNUSED_PAD src0_sel:WORD_0 src1_sel:DWORD
	v_mul_u32_u24_sdwa v61, v61, s74 dst_sel:DWORD dst_unused:UNUSED_PAD src0_sel:WORD_1 src1_sel:DWORD
	v_mul_u32_u24_sdwa v74, v62, s74 dst_sel:DWORD dst_unused:UNUSED_PAD src0_sel:WORD_0 src1_sel:DWORD
	v_mul_u32_u24_sdwa v75, v62, s74 dst_sel:DWORD dst_unused:UNUSED_PAD src0_sel:WORD_1 src1_sel:DWORD
	v_mul_u32_u24_sdwa v76, v63, s74 dst_sel:DWORD dst_unused:UNUSED_PAD src0_sel:WORD_0 src1_sel:DWORD
	v_mul_u32_u24_sdwa v77, v63, s74 dst_sel:DWORD dst_unused:UNUSED_PAD src0_sel:WORD_1 src1_sel:DWORD
	s_waitcnt lgkmcnt(2)
	v_pk_fma_f16 v65, v9, v61, v65
	v_pk_fma_f16 v64, v10, v61, v64
	;; [unrolled: 1-line block ×8, first 2 shown]
	ds_read_b128 v[60:63], v41 offset:160
	v_pk_fma_f16 v65, v11, v77, v65
	v_pk_fma_f16 v64, v12, v77, v64
	s_waitcnt lgkmcnt(2)
	v_mul_u32_u24_sdwa v69, v5, s74 dst_sel:DWORD dst_unused:UNUSED_PAD src0_sel:WORD_0 src1_sel:DWORD
	v_pk_fma_f16 v70, v12, v74, v70
	v_pk_fma_f16 v66, v11, v74, v66
	v_mul_u32_u24_sdwa v71, v5, s74 dst_sel:DWORD dst_unused:UNUSED_PAD src0_sel:WORD_1 src1_sel:DWORD
	v_pk_fma_f16 v68, v12, v75, v68
	v_pk_fma_f16 v67, v11, v75, v67
	v_mul_u32_u24_sdwa v72, v6, s74 dst_sel:DWORD dst_unused:UNUSED_PAD src0_sel:WORD_0 src1_sel:DWORD
	v_pk_fma_f16 v10, v12, v76, v10
	v_pk_fma_f16 v9, v11, v76, v9
	v_mul_u32_u24_sdwa v11, v6, s74 dst_sel:DWORD dst_unused:UNUSED_PAD src0_sel:WORD_1 src1_sel:DWORD
	s_waitcnt lgkmcnt(1)
	v_pk_fma_f16 v65, v56, v11, v65
	v_pk_fma_f16 v64, v57, v11, v64
	;; [unrolled: 1-line block ×8, first 2 shown]
	ds_read2_b64 v[9:12], v50 offset0:128 offset1:160
	v_mul_u32_u24_sdwa v73, v7, s74 dst_sel:DWORD dst_unused:UNUSED_PAD src0_sel:WORD_0 src1_sel:DWORD
	v_mul_u32_u24_sdwa v74, v7, s74 dst_sel:DWORD dst_unused:UNUSED_PAD src0_sel:WORD_1 src1_sel:DWORD
	v_mul_u32_u24_sdwa v75, v8, s74 dst_sel:DWORD dst_unused:UNUSED_PAD src0_sel:WORD_0 src1_sel:DWORD
	v_mul_u32_u24_sdwa v76, v8, s74 dst_sel:DWORD dst_unused:UNUSED_PAD src0_sel:WORD_1 src1_sel:DWORD
	ds_read_b128 v[5:8], v41 offset:176
	v_pk_fma_f16 v65, v58, v76, v65
	v_pk_fma_f16 v64, v59, v76, v64
	;; [unrolled: 1-line block ×8, first 2 shown]
	ds_read2_b64 v[56:59], v50 offset0:192 offset1:224
	s_waitcnt lgkmcnt(3)
	v_mul_u32_u24_sdwa v69, v60, s74 dst_sel:DWORD dst_unused:UNUSED_PAD src0_sel:WORD_0 src1_sel:DWORD
	v_mul_u32_u24_sdwa v60, v60, s74 dst_sel:DWORD dst_unused:UNUSED_PAD src0_sel:WORD_1 src1_sel:DWORD
	v_mul_u32_u24_sdwa v71, v61, s74 dst_sel:DWORD dst_unused:UNUSED_PAD src0_sel:WORD_0 src1_sel:DWORD
	v_mul_u32_u24_sdwa v61, v61, s74 dst_sel:DWORD dst_unused:UNUSED_PAD src0_sel:WORD_1 src1_sel:DWORD
	;; [unrolled: 2-line block ×4, first 2 shown]
	s_waitcnt lgkmcnt(2)
	v_pk_fma_f16 v65, v9, v61, v65
	v_pk_fma_f16 v64, v10, v61, v64
	;; [unrolled: 1-line block ×8, first 2 shown]
	ds_read_b128 v[60:63], v41 offset:192
	v_pk_fma_f16 v65, v11, v77, v65
	v_pk_fma_f16 v64, v12, v77, v64
	s_waitcnt lgkmcnt(2)
	v_mul_u32_u24_sdwa v69, v5, s74 dst_sel:DWORD dst_unused:UNUSED_PAD src0_sel:WORD_0 src1_sel:DWORD
	v_pk_fma_f16 v70, v12, v74, v70
	v_pk_fma_f16 v66, v11, v74, v66
	v_mul_u32_u24_sdwa v71, v5, s74 dst_sel:DWORD dst_unused:UNUSED_PAD src0_sel:WORD_1 src1_sel:DWORD
	v_pk_fma_f16 v68, v12, v75, v68
	v_pk_fma_f16 v67, v11, v75, v67
	v_mul_u32_u24_sdwa v72, v6, s74 dst_sel:DWORD dst_unused:UNUSED_PAD src0_sel:WORD_0 src1_sel:DWORD
	v_pk_fma_f16 v10, v12, v76, v10
	v_pk_fma_f16 v9, v11, v76, v9
	v_mul_u32_u24_sdwa v11, v6, s74 dst_sel:DWORD dst_unused:UNUSED_PAD src0_sel:WORD_1 src1_sel:DWORD
	s_waitcnt lgkmcnt(1)
	v_pk_fma_f16 v65, v56, v11, v65
	v_pk_fma_f16 v64, v57, v11, v64
	;; [unrolled: 1-line block ×8, first 2 shown]
	ds_read2_b64 v[9:12], v51 offset1:32
	v_mul_u32_u24_sdwa v73, v7, s74 dst_sel:DWORD dst_unused:UNUSED_PAD src0_sel:WORD_0 src1_sel:DWORD
	v_mul_u32_u24_sdwa v74, v7, s74 dst_sel:DWORD dst_unused:UNUSED_PAD src0_sel:WORD_1 src1_sel:DWORD
	v_mul_u32_u24_sdwa v75, v8, s74 dst_sel:DWORD dst_unused:UNUSED_PAD src0_sel:WORD_0 src1_sel:DWORD
	v_mul_u32_u24_sdwa v76, v8, s74 dst_sel:DWORD dst_unused:UNUSED_PAD src0_sel:WORD_1 src1_sel:DWORD
	ds_read_b128 v[5:8], v41 offset:208
	v_pk_fma_f16 v65, v58, v76, v65
	v_pk_fma_f16 v64, v59, v76, v64
	;; [unrolled: 1-line block ×8, first 2 shown]
	ds_read2_b64 v[56:59], v51 offset0:64 offset1:96
	s_waitcnt lgkmcnt(3)
	v_mul_u32_u24_sdwa v69, v60, s74 dst_sel:DWORD dst_unused:UNUSED_PAD src0_sel:WORD_0 src1_sel:DWORD
	v_mul_u32_u24_sdwa v60, v60, s74 dst_sel:DWORD dst_unused:UNUSED_PAD src0_sel:WORD_1 src1_sel:DWORD
	v_mul_u32_u24_sdwa v71, v61, s74 dst_sel:DWORD dst_unused:UNUSED_PAD src0_sel:WORD_0 src1_sel:DWORD
	v_mul_u32_u24_sdwa v61, v61, s74 dst_sel:DWORD dst_unused:UNUSED_PAD src0_sel:WORD_1 src1_sel:DWORD
	;; [unrolled: 2-line block ×4, first 2 shown]
	s_waitcnt lgkmcnt(2)
	v_pk_fma_f16 v65, v9, v61, v65
	v_pk_fma_f16 v64, v10, v61, v64
	;; [unrolled: 1-line block ×8, first 2 shown]
	ds_read_b128 v[60:63], v41 offset:224
	v_pk_fma_f16 v65, v11, v77, v65
	v_pk_fma_f16 v64, v12, v77, v64
	s_waitcnt lgkmcnt(2)
	v_mul_u32_u24_sdwa v69, v5, s74 dst_sel:DWORD dst_unused:UNUSED_PAD src0_sel:WORD_0 src1_sel:DWORD
	v_pk_fma_f16 v70, v12, v74, v70
	v_pk_fma_f16 v66, v11, v74, v66
	v_mul_u32_u24_sdwa v71, v5, s74 dst_sel:DWORD dst_unused:UNUSED_PAD src0_sel:WORD_1 src1_sel:DWORD
	v_pk_fma_f16 v68, v12, v75, v68
	v_pk_fma_f16 v67, v11, v75, v67
	v_mul_u32_u24_sdwa v72, v6, s74 dst_sel:DWORD dst_unused:UNUSED_PAD src0_sel:WORD_0 src1_sel:DWORD
	v_pk_fma_f16 v10, v12, v76, v10
	v_pk_fma_f16 v9, v11, v76, v9
	v_mul_u32_u24_sdwa v11, v6, s74 dst_sel:DWORD dst_unused:UNUSED_PAD src0_sel:WORD_1 src1_sel:DWORD
	s_waitcnt lgkmcnt(1)
	v_pk_fma_f16 v65, v56, v11, v65
	v_pk_fma_f16 v64, v57, v11, v64
	;; [unrolled: 1-line block ×8, first 2 shown]
	ds_read2_b64 v[9:12], v51 offset0:128 offset1:160
	v_mul_u32_u24_sdwa v76, v8, s74 dst_sel:DWORD dst_unused:UNUSED_PAD src0_sel:WORD_1 src1_sel:DWORD
	v_mul_u32_u24_sdwa v73, v7, s74 dst_sel:DWORD dst_unused:UNUSED_PAD src0_sel:WORD_0 src1_sel:DWORD
	v_mul_u32_u24_sdwa v74, v7, s74 dst_sel:DWORD dst_unused:UNUSED_PAD src0_sel:WORD_1 src1_sel:DWORD
	v_mul_u32_u24_sdwa v75, v8, s74 dst_sel:DWORD dst_unused:UNUSED_PAD src0_sel:WORD_0 src1_sel:DWORD
	v_pk_fma_f16 v65, v58, v76, v65
	v_pk_fma_f16 v64, v59, v76, v64
	s_waitcnt lgkmcnt(1)
	v_mul_u32_u24_sdwa v69, v60, s74 dst_sel:DWORD dst_unused:UNUSED_PAD src0_sel:WORD_0 src1_sel:DWORD
	v_mul_u32_u24_sdwa v71, v60, s74 dst_sel:DWORD dst_unused:UNUSED_PAD src0_sel:WORD_1 src1_sel:DWORD
	v_mul_u32_u24_sdwa v60, v61, s74 dst_sel:DWORD dst_unused:UNUSED_PAD src0_sel:WORD_1 src1_sel:DWORD
	ds_read_b128 v[5:8], v41 offset:240
	v_pk_fma_f16 v70, v59, v73, v70
	v_pk_fma_f16 v66, v58, v73, v66
	;; [unrolled: 1-line block ×4, first 2 shown]
	v_mul_u32_u24_sdwa v72, v61, s74 dst_sel:DWORD dst_unused:UNUSED_PAD src0_sel:WORD_0 src1_sel:DWORD
	v_pk_fma_f16 v73, v59, v75, v57
	v_pk_fma_f16 v74, v58, v75, v56
	v_mul_u32_u24_sdwa v75, v62, s74 dst_sel:DWORD dst_unused:UNUSED_PAD src0_sel:WORD_0 src1_sel:DWORD
	v_mul_u32_u24_sdwa v76, v62, s74 dst_sel:DWORD dst_unused:UNUSED_PAD src0_sel:WORD_1 src1_sel:DWORD
	v_mul_u32_u24_sdwa v77, v63, s74 dst_sel:DWORD dst_unused:UNUSED_PAD src0_sel:WORD_0 src1_sel:DWORD
	v_mul_u32_u24_sdwa v78, v63, s74 dst_sel:DWORD dst_unused:UNUSED_PAD src0_sel:WORD_1 src1_sel:DWORD
	ds_read2_b64 v[56:59], v51 offset0:192 offset1:224
	s_waitcnt lgkmcnt(0)
	s_barrier
	v_pk_fma_f16 v65, v9, v60, v65
	v_pk_fma_f16 v64, v10, v60, v64
	global_load_dwordx4 v[60:63], v[13:14], off
	v_pk_fma_f16 v70, v10, v69, v70
	global_load_dwordx4 v[13:16], v[15:16], off
	v_pk_fma_f16 v66, v9, v69, v66
	v_pk_fma_f16 v68, v10, v71, v68
	v_pk_fma_f16 v10, v10, v72, v73
	v_pk_fma_f16 v67, v9, v71, v67
	v_pk_fma_f16 v9, v9, v72, v74
	v_pk_fma_f16 v65, v11, v78, v65
	v_pk_fma_f16 v64, v12, v78, v64
	v_mul_u32_u24_sdwa v69, v5, s74 dst_sel:DWORD dst_unused:UNUSED_PAD src0_sel:WORD_0 src1_sel:DWORD
	v_pk_fma_f16 v70, v12, v75, v70
	v_pk_fma_f16 v66, v11, v75, v66
	v_mul_u32_u24_sdwa v5, v5, s74 dst_sel:DWORD dst_unused:UNUSED_PAD src0_sel:WORD_1 src1_sel:DWORD
	v_pk_fma_f16 v68, v12, v76, v68
	v_pk_fma_f16 v67, v11, v76, v67
	v_mul_u32_u24_sdwa v71, v6, s74 dst_sel:DWORD dst_unused:UNUSED_PAD src0_sel:WORD_0 src1_sel:DWORD
	v_pk_fma_f16 v10, v12, v77, v10
	v_pk_fma_f16 v9, v11, v77, v9
	v_mul_u32_u24_sdwa v6, v6, s74 dst_sel:DWORD dst_unused:UNUSED_PAD src0_sel:WORD_1 src1_sel:DWORD
	v_mul_u32_u24_sdwa v11, v7, s74 dst_sel:DWORD dst_unused:UNUSED_PAD src0_sel:WORD_0 src1_sel:DWORD
	v_mul_u32_u24_sdwa v7, v7, s74 dst_sel:DWORD dst_unused:UNUSED_PAD src0_sel:WORD_1 src1_sel:DWORD
	v_mul_u32_u24_sdwa v12, v8, s74 dst_sel:DWORD dst_unused:UNUSED_PAD src0_sel:WORD_0 src1_sel:DWORD
	v_mul_u32_u24_sdwa v8, v8, s74 dst_sel:DWORD dst_unused:UNUSED_PAD src0_sel:WORD_1 src1_sel:DWORD
	v_pk_fma_f16 v65, v56, v6, v65
	v_pk_fma_f16 v70, v57, v69, v70
	;; [unrolled: 1-line block ×16, first 2 shown]
	s_waitcnt vmcnt(1)
	ds_write_b128 v42, v[60:63]
	s_waitcnt vmcnt(0)
	ds_write_b128 v43, v[13:16]
	s_waitcnt lgkmcnt(0)
	s_barrier
	ds_read_b128 v[5:8], v41 offset:256
	ds_read_b128 v[9:12], v41 offset:272
	ds_read2_b64 v[13:16], v29 offset1:32
	s_waitcnt lgkmcnt(2)
	v_mul_u32_u24_sdwa v60, v5, s74 dst_sel:DWORD dst_unused:UNUSED_PAD src0_sel:WORD_0 src1_sel:DWORD
	v_mul_u32_u24_sdwa v61, v5, s74 dst_sel:DWORD dst_unused:UNUSED_PAD src0_sel:WORD_1 src1_sel:DWORD
	v_mul_u32_u24_sdwa v62, v6, s74 dst_sel:DWORD dst_unused:UNUSED_PAD src0_sel:WORD_0 src1_sel:DWORD
	v_mul_u32_u24_sdwa v63, v6, s74 dst_sel:DWORD dst_unused:UNUSED_PAD src0_sel:WORD_1 src1_sel:DWORD
	;; [unrolled: 2-line block ×4, first 2 shown]
	ds_read_b128 v[5:8], v41 offset:288
	s_waitcnt lgkmcnt(2)
	v_mul_u32_u24_sdwa v72, v9, s74 dst_sel:DWORD dst_unused:UNUSED_PAD src0_sel:WORD_0 src1_sel:DWORD
	v_mul_u32_u24_sdwa v73, v9, s74 dst_sel:DWORD dst_unused:UNUSED_PAD src0_sel:WORD_1 src1_sel:DWORD
	v_mul_u32_u24_sdwa v74, v10, s74 dst_sel:DWORD dst_unused:UNUSED_PAD src0_sel:WORD_0 src1_sel:DWORD
	v_mul_u32_u24_sdwa v75, v10, s74 dst_sel:DWORD dst_unused:UNUSED_PAD src0_sel:WORD_1 src1_sel:DWORD
	v_mul_u32_u24_sdwa v76, v11, s74 dst_sel:DWORD dst_unused:UNUSED_PAD src0_sel:WORD_0 src1_sel:DWORD
	v_mul_u32_u24_sdwa v77, v11, s74 dst_sel:DWORD dst_unused:UNUSED_PAD src0_sel:WORD_1 src1_sel:DWORD
	v_mul_u32_u24_sdwa v78, v12, s74 dst_sel:DWORD dst_unused:UNUSED_PAD src0_sel:WORD_0 src1_sel:DWORD
	v_mul_u32_u24_sdwa v79, v12, s74 dst_sel:DWORD dst_unused:UNUSED_PAD src0_sel:WORD_1 src1_sel:DWORD
	s_waitcnt lgkmcnt(1)
	v_pk_fma_f16 v57, v13, v60, v57
	v_pk_fma_f16 v60, v14, v60, v64
	;; [unrolled: 1-line block ×6, first 2 shown]
	ds_read2_b64 v[9:12], v29 offset0:64 offset1:96
	v_pk_fma_f16 v61, v14, v62, v66
	v_pk_fma_f16 v14, v14, v63, v59
	v_pk_fma_f16 v57, v15, v68, v57
	v_pk_fma_f16 v59, v16, v68, v60
	s_waitcnt lgkmcnt(1)
	v_mul_u32_u24_sdwa v60, v5, s74 dst_sel:DWORD dst_unused:UNUSED_PAD src0_sel:WORD_0 src1_sel:DWORD
	v_pk_fma_f16 v62, v15, v69, v64
	v_pk_fma_f16 v56, v16, v69, v56
	v_mul_u32_u24_sdwa v63, v5, s74 dst_sel:DWORD dst_unused:UNUSED_PAD src0_sel:WORD_1 src1_sel:DWORD
	v_mul_u32_u24_sdwa v64, v6, s74 dst_sel:DWORD dst_unused:UNUSED_PAD src0_sel:WORD_0 src1_sel:DWORD
	v_mul_u32_u24_sdwa v65, v6, s74 dst_sel:DWORD dst_unused:UNUSED_PAD src0_sel:WORD_1 src1_sel:DWORD
	v_mul_u32_u24_sdwa v66, v7, s74 dst_sel:DWORD dst_unused:UNUSED_PAD src0_sel:WORD_0 src1_sel:DWORD
	;; [unrolled: 2-line block ×3, first 2 shown]
	v_mul_u32_u24_sdwa v69, v8, s74 dst_sel:DWORD dst_unused:UNUSED_PAD src0_sel:WORD_1 src1_sel:DWORD
	ds_read_b128 v[5:8], v41 offset:304
	v_pk_fma_f16 v58, v15, v70, v58
	v_pk_fma_f16 v61, v16, v70, v61
	;; [unrolled: 1-line block ×4, first 2 shown]
	s_waitcnt lgkmcnt(1)
	v_pk_fma_f16 v57, v9, v72, v57
	v_pk_fma_f16 v59, v10, v72, v59
	;; [unrolled: 1-line block ×8, first 2 shown]
	ds_read2_b64 v[13:16], v29 offset0:128 offset1:160
	v_pk_fma_f16 v57, v11, v76, v57
	v_pk_fma_f16 v59, v12, v76, v59
	s_waitcnt lgkmcnt(1)
	v_mul_u32_u24_sdwa v70, v5, s74 dst_sel:DWORD dst_unused:UNUSED_PAD src0_sel:WORD_0 src1_sel:DWORD
	v_pk_fma_f16 v62, v11, v77, v62
	v_pk_fma_f16 v56, v12, v77, v56
	v_mul_u32_u24_sdwa v71, v5, s74 dst_sel:DWORD dst_unused:UNUSED_PAD src0_sel:WORD_1 src1_sel:DWORD
	v_mul_u32_u24_sdwa v72, v6, s74 dst_sel:DWORD dst_unused:UNUSED_PAD src0_sel:WORD_0 src1_sel:DWORD
	v_mul_u32_u24_sdwa v73, v6, s74 dst_sel:DWORD dst_unused:UNUSED_PAD src0_sel:WORD_1 src1_sel:DWORD
	v_mul_u32_u24_sdwa v74, v7, s74 dst_sel:DWORD dst_unused:UNUSED_PAD src0_sel:WORD_0 src1_sel:DWORD
	;; [unrolled: 2-line block ×3, first 2 shown]
	v_mul_u32_u24_sdwa v77, v8, s74 dst_sel:DWORD dst_unused:UNUSED_PAD src0_sel:WORD_1 src1_sel:DWORD
	ds_read_b128 v[5:8], v41 offset:320
	v_pk_fma_f16 v58, v11, v78, v58
	v_pk_fma_f16 v61, v12, v78, v61
	;; [unrolled: 1-line block ×4, first 2 shown]
	s_waitcnt lgkmcnt(1)
	v_pk_fma_f16 v57, v13, v60, v57
	v_pk_fma_f16 v59, v14, v60, v59
	;; [unrolled: 1-line block ×8, first 2 shown]
	ds_read2_b64 v[9:12], v29 offset0:192 offset1:224
	v_pk_fma_f16 v57, v15, v66, v57
	v_pk_fma_f16 v59, v16, v66, v59
	s_waitcnt lgkmcnt(1)
	v_mul_u32_u24_sdwa v62, v5, s74 dst_sel:DWORD dst_unused:UNUSED_PAD src0_sel:WORD_0 src1_sel:DWORD
	v_pk_fma_f16 v60, v15, v67, v60
	v_pk_fma_f16 v56, v16, v67, v56
	v_mul_u32_u24_sdwa v63, v5, s74 dst_sel:DWORD dst_unused:UNUSED_PAD src0_sel:WORD_1 src1_sel:DWORD
	v_pk_fma_f16 v58, v15, v68, v58
	v_pk_fma_f16 v61, v16, v68, v61
	v_mul_u32_u24_sdwa v64, v6, s74 dst_sel:DWORD dst_unused:UNUSED_PAD src0_sel:WORD_0 src1_sel:DWORD
	v_pk_fma_f16 v13, v15, v69, v13
	v_pk_fma_f16 v14, v16, v69, v14
	v_mul_u32_u24_sdwa v65, v6, s74 dst_sel:DWORD dst_unused:UNUSED_PAD src0_sel:WORD_1 src1_sel:DWORD
	v_mul_u32_u24_sdwa v66, v7, s74 dst_sel:DWORD dst_unused:UNUSED_PAD src0_sel:WORD_0 src1_sel:DWORD
	v_mul_u32_u24_sdwa v67, v7, s74 dst_sel:DWORD dst_unused:UNUSED_PAD src0_sel:WORD_1 src1_sel:DWORD
	v_mul_u32_u24_sdwa v68, v8, s74 dst_sel:DWORD dst_unused:UNUSED_PAD src0_sel:WORD_0 src1_sel:DWORD
	v_mul_u32_u24_sdwa v69, v8, s74 dst_sel:DWORD dst_unused:UNUSED_PAD src0_sel:WORD_1 src1_sel:DWORD
	ds_read_b128 v[5:8], v41 offset:336
	s_waitcnt lgkmcnt(1)
	v_pk_fma_f16 v57, v9, v70, v57
	v_pk_fma_f16 v59, v10, v70, v59
	;; [unrolled: 1-line block ×8, first 2 shown]
	ds_read2_b64 v[13:16], v49 offset1:32
	v_pk_fma_f16 v57, v11, v74, v57
	v_pk_fma_f16 v59, v12, v74, v59
	s_waitcnt lgkmcnt(1)
	v_mul_u32_u24_sdwa v70, v5, s74 dst_sel:DWORD dst_unused:UNUSED_PAD src0_sel:WORD_0 src1_sel:DWORD
	v_pk_fma_f16 v60, v11, v75, v60
	v_pk_fma_f16 v56, v12, v75, v56
	v_mul_u32_u24_sdwa v71, v5, s74 dst_sel:DWORD dst_unused:UNUSED_PAD src0_sel:WORD_1 src1_sel:DWORD
	v_pk_fma_f16 v58, v11, v76, v58
	v_pk_fma_f16 v61, v12, v76, v61
	v_mul_u32_u24_sdwa v72, v6, s74 dst_sel:DWORD dst_unused:UNUSED_PAD src0_sel:WORD_0 src1_sel:DWORD
	v_pk_fma_f16 v9, v11, v77, v9
	v_pk_fma_f16 v10, v12, v77, v10
	v_mul_u32_u24_sdwa v73, v6, s74 dst_sel:DWORD dst_unused:UNUSED_PAD src0_sel:WORD_1 src1_sel:DWORD
	v_mul_u32_u24_sdwa v74, v7, s74 dst_sel:DWORD dst_unused:UNUSED_PAD src0_sel:WORD_0 src1_sel:DWORD
	v_mul_u32_u24_sdwa v75, v7, s74 dst_sel:DWORD dst_unused:UNUSED_PAD src0_sel:WORD_1 src1_sel:DWORD
	v_mul_u32_u24_sdwa v76, v8, s74 dst_sel:DWORD dst_unused:UNUSED_PAD src0_sel:WORD_0 src1_sel:DWORD
	v_mul_u32_u24_sdwa v77, v8, s74 dst_sel:DWORD dst_unused:UNUSED_PAD src0_sel:WORD_1 src1_sel:DWORD
	ds_read_b128 v[5:8], v41 offset:352
	s_waitcnt lgkmcnt(1)
	v_pk_fma_f16 v57, v13, v62, v57
	v_pk_fma_f16 v59, v14, v62, v59
	v_pk_fma_f16 v60, v13, v63, v60
	v_pk_fma_f16 v58, v13, v64, v58
	v_pk_fma_f16 v13, v13, v65, v9
	v_pk_fma_f16 v56, v14, v63, v56
	v_pk_fma_f16 v61, v14, v64, v61
	v_pk_fma_f16 v14, v14, v65, v10
	ds_read2_b64 v[9:12], v49 offset0:64 offset1:96
	v_pk_fma_f16 v57, v15, v66, v57
	v_pk_fma_f16 v59, v16, v66, v59
	s_waitcnt lgkmcnt(1)
	v_mul_u32_u24_sdwa v62, v5, s74 dst_sel:DWORD dst_unused:UNUSED_PAD src0_sel:WORD_0 src1_sel:DWORD
	v_pk_fma_f16 v60, v15, v67, v60
	v_pk_fma_f16 v56, v16, v67, v56
	v_mul_u32_u24_sdwa v63, v5, s74 dst_sel:DWORD dst_unused:UNUSED_PAD src0_sel:WORD_1 src1_sel:DWORD
	v_pk_fma_f16 v58, v15, v68, v58
	v_pk_fma_f16 v61, v16, v68, v61
	v_mul_u32_u24_sdwa v64, v6, s74 dst_sel:DWORD dst_unused:UNUSED_PAD src0_sel:WORD_0 src1_sel:DWORD
	v_pk_fma_f16 v13, v15, v69, v13
	v_pk_fma_f16 v14, v16, v69, v14
	v_mul_u32_u24_sdwa v65, v6, s74 dst_sel:DWORD dst_unused:UNUSED_PAD src0_sel:WORD_1 src1_sel:DWORD
	v_mul_u32_u24_sdwa v66, v7, s74 dst_sel:DWORD dst_unused:UNUSED_PAD src0_sel:WORD_0 src1_sel:DWORD
	v_mul_u32_u24_sdwa v67, v7, s74 dst_sel:DWORD dst_unused:UNUSED_PAD src0_sel:WORD_1 src1_sel:DWORD
	v_mul_u32_u24_sdwa v68, v8, s74 dst_sel:DWORD dst_unused:UNUSED_PAD src0_sel:WORD_0 src1_sel:DWORD
	v_mul_u32_u24_sdwa v69, v8, s74 dst_sel:DWORD dst_unused:UNUSED_PAD src0_sel:WORD_1 src1_sel:DWORD
	ds_read_b128 v[5:8], v41 offset:368
	s_waitcnt lgkmcnt(1)
	v_pk_fma_f16 v57, v9, v70, v57
	v_pk_fma_f16 v59, v10, v70, v59
	v_pk_fma_f16 v60, v9, v71, v60
	v_pk_fma_f16 v58, v9, v72, v58
	v_pk_fma_f16 v9, v9, v73, v13
	v_pk_fma_f16 v56, v10, v71, v56
	v_pk_fma_f16 v61, v10, v72, v61
	v_pk_fma_f16 v10, v10, v73, v14
	ds_read2_b64 v[13:16], v49 offset0:128 offset1:160
	;; [unrolled: 28-line block ×3, first 2 shown]
	v_pk_fma_f16 v57, v15, v66, v57
	v_pk_fma_f16 v59, v16, v66, v59
	s_waitcnt lgkmcnt(1)
	v_mul_u32_u24_sdwa v62, v5, s74 dst_sel:DWORD dst_unused:UNUSED_PAD src0_sel:WORD_0 src1_sel:DWORD
	v_pk_fma_f16 v60, v15, v67, v60
	v_pk_fma_f16 v56, v16, v67, v56
	v_mul_u32_u24_sdwa v63, v5, s74 dst_sel:DWORD dst_unused:UNUSED_PAD src0_sel:WORD_1 src1_sel:DWORD
	v_pk_fma_f16 v58, v15, v68, v58
	v_pk_fma_f16 v61, v16, v68, v61
	v_mul_u32_u24_sdwa v64, v6, s74 dst_sel:DWORD dst_unused:UNUSED_PAD src0_sel:WORD_0 src1_sel:DWORD
	v_pk_fma_f16 v13, v15, v69, v13
	v_pk_fma_f16 v14, v16, v69, v14
	v_mul_u32_u24_sdwa v65, v6, s74 dst_sel:DWORD dst_unused:UNUSED_PAD src0_sel:WORD_1 src1_sel:DWORD
	v_mul_u32_u24_sdwa v66, v7, s74 dst_sel:DWORD dst_unused:UNUSED_PAD src0_sel:WORD_0 src1_sel:DWORD
	v_mul_u32_u24_sdwa v67, v7, s74 dst_sel:DWORD dst_unused:UNUSED_PAD src0_sel:WORD_1 src1_sel:DWORD
	v_mul_u32_u24_sdwa v68, v8, s74 dst_sel:DWORD dst_unused:UNUSED_PAD src0_sel:WORD_0 src1_sel:DWORD
	v_mul_u32_u24_sdwa v69, v8, s74 dst_sel:DWORD dst_unused:UNUSED_PAD src0_sel:WORD_1 src1_sel:DWORD
	ds_read_b128 v[5:8], v41 offset:400
	s_waitcnt lgkmcnt(1)
	v_pk_fma_f16 v57, v9, v70, v57
	v_pk_fma_f16 v59, v10, v70, v59
	;; [unrolled: 1-line block ×8, first 2 shown]
	ds_read2_b64 v[13:16], v50 offset1:32
	v_pk_fma_f16 v57, v11, v74, v57
	v_pk_fma_f16 v59, v12, v74, v59
	s_waitcnt lgkmcnt(1)
	v_mul_u32_u24_sdwa v70, v5, s74 dst_sel:DWORD dst_unused:UNUSED_PAD src0_sel:WORD_0 src1_sel:DWORD
	v_pk_fma_f16 v60, v11, v75, v60
	v_pk_fma_f16 v56, v12, v75, v56
	v_mul_u32_u24_sdwa v71, v5, s74 dst_sel:DWORD dst_unused:UNUSED_PAD src0_sel:WORD_1 src1_sel:DWORD
	v_pk_fma_f16 v58, v11, v76, v58
	v_pk_fma_f16 v61, v12, v76, v61
	v_mul_u32_u24_sdwa v72, v6, s74 dst_sel:DWORD dst_unused:UNUSED_PAD src0_sel:WORD_0 src1_sel:DWORD
	v_pk_fma_f16 v9, v11, v77, v9
	v_pk_fma_f16 v10, v12, v77, v10
	v_mul_u32_u24_sdwa v73, v6, s74 dst_sel:DWORD dst_unused:UNUSED_PAD src0_sel:WORD_1 src1_sel:DWORD
	v_mul_u32_u24_sdwa v74, v7, s74 dst_sel:DWORD dst_unused:UNUSED_PAD src0_sel:WORD_0 src1_sel:DWORD
	v_mul_u32_u24_sdwa v75, v7, s74 dst_sel:DWORD dst_unused:UNUSED_PAD src0_sel:WORD_1 src1_sel:DWORD
	v_mul_u32_u24_sdwa v76, v8, s74 dst_sel:DWORD dst_unused:UNUSED_PAD src0_sel:WORD_0 src1_sel:DWORD
	v_mul_u32_u24_sdwa v77, v8, s74 dst_sel:DWORD dst_unused:UNUSED_PAD src0_sel:WORD_1 src1_sel:DWORD
	ds_read_b128 v[5:8], v41 offset:416
	s_waitcnt lgkmcnt(1)
	v_pk_fma_f16 v57, v13, v62, v57
	v_pk_fma_f16 v59, v14, v62, v59
	v_pk_fma_f16 v60, v13, v63, v60
	v_pk_fma_f16 v58, v13, v64, v58
	v_pk_fma_f16 v13, v13, v65, v9
	v_pk_fma_f16 v56, v14, v63, v56
	v_pk_fma_f16 v61, v14, v64, v61
	v_pk_fma_f16 v14, v14, v65, v10
	ds_read2_b64 v[9:12], v50 offset0:64 offset1:96
	v_pk_fma_f16 v57, v15, v66, v57
	v_pk_fma_f16 v59, v16, v66, v59
	s_waitcnt lgkmcnt(1)
	v_mul_u32_u24_sdwa v62, v5, s74 dst_sel:DWORD dst_unused:UNUSED_PAD src0_sel:WORD_0 src1_sel:DWORD
	v_pk_fma_f16 v60, v15, v67, v60
	v_pk_fma_f16 v56, v16, v67, v56
	v_mul_u32_u24_sdwa v63, v5, s74 dst_sel:DWORD dst_unused:UNUSED_PAD src0_sel:WORD_1 src1_sel:DWORD
	v_pk_fma_f16 v58, v15, v68, v58
	v_pk_fma_f16 v61, v16, v68, v61
	v_mul_u32_u24_sdwa v64, v6, s74 dst_sel:DWORD dst_unused:UNUSED_PAD src0_sel:WORD_0 src1_sel:DWORD
	v_pk_fma_f16 v13, v15, v69, v13
	v_pk_fma_f16 v14, v16, v69, v14
	v_mul_u32_u24_sdwa v65, v6, s74 dst_sel:DWORD dst_unused:UNUSED_PAD src0_sel:WORD_1 src1_sel:DWORD
	v_mul_u32_u24_sdwa v66, v7, s74 dst_sel:DWORD dst_unused:UNUSED_PAD src0_sel:WORD_0 src1_sel:DWORD
	v_mul_u32_u24_sdwa v67, v7, s74 dst_sel:DWORD dst_unused:UNUSED_PAD src0_sel:WORD_1 src1_sel:DWORD
	v_mul_u32_u24_sdwa v68, v8, s74 dst_sel:DWORD dst_unused:UNUSED_PAD src0_sel:WORD_0 src1_sel:DWORD
	v_mul_u32_u24_sdwa v69, v8, s74 dst_sel:DWORD dst_unused:UNUSED_PAD src0_sel:WORD_1 src1_sel:DWORD
	ds_read_b128 v[5:8], v41 offset:432
	s_waitcnt lgkmcnt(1)
	v_pk_fma_f16 v57, v9, v70, v57
	v_pk_fma_f16 v59, v10, v70, v59
	v_pk_fma_f16 v60, v9, v71, v60
	v_pk_fma_f16 v58, v9, v72, v58
	v_pk_fma_f16 v9, v9, v73, v13
	v_pk_fma_f16 v56, v10, v71, v56
	v_pk_fma_f16 v61, v10, v72, v61
	v_pk_fma_f16 v10, v10, v73, v14
	ds_read2_b64 v[13:16], v50 offset0:128 offset1:160
	;; [unrolled: 28-line block ×3, first 2 shown]
	v_pk_fma_f16 v57, v15, v66, v57
	v_pk_fma_f16 v59, v16, v66, v59
	s_waitcnt lgkmcnt(1)
	v_mul_u32_u24_sdwa v62, v5, s74 dst_sel:DWORD dst_unused:UNUSED_PAD src0_sel:WORD_0 src1_sel:DWORD
	v_pk_fma_f16 v60, v15, v67, v60
	v_pk_fma_f16 v56, v16, v67, v56
	v_mul_u32_u24_sdwa v63, v5, s74 dst_sel:DWORD dst_unused:UNUSED_PAD src0_sel:WORD_1 src1_sel:DWORD
	v_pk_fma_f16 v58, v15, v68, v58
	v_pk_fma_f16 v61, v16, v68, v61
	v_mul_u32_u24_sdwa v64, v6, s74 dst_sel:DWORD dst_unused:UNUSED_PAD src0_sel:WORD_0 src1_sel:DWORD
	v_pk_fma_f16 v13, v15, v69, v13
	v_pk_fma_f16 v14, v16, v69, v14
	v_mul_u32_u24_sdwa v65, v6, s74 dst_sel:DWORD dst_unused:UNUSED_PAD src0_sel:WORD_1 src1_sel:DWORD
	v_mul_u32_u24_sdwa v66, v7, s74 dst_sel:DWORD dst_unused:UNUSED_PAD src0_sel:WORD_0 src1_sel:DWORD
	v_mul_u32_u24_sdwa v67, v7, s74 dst_sel:DWORD dst_unused:UNUSED_PAD src0_sel:WORD_1 src1_sel:DWORD
	v_mul_u32_u24_sdwa v68, v8, s74 dst_sel:DWORD dst_unused:UNUSED_PAD src0_sel:WORD_0 src1_sel:DWORD
	v_mul_u32_u24_sdwa v69, v8, s74 dst_sel:DWORD dst_unused:UNUSED_PAD src0_sel:WORD_1 src1_sel:DWORD
	ds_read_b128 v[5:8], v41 offset:464
	s_waitcnt lgkmcnt(1)
	v_pk_fma_f16 v57, v9, v70, v57
	v_pk_fma_f16 v59, v10, v70, v59
	;; [unrolled: 1-line block ×8, first 2 shown]
	ds_read2_b64 v[13:16], v51 offset1:32
	v_pk_fma_f16 v57, v11, v74, v57
	v_pk_fma_f16 v59, v12, v74, v59
	s_waitcnt lgkmcnt(1)
	v_mul_u32_u24_sdwa v70, v5, s74 dst_sel:DWORD dst_unused:UNUSED_PAD src0_sel:WORD_0 src1_sel:DWORD
	v_pk_fma_f16 v60, v11, v75, v60
	v_pk_fma_f16 v56, v12, v75, v56
	v_mul_u32_u24_sdwa v71, v5, s74 dst_sel:DWORD dst_unused:UNUSED_PAD src0_sel:WORD_1 src1_sel:DWORD
	v_pk_fma_f16 v58, v11, v76, v58
	v_pk_fma_f16 v61, v12, v76, v61
	v_mul_u32_u24_sdwa v72, v6, s74 dst_sel:DWORD dst_unused:UNUSED_PAD src0_sel:WORD_0 src1_sel:DWORD
	v_pk_fma_f16 v9, v11, v77, v9
	v_pk_fma_f16 v10, v12, v77, v10
	v_mul_u32_u24_sdwa v73, v6, s74 dst_sel:DWORD dst_unused:UNUSED_PAD src0_sel:WORD_1 src1_sel:DWORD
	v_mul_u32_u24_sdwa v74, v7, s74 dst_sel:DWORD dst_unused:UNUSED_PAD src0_sel:WORD_0 src1_sel:DWORD
	v_mul_u32_u24_sdwa v75, v7, s74 dst_sel:DWORD dst_unused:UNUSED_PAD src0_sel:WORD_1 src1_sel:DWORD
	v_mul_u32_u24_sdwa v76, v8, s74 dst_sel:DWORD dst_unused:UNUSED_PAD src0_sel:WORD_0 src1_sel:DWORD
	v_mul_u32_u24_sdwa v77, v8, s74 dst_sel:DWORD dst_unused:UNUSED_PAD src0_sel:WORD_1 src1_sel:DWORD
	ds_read_b128 v[5:8], v41 offset:480
	s_waitcnt lgkmcnt(1)
	v_pk_fma_f16 v57, v13, v62, v57
	v_pk_fma_f16 v59, v14, v62, v59
	;; [unrolled: 1-line block ×8, first 2 shown]
	ds_read2_b64 v[9:12], v51 offset0:64 offset1:96
	v_pk_fma_f16 v57, v15, v66, v57
	v_pk_fma_f16 v59, v16, v66, v59
	s_waitcnt lgkmcnt(1)
	v_mul_u32_u24_sdwa v62, v5, s74 dst_sel:DWORD dst_unused:UNUSED_PAD src0_sel:WORD_0 src1_sel:DWORD
	v_pk_fma_f16 v60, v15, v67, v60
	v_pk_fma_f16 v56, v16, v67, v56
	v_mul_u32_u24_sdwa v63, v5, s74 dst_sel:DWORD dst_unused:UNUSED_PAD src0_sel:WORD_1 src1_sel:DWORD
	v_pk_fma_f16 v58, v15, v68, v58
	v_pk_fma_f16 v61, v16, v68, v61
	v_mul_u32_u24_sdwa v64, v6, s74 dst_sel:DWORD dst_unused:UNUSED_PAD src0_sel:WORD_0 src1_sel:DWORD
	v_pk_fma_f16 v13, v15, v69, v13
	v_pk_fma_f16 v14, v16, v69, v14
	v_mul_u32_u24_sdwa v65, v6, s74 dst_sel:DWORD dst_unused:UNUSED_PAD src0_sel:WORD_1 src1_sel:DWORD
	v_mul_u32_u24_sdwa v66, v7, s74 dst_sel:DWORD dst_unused:UNUSED_PAD src0_sel:WORD_0 src1_sel:DWORD
	v_mul_u32_u24_sdwa v67, v7, s74 dst_sel:DWORD dst_unused:UNUSED_PAD src0_sel:WORD_1 src1_sel:DWORD
	v_mul_u32_u24_sdwa v68, v8, s74 dst_sel:DWORD dst_unused:UNUSED_PAD src0_sel:WORD_0 src1_sel:DWORD
	v_mul_u32_u24_sdwa v69, v8, s74 dst_sel:DWORD dst_unused:UNUSED_PAD src0_sel:WORD_1 src1_sel:DWORD
	ds_read_b128 v[5:8], v41 offset:496
	s_waitcnt lgkmcnt(1)
	v_pk_fma_f16 v57, v9, v70, v57
	v_pk_fma_f16 v59, v10, v70, v59
	;; [unrolled: 1-line block ×8, first 2 shown]
	ds_read2_b64 v[13:16], v51 offset0:128 offset1:160
	v_pk_fma_f16 v57, v11, v74, v57
	v_pk_fma_f16 v59, v12, v74, v59
	s_waitcnt lgkmcnt(1)
	v_mul_u32_u24_sdwa v70, v5, s74 dst_sel:DWORD dst_unused:UNUSED_PAD src0_sel:WORD_0 src1_sel:DWORD
	v_pk_fma_f16 v60, v11, v75, v60
	v_pk_fma_f16 v56, v12, v75, v56
	v_mul_u32_u24_sdwa v71, v5, s74 dst_sel:DWORD dst_unused:UNUSED_PAD src0_sel:WORD_1 src1_sel:DWORD
	v_pk_fma_f16 v58, v11, v76, v58
	v_pk_fma_f16 v61, v12, v76, v61
	v_mul_u32_u24_sdwa v72, v6, s74 dst_sel:DWORD dst_unused:UNUSED_PAD src0_sel:WORD_0 src1_sel:DWORD
	v_pk_fma_f16 v9, v11, v77, v9
	v_pk_fma_f16 v10, v12, v77, v10
	v_mul_u32_u24_sdwa v11, v6, s74 dst_sel:DWORD dst_unused:UNUSED_PAD src0_sel:WORD_1 src1_sel:DWORD
	v_mul_u32_u24_sdwa v12, v7, s74 dst_sel:DWORD dst_unused:UNUSED_PAD src0_sel:WORD_0 src1_sel:DWORD
	v_mul_u32_u24_sdwa v73, v7, s74 dst_sel:DWORD dst_unused:UNUSED_PAD src0_sel:WORD_1 src1_sel:DWORD
	v_mul_u32_u24_sdwa v74, v8, s74 dst_sel:DWORD dst_unused:UNUSED_PAD src0_sel:WORD_0 src1_sel:DWORD
	v_mul_u32_u24_sdwa v75, v8, s74 dst_sel:DWORD dst_unused:UNUSED_PAD src0_sel:WORD_1 src1_sel:DWORD
	ds_read2_b64 v[5:8], v51 offset0:192 offset1:224
	s_waitcnt lgkmcnt(0)
	s_barrier
	s_load_dword s0, s[54:55], 0x4
	v_pk_fma_f16 v57, v13, v62, v57
	v_pk_fma_f16 v60, v13, v63, v60
	;; [unrolled: 1-line block ×8, first 2 shown]
	s_waitcnt lgkmcnt(0)
	s_lshl_b32 s0, s0, 6
	v_pk_fma_f16 v14, v15, v66, v57
	v_pk_fma_f16 v57, v15, v67, v60
	;; [unrolled: 1-line block ×8, first 2 shown]
	s_add_i32 s6, s0, s6
	v_pk_fma_f16 v14, v5, v70, v14
	v_pk_fma_f16 v16, v5, v71, v57
	;; [unrolled: 1-line block ×8, first 2 shown]
	s_cmp_ge_i32 s6, s64
	v_pk_fma_f16 v62, v7, v12, v14
	v_pk_fma_f16 v60, v7, v73, v16
	;; [unrolled: 1-line block ×8, first 2 shown]
	s_cbranch_scc0 .LBB5_9
.LBB5_10:
	v_cmp_lt_i32_e32 vcc, v36, v31
	v_cndmask_b32_e32 v5, v30, v36, vcc
	v_lshlrev_b32_e32 v5, 2, v5
	ds_bpermute_b32 v6, v5, v55
	ds_bpermute_b32 v12, v5, v53
	ds_bpermute_b32 v13, v5, v54
	ds_bpermute_b32 v5, v5, v52
	v_cmp_lt_i32_e32 vcc, v35, v31
	v_cndmask_b32_e32 v7, v30, v35, vcc
	v_lshlrev_b32_e32 v7, 2, v7
	s_waitcnt lgkmcnt(3)
	v_add_f32_e32 v6, v55, v6
	s_waitcnt lgkmcnt(2)
	v_add_f32_e32 v12, v53, v12
	s_waitcnt lgkmcnt(1)
	v_add_f32_e32 v13, v54, v13
	s_waitcnt lgkmcnt(0)
	v_add_f32_e32 v5, v52, v5
	ds_bpermute_b32 v8, v7, v6
	ds_bpermute_b32 v14, v7, v12
	ds_bpermute_b32 v15, v7, v13
	ds_bpermute_b32 v7, v7, v5
	v_cmp_lt_i32_e32 vcc, v34, v31
	v_cndmask_b32_e32 v9, v30, v34, vcc
	v_lshlrev_b32_e32 v9, 2, v9
	s_waitcnt lgkmcnt(3)
	v_add_f32_e32 v6, v6, v8
	s_waitcnt lgkmcnt(2)
	v_add_f32_e32 v12, v12, v14
	s_waitcnt lgkmcnt(1)
	v_add_f32_e32 v13, v13, v15
	s_waitcnt lgkmcnt(0)
	v_add_f32_e32 v5, v5, v7
	;; [unrolled: 15-line block ×4, first 2 shown]
	ds_bpermute_b32 v8, v11, v6
	ds_bpermute_b32 v10, v11, v9
	;; [unrolled: 1-line block ×4, first 2 shown]
	s_cmp_lg_u64 s[52:53], 0
	s_cselect_b64 s[0:1], -1, 0
	s_cmp_eq_u32 s7, 0
	s_cselect_b64 s[2:3], -1, 0
	s_and_b64 s[0:1], s[2:3], s[0:1]
	s_waitcnt lgkmcnt(3)
	v_add_f32_e32 v5, v6, v8
	s_waitcnt lgkmcnt(2)
	v_add_f32_e32 v6, v9, v10
	;; [unrolled: 2-line block ×4, first 2 shown]
	s_and_b64 vcc, exec, s[0:1]
	s_cbranch_vccz .LBB5_13
; %bb.11:
	v_add_u32_e32 v9, s65, v27
	v_ashrrev_i32_e32 v10, 31, v9
	v_lshlrev_b64 v[9:10], 2, v[9:10]
	v_mov_b32_e32 v11, s53
	v_add_co_u32_e32 v9, vcc, s52, v9
	v_addc_co_u32_e32 v10, vcc, v11, v10, vcc
	global_load_dwordx4 v[9:12], v[9:10], off
	v_max_f32_e32 v13, v1, v1
	v_max_f32_e32 v14, v2, v2
	s_mov_b32 s2, 0x3fb8aa3b
	v_max_f32_e32 v15, v3, v3
	s_mov_b32 s1, 0xc2ce8ed0
	s_mov_b32 s0, 0x42b17218
	v_mov_b32_e32 v17, 0x7f800000
	s_waitcnt vmcnt(0)
	v_max_f32_e32 v16, v9, v9
	v_max_f32_e32 v13, v13, v16
	;; [unrolled: 1-line block ×3, first 2 shown]
	v_sub_f32_e32 v1, v1, v13
	v_max_f32_e32 v14, v14, v18
	v_sub_f32_e32 v9, v9, v13
	v_mul_f32_e32 v16, 0x3fb8aa3b, v1
	v_max_f32_e32 v19, v11, v11
	v_sub_f32_e32 v2, v2, v14
	v_mul_f32_e32 v18, 0x3fb8aa3b, v9
	v_fma_f32 v23, v1, s2, -v16
	v_rndne_f32_e32 v24, v16
	v_max_f32_e32 v15, v15, v19
	v_sub_f32_e32 v10, v10, v14
	v_mul_f32_e32 v19, 0x3fb8aa3b, v2
	v_fma_f32 v25, v9, s2, -v18
	v_rndne_f32_e32 v29, v18
	v_fmac_f32_e32 v23, 0x32a5705f, v1
	v_sub_f32_e32 v16, v16, v24
	v_mul_f32_e32 v20, 0x3fb8aa3b, v10
	v_fma_f32 v30, v2, s2, -v19
	v_rndne_f32_e32 v31, v19
	v_fmac_f32_e32 v25, 0x32a5705f, v9
	v_sub_f32_e32 v18, v18, v29
	v_add_f32_e32 v16, v16, v23
	v_fma_f32 v32, v10, s2, -v20
	v_rndne_f32_e32 v33, v20
	v_cvt_i32_f32_e32 v24, v24
	v_fmac_f32_e32 v30, 0x32a5705f, v2
	v_sub_f32_e32 v19, v19, v31
	v_add_f32_e32 v18, v18, v25
	v_exp_f32_e32 v16, v16
	v_cvt_i32_f32_e32 v29, v29
	v_fmac_f32_e32 v32, 0x32a5705f, v10
	v_sub_f32_e32 v20, v20, v33
	v_add_f32_e32 v19, v19, v30
	v_exp_f32_e32 v18, v18
	v_cvt_i32_f32_e32 v31, v31
	v_add_f32_e32 v20, v20, v32
	v_exp_f32_e32 v19, v19
	v_cvt_i32_f32_e32 v33, v33
	v_exp_f32_e32 v20, v20
	v_ldexp_f32 v16, v16, v24
	v_cmp_ngt_f32_e32 vcc, s1, v1
	v_ldexp_f32 v18, v18, v29
	v_cndmask_b32_e32 v16, 0, v16, vcc
	v_cmp_ngt_f32_e32 vcc, s1, v9
	v_ldexp_f32 v19, v19, v31
	v_cndmask_b32_e32 v18, 0, v18, vcc
	;; [unrolled: 3-line block ×3, first 2 shown]
	v_cmp_ngt_f32_e32 vcc, s1, v10
	v_cndmask_b32_e32 v20, 0, v20, vcc
	v_cmp_nlt_f32_e32 vcc, s0, v1
	v_cndmask_b32_e32 v1, v17, v16, vcc
	v_cmp_nlt_f32_e32 vcc, s0, v9
	v_sub_f32_e32 v3, v3, v15
	v_cndmask_b32_e32 v9, v17, v18, vcc
	v_cmp_nlt_f32_e32 vcc, s0, v2
	v_mul_f32_e32 v21, 0x3fb8aa3b, v3
	v_cndmask_b32_e32 v2, v17, v19, vcc
	v_sub_f32_e32 v11, v11, v15
	v_fma_f32 v34, v3, s2, -v21
	v_rndne_f32_e32 v35, v21
	v_cvt_f16_f32_e32 v16, v1
	v_cvt_f16_f32_e32 v18, v2
	v_mul_f32_e32 v22, 0x3fb8aa3b, v11
	v_fmac_f32_e32 v34, 0x32a5705f, v3
	v_sub_f32_e32 v21, v21, v35
	v_fma_f32 v36, v11, s2, -v22
	v_rndne_f32_e32 v37, v22
	v_add_f32_e32 v21, v21, v34
	v_cmp_nlt_f32_e32 vcc, s0, v10
	v_cvt_i32_f32_e32 v35, v35
	v_fmac_f32_e32 v36, 0x32a5705f, v11
	v_sub_f32_e32 v22, v22, v37
	v_exp_f32_e32 v21, v21
	v_cndmask_b32_e32 v10, v17, v20, vcc
	v_add_f32_e32 v22, v22, v36
	v_fmac_f32_e32 v9, v5, v1
	v_fmac_f32_e32 v10, v6, v2
	v_mul_u32_u24_e32 v1, 0x10001, v16
	v_mul_u32_u24_e32 v2, 0x10001, v18
	v_pk_mul_f16 v62, v62, v1
	v_pk_mul_f16 v63, v63, v1
	;; [unrolled: 1-line block ×4, first 2 shown]
	v_exp_f32_e32 v1, v22
	v_cvt_i32_f32_e32 v2, v37
	v_ldexp_f32 v21, v21, v35
	v_cmp_ngt_f32_e32 vcc, s1, v3
	v_cndmask_b32_e32 v5, 0, v21, vcc
	v_cmp_nlt_f32_e32 vcc, s0, v3
	v_cndmask_b32_e32 v3, v17, v5, vcc
	v_ldexp_f32 v1, v1, v2
	v_cmp_ngt_f32_e32 vcc, s1, v11
	v_cndmask_b32_e32 v1, 0, v1, vcc
	v_cmp_nlt_f32_e32 vcc, s0, v11
	v_cndmask_b32_e32 v11, v17, v1, vcc
	v_fmac_f32_e32 v11, v7, v3
	v_cvt_f16_f32_e32 v1, v3
	v_max_f32_e32 v2, v12, v12
	v_max_f32_e32 v3, v4, v4
	v_max_f32_e32 v16, v3, v2
	v_sub_f32_e32 v2, v4, v16
	v_mul_f32_e32 v3, 0x3fb8aa3b, v2
	v_fma_f32 v4, v2, s2, -v3
	v_rndne_f32_e32 v5, v3
	v_fmac_f32_e32 v4, 0x32a5705f, v2
	v_sub_f32_e32 v3, v3, v5
	v_add_f32_e32 v3, v3, v4
	v_exp_f32_e32 v3, v3
	v_cvt_i32_f32_e32 v4, v5
	v_mul_u32_u24_e32 v1, 0x10001, v1
	v_pk_mul_f16 v58, v58, v1
	v_pk_mul_f16 v59, v59, v1
	v_ldexp_f32 v1, v3, v4
	v_sub_f32_e32 v3, v12, v16
	v_mul_f32_e32 v4, 0x3fb8aa3b, v3
	v_fma_f32 v5, v3, s2, -v4
	v_rndne_f32_e32 v6, v4
	v_fmac_f32_e32 v5, 0x32a5705f, v3
	v_sub_f32_e32 v4, v4, v6
	v_add_f32_e32 v4, v4, v5
	v_exp_f32_e32 v4, v4
	v_cvt_i32_f32_e32 v5, v6
	v_cmp_ngt_f32_e32 vcc, s1, v2
	v_cndmask_b32_e32 v1, 0, v1, vcc
	v_cmp_nlt_f32_e32 vcc, s0, v2
	v_cndmask_b32_e32 v1, v17, v1, vcc
	v_ldexp_f32 v2, v4, v5
	v_cvt_f16_f32_e32 v4, v1
	v_cmp_ngt_f32_e32 vcc, s1, v3
	v_cndmask_b32_e32 v2, 0, v2, vcc
	v_cmp_nlt_f32_e32 vcc, s0, v3
	v_cndmask_b32_e32 v12, v17, v2, vcc
	v_fmac_f32_e32 v12, v8, v1
	v_mul_u32_u24_e32 v1, 0x10001, v4
	v_pk_mul_f16 v57, v57, v1
	v_pk_mul_f16 v56, v56, v1
	v_mov_b32_e32 v1, v13
	v_mov_b32_e32 v2, v14
	;; [unrolled: 1-line block ×8, first 2 shown]
	v_cmp_gt_i32_e32 vcc, s62, v26
	s_and_saveexec_b64 s[0:1], vcc
	s_cbranch_execnz .LBB5_14
.LBB5_12:
	s_endpgm
.LBB5_13:
	v_mov_b32_e32 v12, v8
	v_mov_b32_e32 v11, v7
	;; [unrolled: 1-line block ×4, first 2 shown]
	v_cmp_gt_i32_e32 vcc, s62, v26
	s_and_saveexec_b64 s[0:1], vcc
	s_cbranch_execz .LBB5_12
.LBB5_14:
	s_load_dword s6, s[4:5], 0xd4
	v_mov_b32_e32 v14, 1.0
	s_waitcnt lgkmcnt(0)
	s_cmp_lg_u32 s6, 1
	s_cselect_b64 s[0:1], -1, 0
	s_cmp_eq_u32 s6, 1
	s_cselect_b64 s[4:5], -1, 0
	s_and_b64 vcc, exec, s[0:1]
	s_cbranch_vccnz .LBB5_16
; %bb.15:
	v_div_scale_f32 v13, s[2:3], v5, v5, 1.0
	v_div_scale_f32 v14, vcc, 1.0, v5, 1.0
	v_rcp_f32_e32 v15, v13
	v_fma_f32 v16, -v13, v15, 1.0
	v_fmac_f32_e32 v15, v16, v15
	v_mul_f32_e32 v16, v14, v15
	v_fma_f32 v17, -v13, v16, v14
	v_fmac_f32_e32 v16, v17, v15
	v_fma_f32 v13, -v13, v16, v14
	v_div_fmas_f32 v13, v13, v15, v16
	v_div_fixup_f32 v14, v13, v5, 1.0
.LBB5_16:
	s_mul_i32 s33, s33, s62
	v_add_u32_e32 v5, s33, v26
	v_mul_lo_u32 v5, v5, s63
	v_cmp_eq_u32_e32 vcc, 0, v0
	v_cvt_f32_f16_e32 v0, v62
	v_mov_b32_e32 v20, 0
	v_add3_u32 v5, s65, v27, v5
	v_mul_lo_u32 v5, s6, v5
	v_cvt_f32_f16_sdwa v16, v62 dst_sel:DWORD dst_unused:UNUSED_PAD src0_sel:WORD_1
	v_cvt_f32_f16_e32 v17, v63
	s_and_b64 s[2:3], vcc, s[0:1]
	v_add_u32_e32 v13, s7, v5
	v_lshl_add_u32 v19, v13, 7, v28
	v_cvt_f32_f16_sdwa v5, v63 dst_sel:DWORD dst_unused:UNUSED_PAD src0_sel:WORD_1
	v_lshlrev_b64 v[19:20], 2, v[19:20]
	v_mul_f32_e32 v15, v14, v0
	v_mov_b32_e32 v0, s57
	v_add_co_u32_e32 v19, vcc, s56, v19
	v_mul_f32_e32 v16, v14, v16
	v_mul_f32_e32 v17, v14, v17
	;; [unrolled: 1-line block ×3, first 2 shown]
	v_addc_co_u32_e32 v20, vcc, v0, v20, vcc
	global_store_dwordx4 v[19:20], v[15:18], off
	s_and_saveexec_b64 s[0:1], s[2:3]
	s_cbranch_execz .LBB5_18
; %bb.17:
	v_ashrrev_i32_e32 v14, 31, v13
	v_lshlrev_b64 v[14:15], 3, v[13:14]
	v_mov_b32_e32 v0, s59
	v_add_co_u32_e32 v14, vcc, s58, v14
	v_addc_co_u32_e32 v15, vcc, v0, v15, vcc
	v_mov_b32_e32 v0, v1
	v_mov_b32_e32 v1, v9
	global_store_dwordx2 v[14:15], v[0:1], off
.LBB5_18:
	s_or_b64 exec, exec, s[0:1]
	v_cndmask_b32_e64 v0, 0, 1, s[4:5]
	v_cmp_ne_u32_e64 s[0:1], 1, v0
	s_andn2_b64 vcc, exec, s[4:5]
	v_mov_b32_e32 v1, 1.0
	s_cbranch_vccnz .LBB5_20
; %bb.19:
	v_div_scale_f32 v0, s[4:5], v6, v6, 1.0
	v_div_scale_f32 v1, vcc, 1.0, v6, 1.0
	v_rcp_f32_e32 v5, v0
	v_fma_f32 v9, -v0, v5, 1.0
	v_fmac_f32_e32 v5, v9, v5
	v_mul_f32_e32 v9, v1, v5
	v_fma_f32 v14, -v0, v9, v1
	v_fmac_f32_e32 v9, v14, v5
	v_fma_f32 v0, -v0, v9, v1
	v_div_fmas_f32 v0, v0, v5, v9
	v_div_fixup_f32 v1, v0, v6, 1.0
.LBB5_20:
	v_add_u32_e32 v0, s6, v13
	v_cvt_f32_f16_e32 v9, v60
	v_cvt_f32_f16_sdwa v14, v60 dst_sel:DWORD dst_unused:UNUSED_PAD src0_sel:WORD_1
	v_cvt_f32_f16_e32 v15, v61
	v_cvt_f32_f16_sdwa v16, v61 dst_sel:DWORD dst_unused:UNUSED_PAD src0_sel:WORD_1
	v_lshl_add_u32 v5, v0, 7, v28
	v_mov_b32_e32 v6, 0
	v_lshlrev_b64 v[5:6], 2, v[5:6]
	v_mul_f32_e32 v13, v1, v9
	v_mul_f32_e32 v14, v1, v14
	;; [unrolled: 1-line block ×4, first 2 shown]
	v_mov_b32_e32 v1, s57
	v_add_co_u32_e32 v5, vcc, s56, v5
	v_addc_co_u32_e32 v6, vcc, v1, v6, vcc
	global_store_dwordx4 v[5:6], v[13:16], off
	s_and_saveexec_b64 s[4:5], s[2:3]
	s_cbranch_execz .LBB5_22
; %bb.21:
	v_ashrrev_i32_e32 v1, 31, v0
	v_lshlrev_b64 v[5:6], 3, v[0:1]
	v_mov_b32_e32 v1, s59
	v_add_co_u32_e32 v5, vcc, s58, v5
	v_addc_co_u32_e32 v6, vcc, v1, v6, vcc
	v_mov_b32_e32 v9, v2
	global_store_dwordx2 v[5:6], v[9:10], off
.LBB5_22:
	s_or_b64 exec, exec, s[4:5]
	s_and_b64 vcc, exec, s[0:1]
	v_mov_b32_e32 v1, 1.0
	s_cbranch_vccnz .LBB5_24
; %bb.23:
	v_div_scale_f32 v1, s[4:5], v7, v7, 1.0
	v_div_scale_f32 v2, vcc, 1.0, v7, 1.0
	v_rcp_f32_e32 v5, v1
	v_fma_f32 v6, -v1, v5, 1.0
	v_fmac_f32_e32 v5, v6, v5
	v_mul_f32_e32 v6, v2, v5
	v_fma_f32 v9, -v1, v6, v2
	v_fmac_f32_e32 v6, v9, v5
	v_fma_f32 v1, -v1, v6, v2
	v_div_fmas_f32 v1, v1, v5, v6
	v_div_fixup_f32 v1, v1, v7, 1.0
.LBB5_24:
	v_cvt_f32_f16_e32 v2, v58
	v_cvt_f32_f16_sdwa v7, v58 dst_sel:DWORD dst_unused:UNUSED_PAD src0_sel:WORD_1
	v_cvt_f32_f16_e32 v9, v59
	v_cvt_f32_f16_sdwa v10, v59 dst_sel:DWORD dst_unused:UNUSED_PAD src0_sel:WORD_1
	v_add_u32_e32 v0, s6, v0
	v_lshl_add_u32 v5, v0, 7, v28
	v_mov_b32_e32 v6, 0
	v_mul_f32_e32 v13, v1, v2
	v_mul_f32_e32 v14, v1, v7
	;; [unrolled: 1-line block ×4, first 2 shown]
	v_lshlrev_b64 v[1:2], 2, v[5:6]
	v_mov_b32_e32 v5, s57
	v_add_co_u32_e32 v1, vcc, s56, v1
	v_addc_co_u32_e32 v2, vcc, v5, v2, vcc
	global_store_dwordx4 v[1:2], v[13:16], off
	s_and_saveexec_b64 s[4:5], s[2:3]
	s_cbranch_execz .LBB5_26
; %bb.25:
	v_ashrrev_i32_e32 v1, 31, v0
	v_lshlrev_b64 v[1:2], 3, v[0:1]
	v_mov_b32_e32 v5, s59
	v_add_co_u32_e32 v1, vcc, s58, v1
	v_addc_co_u32_e32 v2, vcc, v5, v2, vcc
	v_mov_b32_e32 v10, v3
	global_store_dwordx2 v[1:2], v[10:11], off
.LBB5_26:
	s_or_b64 exec, exec, s[4:5]
	s_and_b64 vcc, exec, s[0:1]
	v_mov_b32_e32 v1, 1.0
	s_cbranch_vccnz .LBB5_28
; %bb.27:
	v_div_scale_f32 v1, s[0:1], v8, v8, 1.0
	v_div_scale_f32 v2, vcc, 1.0, v8, 1.0
	v_rcp_f32_e32 v3, v1
	v_fma_f32 v5, -v1, v3, 1.0
	v_fmac_f32_e32 v3, v5, v3
	v_mul_f32_e32 v5, v2, v3
	v_fma_f32 v6, -v1, v5, v2
	v_fmac_f32_e32 v5, v6, v3
	v_fma_f32 v1, -v1, v5, v2
	v_div_fmas_f32 v1, v1, v3, v5
	v_div_fixup_f32 v1, v1, v8, 1.0
.LBB5_28:
	v_cvt_f32_f16_e32 v5, v57
	v_cvt_f32_f16_sdwa v6, v57 dst_sel:DWORD dst_unused:UNUSED_PAD src0_sel:WORD_1
	v_cvt_f32_f16_e32 v7, v56
	v_cvt_f32_f16_sdwa v8, v56 dst_sel:DWORD dst_unused:UNUSED_PAD src0_sel:WORD_1
	v_add_u32_e32 v0, s6, v0
	v_lshl_add_u32 v2, v0, 7, v28
	v_mov_b32_e32 v3, 0
	v_mul_f32_e32 v5, v1, v5
	v_mul_f32_e32 v6, v1, v6
	;; [unrolled: 1-line block ×4, first 2 shown]
	v_lshlrev_b64 v[1:2], 2, v[2:3]
	v_mov_b32_e32 v3, s57
	v_add_co_u32_e32 v1, vcc, s56, v1
	v_addc_co_u32_e32 v2, vcc, v3, v2, vcc
	global_store_dwordx4 v[1:2], v[5:8], off
	s_and_b64 exec, exec, s[2:3]
	s_cbranch_execz .LBB5_12
; %bb.29:
	v_ashrrev_i32_e32 v1, 31, v0
	v_lshlrev_b64 v[0:1], 3, v[0:1]
	v_mov_b32_e32 v2, s59
	v_add_co_u32_e32 v0, vcc, s58, v0
	v_addc_co_u32_e32 v1, vcc, v2, v1, vcc
	v_mov_b32_e32 v11, v4
	global_store_dwordx2 v[0:1], v[11:12], off
	s_endpgm
	.section	.rodata,"a",@progbits
	.p2align	6, 0x0
	.amdhsa_kernel _ZL15flash_attn_tileILi128ELi128ELi4ELi8ELb0EEvPKcS1_S1_S1_S1_PKiPfP15HIP_vector_typeIfLj2EEffffjfiS5_IjLj3EEiiiiiiiiiiiliiliiiiil
		.amdhsa_group_segment_fixed_size 21504
		.amdhsa_private_segment_fixed_size 0
		.amdhsa_kernarg_size 464
		.amdhsa_user_sgpr_count 6
		.amdhsa_user_sgpr_private_segment_buffer 1
		.amdhsa_user_sgpr_dispatch_ptr 0
		.amdhsa_user_sgpr_queue_ptr 0
		.amdhsa_user_sgpr_kernarg_segment_ptr 1
		.amdhsa_user_sgpr_dispatch_id 0
		.amdhsa_user_sgpr_flat_scratch_init 0
		.amdhsa_user_sgpr_private_segment_size 0
		.amdhsa_uses_dynamic_stack 0
		.amdhsa_system_sgpr_private_segment_wavefront_offset 0
		.amdhsa_system_sgpr_workgroup_id_x 1
		.amdhsa_system_sgpr_workgroup_id_y 1
		.amdhsa_system_sgpr_workgroup_id_z 1
		.amdhsa_system_sgpr_workgroup_info 0
		.amdhsa_system_vgpr_workitem_id 1
		.amdhsa_next_free_vgpr 94
		.amdhsa_next_free_sgpr 98
		.amdhsa_reserve_vcc 1
		.amdhsa_reserve_flat_scratch 0
		.amdhsa_float_round_mode_32 0
		.amdhsa_float_round_mode_16_64 0
		.amdhsa_float_denorm_mode_32 3
		.amdhsa_float_denorm_mode_16_64 3
		.amdhsa_dx10_clamp 1
		.amdhsa_ieee_mode 1
		.amdhsa_fp16_overflow 0
		.amdhsa_exception_fp_ieee_invalid_op 0
		.amdhsa_exception_fp_denorm_src 0
		.amdhsa_exception_fp_ieee_div_zero 0
		.amdhsa_exception_fp_ieee_overflow 0
		.amdhsa_exception_fp_ieee_underflow 0
		.amdhsa_exception_fp_ieee_inexact 0
		.amdhsa_exception_int_div_zero 0
	.end_amdhsa_kernel
	.section	.text._ZL15flash_attn_tileILi128ELi128ELi4ELi8ELb0EEvPKcS1_S1_S1_S1_PKiPfP15HIP_vector_typeIfLj2EEffffjfiS5_IjLj3EEiiiiiiiiiiiliiliiiiil,"axG",@progbits,_ZL15flash_attn_tileILi128ELi128ELi4ELi8ELb0EEvPKcS1_S1_S1_S1_PKiPfP15HIP_vector_typeIfLj2EEffffjfiS5_IjLj3EEiiiiiiiiiiiliiliiiiil,comdat
.Lfunc_end5:
	.size	_ZL15flash_attn_tileILi128ELi128ELi4ELi8ELb0EEvPKcS1_S1_S1_S1_PKiPfP15HIP_vector_typeIfLj2EEffffjfiS5_IjLj3EEiiiiiiiiiiiliiliiiiil, .Lfunc_end5-_ZL15flash_attn_tileILi128ELi128ELi4ELi8ELb0EEvPKcS1_S1_S1_S1_PKiPfP15HIP_vector_typeIfLj2EEffffjfiS5_IjLj3EEiiiiiiiiiiiliiliiiiil
                                        ; -- End function
	.set _ZL15flash_attn_tileILi128ELi128ELi4ELi8ELb0EEvPKcS1_S1_S1_S1_PKiPfP15HIP_vector_typeIfLj2EEffffjfiS5_IjLj3EEiiiiiiiiiiiliiliiiiil.num_vgpr, 94
	.set _ZL15flash_attn_tileILi128ELi128ELi4ELi8ELb0EEvPKcS1_S1_S1_S1_PKiPfP15HIP_vector_typeIfLj2EEffffjfiS5_IjLj3EEiiiiiiiiiiiliiliiiiil.num_agpr, 0
	.set _ZL15flash_attn_tileILi128ELi128ELi4ELi8ELb0EEvPKcS1_S1_S1_S1_PKiPfP15HIP_vector_typeIfLj2EEffffjfiS5_IjLj3EEiiiiiiiiiiiliiliiiiil.numbered_sgpr, 75
	.set _ZL15flash_attn_tileILi128ELi128ELi4ELi8ELb0EEvPKcS1_S1_S1_S1_PKiPfP15HIP_vector_typeIfLj2EEffffjfiS5_IjLj3EEiiiiiiiiiiiliiliiiiil.num_named_barrier, 0
	.set _ZL15flash_attn_tileILi128ELi128ELi4ELi8ELb0EEvPKcS1_S1_S1_S1_PKiPfP15HIP_vector_typeIfLj2EEffffjfiS5_IjLj3EEiiiiiiiiiiiliiliiiiil.private_seg_size, 0
	.set _ZL15flash_attn_tileILi128ELi128ELi4ELi8ELb0EEvPKcS1_S1_S1_S1_PKiPfP15HIP_vector_typeIfLj2EEffffjfiS5_IjLj3EEiiiiiiiiiiiliiliiiiil.uses_vcc, 1
	.set _ZL15flash_attn_tileILi128ELi128ELi4ELi8ELb0EEvPKcS1_S1_S1_S1_PKiPfP15HIP_vector_typeIfLj2EEffffjfiS5_IjLj3EEiiiiiiiiiiiliiliiiiil.uses_flat_scratch, 0
	.set _ZL15flash_attn_tileILi128ELi128ELi4ELi8ELb0EEvPKcS1_S1_S1_S1_PKiPfP15HIP_vector_typeIfLj2EEffffjfiS5_IjLj3EEiiiiiiiiiiiliiliiiiil.has_dyn_sized_stack, 0
	.set _ZL15flash_attn_tileILi128ELi128ELi4ELi8ELb0EEvPKcS1_S1_S1_S1_PKiPfP15HIP_vector_typeIfLj2EEffffjfiS5_IjLj3EEiiiiiiiiiiiliiliiiiil.has_recursion, 0
	.set _ZL15flash_attn_tileILi128ELi128ELi4ELi8ELb0EEvPKcS1_S1_S1_S1_PKiPfP15HIP_vector_typeIfLj2EEffffjfiS5_IjLj3EEiiiiiiiiiiiliiliiiiil.has_indirect_call, 0
	.section	.AMDGPU.csdata,"",@progbits
; Kernel info:
; codeLenInByte = 18832
; TotalNumSgprs: 79
; NumVgprs: 94
; ScratchSize: 0
; MemoryBound: 0
; FloatMode: 240
; IeeeMode: 1
; LDSByteSize: 21504 bytes/workgroup (compile time only)
; SGPRBlocks: 12
; VGPRBlocks: 23
; NumSGPRsForWavesPerEU: 102
; NumVGPRsForWavesPerEU: 94
; Occupancy: 2
; WaveLimiterHint : 1
; COMPUTE_PGM_RSRC2:SCRATCH_EN: 0
; COMPUTE_PGM_RSRC2:USER_SGPR: 6
; COMPUTE_PGM_RSRC2:TRAP_HANDLER: 0
; COMPUTE_PGM_RSRC2:TGID_X_EN: 1
; COMPUTE_PGM_RSRC2:TGID_Y_EN: 1
; COMPUTE_PGM_RSRC2:TGID_Z_EN: 1
; COMPUTE_PGM_RSRC2:TIDIG_COMP_CNT: 1
	.section	.text._ZL25flash_attn_mask_to_KV_maxILi4EEvPK7__half2Piiii,"axG",@progbits,_ZL25flash_attn_mask_to_KV_maxILi4EEvPK7__half2Piiii,comdat
	.globl	_ZL25flash_attn_mask_to_KV_maxILi4EEvPK7__half2Piiii ; -- Begin function _ZL25flash_attn_mask_to_KV_maxILi4EEvPK7__half2Piiii
	.p2align	8
	.type	_ZL25flash_attn_mask_to_KV_maxILi4EEvPK7__half2Piiii,@function
_ZL25flash_attn_mask_to_KV_maxILi4EEvPK7__half2Piiii: ; @_ZL25flash_attn_mask_to_KV_maxILi4EEvPK7__half2Piiii
; %bb.0:
	s_load_dwordx4 s[8:11], s[4:5], 0x0
	v_cmp_gt_u32_e32 vcc, 32, v0
	s_and_saveexec_b64 s[0:1], vcc
; %bb.1:
	v_lshlrev_b32_e32 v1, 2, v0
	v_mov_b32_e32 v2, 1
	ds_write_b32 v1, v2
; %bb.2:
	s_or_b64 exec, exec, s[0:1]
	s_load_dwordx4 s[12:15], s[4:5], 0x10
	s_load_dword s22, s[4:5], 0x20
	v_and_b32_e32 v1, 31, v0
	v_lshlrev_b32_e32 v6, 2, v1
	v_lshrrev_b32_e32 v5, 3, v0
	s_waitcnt lgkmcnt(0)
	s_mul_i32 s1, s6, s13
	s_mul_i32 s0, s14, s7
	s_lshl_b32 s1, s1, 2
	s_add_i32 s0, s0, s1
	s_ashr_i32 s1, s0, 31
	s_lshl_b64 s[0:1], s[0:1], 2
	s_add_u32 s23, s8, s0
	s_addc_u32 s24, s9, s1
	v_cmp_eq_u32_e64 s[0:1], 0, v1
	v_mbcnt_lo_u32_b32 v1, -1, 0
	s_lshl_b32 s12, s12, 8
	s_mov_b64 s[4:5], 0
	v_mov_b32_e32 v2, 0
	s_movk_i32 s25, 0x204
	v_mbcnt_hi_u32_b32 v7, -1, v1
	s_barrier
                                        ; implicit-def: $sgpr2_sgpr3
	s_branch .LBB6_5
.LBB6_3:                                ;   in Loop: Header=BB6_5 Depth=1
	s_or_b64 exec, exec, s[8:9]
	s_waitcnt lgkmcnt(0)
	s_barrier
	ds_read_b32 v10, v6
	s_waitcnt lgkmcnt(0)
	s_barrier
	ds_bpermute_b32 v1, v1, v10
	v_cmp_ne_u32_e32 vcc, 0, v10
	s_waitcnt lgkmcnt(0)
	v_cmp_ne_u32_e64 s[2:3], 0, v1
	s_and_b64 s[2:3], vcc, s[2:3]
	v_cndmask_b32_e64 v1, 0, 1, s[2:3]
	ds_bpermute_b32 v1, v3, v1
	s_waitcnt lgkmcnt(0)
	v_cmp_ne_u32_e32 vcc, 0, v1
	s_and_b64 s[2:3], vcc, s[2:3]
	v_cndmask_b32_e64 v1, 0, 1, s[2:3]
	ds_bpermute_b32 v1, v4, v1
	s_waitcnt lgkmcnt(0)
	v_cmp_ne_u32_e32 vcc, 0, v1
	;; [unrolled: 5-line block ×3, first 2 shown]
	s_and_b64 s[2:3], vcc, s[2:3]
	v_cndmask_b32_e64 v1, 0, 1, s[2:3]
	ds_bpermute_b32 v1, v9, v1
	s_xor_b64 s[2:3], s[2:3], -1
	s_waitcnt lgkmcnt(0)
	v_cmp_eq_u32_e32 vcc, 0, v1
	s_or_b64 s[2:3], vcc, s[2:3]
.LBB6_4:                                ;   in Loop: Header=BB6_5 Depth=1
	s_and_b64 s[8:9], exec, s[2:3]
	s_or_b64 s[4:5], s[8:9], s[4:5]
	v_mov_b32_e32 v1, s12
	s_mov_b32 s12, s26
	s_andn2_b64 exec, exec, s[4:5]
	s_cbranch_execz .LBB6_20
.LBB6_5:                                ; =>This Inner Loop Header: Depth=1
	s_add_i32 s26, s12, 0xffffff00
	s_or_b64 s[2:3], s[2:3], exec
	s_cmp_lt_i32 s26, 0
	s_cbranch_scc1 .LBB6_4
; %bb.6:                                ;   in Loop: Header=BB6_5 Depth=1
	s_lshr_b32 s2, s26, 1
	v_add_u32_e32 v1, s2, v0
	v_lshlrev_b64 v[3:4], 2, v[1:2]
	v_mov_b32_e32 v8, s24
	v_add_co_u32_e32 v3, vcc, s23, v3
	v_addc_co_u32_e32 v4, vcc, v8, v4, vcc
	global_load_dword v3, v[3:4], off
	v_mov_b32_e32 v4, 0
	s_waitcnt vmcnt(0)
	v_cmp_class_f16_e64 s[2:3], v3, s25
	v_cmp_class_f16_sdwa s[8:9], v3, s25 src0_sel:WORD_1 src1_sel:DWORD
	s_and_b64 s[8:9], s[2:3], s[8:9]
	s_and_saveexec_b64 s[2:3], s[8:9]
	s_cbranch_execz .LBB6_18
; %bb.7:                                ;   in Loop: Header=BB6_5 Depth=1
	v_add_u32_e32 v3, s13, v1
	v_ashrrev_i32_e32 v4, 31, v3
	v_lshlrev_b64 v[8:9], 2, v[3:4]
	v_mov_b32_e32 v1, s24
	v_add_co_u32_e32 v8, vcc, s23, v8
	v_addc_co_u32_e32 v9, vcc, v1, v9, vcc
	global_load_dword v1, v[8:9], off
	v_mov_b32_e32 v4, 0
	s_waitcnt vmcnt(0)
	v_cmp_class_f16_e64 s[14:15], v1, s25
	s_and_saveexec_b64 s[8:9], s[14:15]
	s_cbranch_execz .LBB6_17
; %bb.8:                                ;   in Loop: Header=BB6_5 Depth=1
	v_cmp_class_f16_sdwa s[16:17], v1, s25 src0_sel:WORD_1 src1_sel:DWORD
	v_mov_b32_e32 v4, 0
	s_and_saveexec_b64 s[14:15], s[16:17]
	s_cbranch_execz .LBB6_16
; %bb.9:                                ;   in Loop: Header=BB6_5 Depth=1
	v_add_u32_e32 v3, s13, v3
	v_ashrrev_i32_e32 v4, 31, v3
	v_lshlrev_b64 v[8:9], 2, v[3:4]
	v_mov_b32_e32 v1, s24
	v_add_co_u32_e32 v8, vcc, s23, v8
	v_addc_co_u32_e32 v9, vcc, v1, v9, vcc
	global_load_dword v1, v[8:9], off
	v_mov_b32_e32 v4, 0
	s_waitcnt vmcnt(0)
	v_cmp_class_f16_e64 s[18:19], v1, s25
	s_and_saveexec_b64 s[16:17], s[18:19]
	s_cbranch_execz .LBB6_15
; %bb.10:                               ;   in Loop: Header=BB6_5 Depth=1
	v_cmp_class_f16_sdwa s[20:21], v1, s25 src0_sel:WORD_1 src1_sel:DWORD
	v_mov_b32_e32 v4, 0
	s_and_saveexec_b64 s[18:19], s[20:21]
	s_cbranch_execz .LBB6_14
; %bb.11:                               ;   in Loop: Header=BB6_5 Depth=1
	v_add_u32_e32 v3, s13, v3
	v_ashrrev_i32_e32 v4, 31, v3
	v_lshlrev_b64 v[3:4], 2, v[3:4]
	v_mov_b32_e32 v1, s24
	v_add_co_u32_e32 v3, vcc, s23, v3
	v_addc_co_u32_e32 v4, vcc, v1, v4, vcc
	global_load_dword v1, v[3:4], off
	v_mov_b32_e32 v4, 0
	s_waitcnt vmcnt(0)
	v_cmp_class_f16_e64 s[28:29], v1, s25
	s_and_saveexec_b64 s[20:21], s[28:29]
; %bb.12:                               ;   in Loop: Header=BB6_5 Depth=1
	v_cmp_class_f16_sdwa s[28:29], v1, s25 src0_sel:WORD_1 src1_sel:DWORD
	v_cndmask_b32_e64 v4, 0, 1, s[28:29]
; %bb.13:                               ;   in Loop: Header=BB6_5 Depth=1
	s_or_b64 exec, exec, s[20:21]
.LBB6_14:                               ;   in Loop: Header=BB6_5 Depth=1
	s_or_b64 exec, exec, s[18:19]
.LBB6_15:                               ;   in Loop: Header=BB6_5 Depth=1
	s_or_b64 exec, exec, s[16:17]
.LBB6_16:                               ;   in Loop: Header=BB6_5 Depth=1
	s_or_b64 exec, exec, s[14:15]
.LBB6_17:                               ;   in Loop: Header=BB6_5 Depth=1
	s_or_b64 exec, exec, s[8:9]
.LBB6_18:                               ;   in Loop: Header=BB6_5 Depth=1
	s_or_b64 exec, exec, s[2:3]
	v_and_b32_e32 v1, 0x60, v7
	v_add_u32_e32 v9, 32, v1
	v_xor_b32_e32 v1, 16, v7
	v_cmp_lt_i32_e32 vcc, v1, v9
	v_cndmask_b32_e32 v1, v7, v1, vcc
	v_lshlrev_b32_e32 v1, 2, v1
	ds_bpermute_b32 v3, v1, v4
	v_cmp_ne_u32_e32 vcc, 0, v4
	v_xor_b32_e32 v11, 1, v7
	s_waitcnt lgkmcnt(0)
	v_cmp_ne_u32_e64 s[2:3], 0, v3
	v_xor_b32_e32 v3, 8, v7
	s_and_b64 s[2:3], vcc, s[2:3]
	v_cmp_lt_i32_e32 vcc, v3, v9
	v_cndmask_b32_e32 v3, v7, v3, vcc
	v_cndmask_b32_e64 v4, 0, 1, s[2:3]
	v_lshlrev_b32_e32 v3, 2, v3
	ds_bpermute_b32 v4, v3, v4
	s_waitcnt lgkmcnt(0)
	v_cmp_ne_u32_e32 vcc, 0, v4
	v_xor_b32_e32 v4, 4, v7
	s_and_b64 s[2:3], vcc, s[2:3]
	v_cmp_lt_i32_e32 vcc, v4, v9
	v_cndmask_b32_e32 v4, v7, v4, vcc
	v_cndmask_b32_e64 v8, 0, 1, s[2:3]
	v_lshlrev_b32_e32 v4, 2, v4
	ds_bpermute_b32 v8, v4, v8
	s_waitcnt lgkmcnt(0)
	v_cmp_ne_u32_e32 vcc, 0, v8
	;; [unrolled: 9-line block ×3, first 2 shown]
	s_and_b64 s[2:3], vcc, s[2:3]
	v_cmp_lt_i32_e32 vcc, v11, v9
	v_cndmask_b32_e32 v9, v7, v11, vcc
	v_cndmask_b32_e64 v10, 0, 1, s[2:3]
	v_lshlrev_b32_e32 v9, 2, v9
	ds_bpermute_b32 v10, v9, v10
	s_and_saveexec_b64 s[8:9], s[0:1]
	s_cbranch_execz .LBB6_3
; %bb.19:                               ;   in Loop: Header=BB6_5 Depth=1
	s_waitcnt lgkmcnt(0)
	v_cmp_ne_u32_e32 vcc, 0, v10
	s_and_b64 s[2:3], vcc, s[2:3]
	v_cndmask_b32_e64 v10, 0, 1, s[2:3]
	ds_write_b32 v5, v10
	s_branch .LBB6_3
.LBB6_20:
	s_or_b64 exec, exec, s[4:5]
	v_cmp_eq_u32_e32 vcc, 0, v0
	s_and_saveexec_b64 s[0:1], vcc
	s_cbranch_execz .LBB6_22
; %bb.21:
	s_mul_i32 s0, s22, s7
	s_add_i32 s0, s0, s6
	s_ashr_i32 s1, s0, 31
	s_lshl_b64 s[0:1], s[0:1], 2
	s_add_u32 s0, s10, s0
	s_addc_u32 s1, s11, s1
	v_mov_b32_e32 v0, 0
	global_store_dword v0, v1, s[0:1]
.LBB6_22:
	s_endpgm
	.section	.rodata,"a",@progbits
	.p2align	6, 0x0
	.amdhsa_kernel _ZL25flash_attn_mask_to_KV_maxILi4EEvPK7__half2Piiii
		.amdhsa_group_segment_fixed_size 128
		.amdhsa_private_segment_fixed_size 0
		.amdhsa_kernarg_size 288
		.amdhsa_user_sgpr_count 6
		.amdhsa_user_sgpr_private_segment_buffer 1
		.amdhsa_user_sgpr_dispatch_ptr 0
		.amdhsa_user_sgpr_queue_ptr 0
		.amdhsa_user_sgpr_kernarg_segment_ptr 1
		.amdhsa_user_sgpr_dispatch_id 0
		.amdhsa_user_sgpr_flat_scratch_init 0
		.amdhsa_user_sgpr_private_segment_size 0
		.amdhsa_uses_dynamic_stack 0
		.amdhsa_system_sgpr_private_segment_wavefront_offset 0
		.amdhsa_system_sgpr_workgroup_id_x 1
		.amdhsa_system_sgpr_workgroup_id_y 1
		.amdhsa_system_sgpr_workgroup_id_z 0
		.amdhsa_system_sgpr_workgroup_info 0
		.amdhsa_system_vgpr_workitem_id 0
		.amdhsa_next_free_vgpr 12
		.amdhsa_next_free_sgpr 30
		.amdhsa_reserve_vcc 1
		.amdhsa_reserve_flat_scratch 0
		.amdhsa_float_round_mode_32 0
		.amdhsa_float_round_mode_16_64 0
		.amdhsa_float_denorm_mode_32 3
		.amdhsa_float_denorm_mode_16_64 3
		.amdhsa_dx10_clamp 1
		.amdhsa_ieee_mode 1
		.amdhsa_fp16_overflow 0
		.amdhsa_exception_fp_ieee_invalid_op 0
		.amdhsa_exception_fp_denorm_src 0
		.amdhsa_exception_fp_ieee_div_zero 0
		.amdhsa_exception_fp_ieee_overflow 0
		.amdhsa_exception_fp_ieee_underflow 0
		.amdhsa_exception_fp_ieee_inexact 0
		.amdhsa_exception_int_div_zero 0
	.end_amdhsa_kernel
	.section	.text._ZL25flash_attn_mask_to_KV_maxILi4EEvPK7__half2Piiii,"axG",@progbits,_ZL25flash_attn_mask_to_KV_maxILi4EEvPK7__half2Piiii,comdat
.Lfunc_end6:
	.size	_ZL25flash_attn_mask_to_KV_maxILi4EEvPK7__half2Piiii, .Lfunc_end6-_ZL25flash_attn_mask_to_KV_maxILi4EEvPK7__half2Piiii
                                        ; -- End function
	.set _ZL25flash_attn_mask_to_KV_maxILi4EEvPK7__half2Piiii.num_vgpr, 12
	.set _ZL25flash_attn_mask_to_KV_maxILi4EEvPK7__half2Piiii.num_agpr, 0
	.set _ZL25flash_attn_mask_to_KV_maxILi4EEvPK7__half2Piiii.numbered_sgpr, 30
	.set _ZL25flash_attn_mask_to_KV_maxILi4EEvPK7__half2Piiii.num_named_barrier, 0
	.set _ZL25flash_attn_mask_to_KV_maxILi4EEvPK7__half2Piiii.private_seg_size, 0
	.set _ZL25flash_attn_mask_to_KV_maxILi4EEvPK7__half2Piiii.uses_vcc, 1
	.set _ZL25flash_attn_mask_to_KV_maxILi4EEvPK7__half2Piiii.uses_flat_scratch, 0
	.set _ZL25flash_attn_mask_to_KV_maxILi4EEvPK7__half2Piiii.has_dyn_sized_stack, 0
	.set _ZL25flash_attn_mask_to_KV_maxILi4EEvPK7__half2Piiii.has_recursion, 0
	.set _ZL25flash_attn_mask_to_KV_maxILi4EEvPK7__half2Piiii.has_indirect_call, 0
	.section	.AMDGPU.csdata,"",@progbits
; Kernel info:
; codeLenInByte = 1008
; TotalNumSgprs: 34
; NumVgprs: 12
; ScratchSize: 0
; MemoryBound: 0
; FloatMode: 240
; IeeeMode: 1
; LDSByteSize: 128 bytes/workgroup (compile time only)
; SGPRBlocks: 4
; VGPRBlocks: 2
; NumSGPRsForWavesPerEU: 34
; NumVGPRsForWavesPerEU: 12
; Occupancy: 10
; WaveLimiterHint : 0
; COMPUTE_PGM_RSRC2:SCRATCH_EN: 0
; COMPUTE_PGM_RSRC2:USER_SGPR: 6
; COMPUTE_PGM_RSRC2:TRAP_HANDLER: 0
; COMPUTE_PGM_RSRC2:TGID_X_EN: 1
; COMPUTE_PGM_RSRC2:TGID_Y_EN: 1
; COMPUTE_PGM_RSRC2:TGID_Z_EN: 0
; COMPUTE_PGM_RSRC2:TIDIG_COMP_CNT: 0
	.section	.text._ZL33flash_attn_stream_k_fixup_uniformILi128ELi4ELi8EEvPfPK15HIP_vector_typeIfLj2EEiiiiiiS1_IjLj3EES5_S5_,"axG",@progbits,_ZL33flash_attn_stream_k_fixup_uniformILi128ELi4ELi8EEvPfPK15HIP_vector_typeIfLj2EEiiiiiiS1_IjLj3EES5_S5_,comdat
	.globl	_ZL33flash_attn_stream_k_fixup_uniformILi128ELi4ELi8EEvPfPK15HIP_vector_typeIfLj2EEiiiiiiS1_IjLj3EES5_S5_ ; -- Begin function _ZL33flash_attn_stream_k_fixup_uniformILi128ELi4ELi8EEvPfPK15HIP_vector_typeIfLj2EEiiiiiiS1_IjLj3EES5_S5_
	.p2align	8
	.type	_ZL33flash_attn_stream_k_fixup_uniformILi128ELi4ELi8EEvPfPK15HIP_vector_typeIfLj2EEiiiiiiS1_IjLj3EES5_S5_,@function
_ZL33flash_attn_stream_k_fixup_uniformILi128ELi4ELi8EEvPfPK15HIP_vector_typeIfLj2EEiiiiiiS1_IjLj3EES5_S5_: ; @_ZL33flash_attn_stream_k_fixup_uniformILi128ELi4ELi8EEvPfPK15HIP_vector_typeIfLj2EEiiiiiiS1_IjLj3EES5_S5_
; %bb.0:
	s_load_dwordx8 s[12:19], s[4:5], 0x1c
	s_load_dwordx2 s[10:11], s[4:5], 0x10
	s_load_dwordx4 s[0:3], s[4:5], 0x3c
	s_waitcnt lgkmcnt(0)
	s_mul_hi_u32 s9, s15, s6
	s_add_i32 s9, s6, s9
	s_lshr_b32 s9, s9, s16
	s_mul_i32 s15, s9, s17
	s_sub_i32 s15, s6, s15
	s_mul_hi_u32 s16, s15, s18
	s_add_i32 s16, s15, s16
	s_lshr_b32 s16, s16, s19
	s_mul_i32 s0, s16, s0
	s_sub_i32 s0, s15, s0
	;; [unrolled: 5-line block ×3, first 2 shown]
	s_lshl_b32 s0, s17, 2
	s_lshl_b32 s15, s1, 3
	s_add_i32 s0, s0, s7
	s_cmp_lt_i32 s0, s10
	s_cselect_b64 s[0:1], -1, 0
	s_add_i32 s2, s15, s8
	s_cmp_lt_i32 s2, s13
	s_cselect_b64 s[2:3], -1, 0
	s_and_b64 s[0:1], s[0:1], s[2:3]
	s_andn2_b64 vcc, exec, s[0:1]
	s_cbranch_vccnz .LBB7_6
; %bb.1:
	s_load_dwordx4 s[0:3], s[4:5], 0x0
	s_mul_i32 s4, s9, s10
	s_add_i32 s4, s4, s7
	s_mul_i32 s4, s4, s11
	s_mul_i32 s16, s16, s13
	s_add_i32 s4, s4, s8
	s_add_i32 s4, s4, s16
	s_mul_i32 s5, s11, s17
	s_add_i32 s4, s4, s15
	s_lshl_b32 s5, s5, 9
	s_lshl_b32 s4, s4, 7
	s_add_i32 s5, s5, s4
	v_or_b32_e32 v1, s5, v0
	v_ashrrev_i32_e32 v2, 31, v1
	v_lshlrev_b64 v[1:2], 2, v[1:2]
	s_waitcnt lgkmcnt(0)
	v_mov_b32_e32 v3, s1
	v_add_co_u32_e32 v1, vcc, s0, v1
	v_addc_co_u32_e32 v2, vcc, v3, v2, vcc
	global_load_dword v8, v[1:2], off
	s_mul_i32 s9, s14, s6
	s_lshl_b32 s4, s7, 3
	s_add_i32 s11, s9, s14
	s_add_i32 s0, s4, s8
	s_lshl_b32 s1, s11, 5
	s_add_i32 s0, s0, s1
	s_sub_i32 s0, s0, 32
	s_ashr_i32 s1, s0, 31
	s_lshl_b64 s[0:1], s[0:1], 3
	s_add_u32 s0, s2, s0
	s_addc_u32 s1, s3, s1
	s_load_dword s5, s[0:1], 0x4
	s_add_i32 s10, s11, -2
	s_cmp_lt_i32 s10, s9
	s_cbranch_scc1 .LBB7_4
; %bb.2:
	s_lshl_b32 s16, s12, 7
	s_ashr_i32 s17, s16, 31
	s_lshl_b64 s[16:17], s[16:17], 2
	s_add_u32 s10, s2, s16
	s_addc_u32 s13, s3, s17
	s_add_i32 s6, s6, 1
	s_load_dword s0, s[0:1], 0x0
	s_mul_i32 s1, s14, s6
	s_lshl_b32 s7, s7, 10
	s_lshl_b32 s14, s8, 7
	;; [unrolled: 1-line block ×3, first 2 shown]
	s_add_i32 s7, s14, s7
	s_lshl_b32 s1, s1, 5
	s_add_i32 s7, s7, s6
	s_add_i32 s1, s8, s1
	s_lshl_b32 s6, s12, 5
	s_add_i32 s1, s1, s6
	v_or_b32_e32 v0, s7, v0
	s_add_i32 s1, s1, s4
	s_add_i32 s11, s11, -1
	v_add_u32_e32 v3, 0xffffe000, v0
	s_sub_i32 s4, s1, 64
	s_waitcnt lgkmcnt(0)
	v_mov_b32_e32 v7, s5
	v_mov_b32_e32 v6, s0
	;; [unrolled: 1-line block ×3, first 2 shown]
	s_mov_b32 s6, 0x3fb8aa3b
	s_mov_b32 s7, 0xc2ce8ed0
	;; [unrolled: 1-line block ×3, first 2 shown]
	v_mov_b32_e32 v5, 0x7f800000
	s_mov_b32 s12, 0xc1a00000
.LBB7_3:                                ; =>This Inner Loop Header: Depth=1
	v_ashrrev_i32_e32 v4, 31, v3
	v_lshlrev_b64 v[9:10], 2, v[3:4]
	s_ashr_i32 s5, s4, 31
	v_add_co_u32_e32 v9, vcc, s10, v9
	v_addc_co_u32_e32 v10, vcc, v0, v10, vcc
	global_load_dword v4, v[9:10], off
	s_lshl_b64 s[0:1], s[4:5], 3
	s_add_u32 s0, s2, s0
	s_addc_u32 s1, s3, s1
	s_load_dwordx2 s[14:15], s[0:1], 0x0
	s_waitcnt vmcnt(1)
	v_mov_b32_e32 v9, v8
	v_max_f32_e32 v8, v6, v6
	v_mov_b32_e32 v10, v7
	s_add_i32 s11, s11, -1
	s_waitcnt lgkmcnt(0)
	v_max_f32_e64 v7, s14, s14
	v_max_f32_e32 v7, v8, v7
	v_sub_f32_e32 v11, s14, v7
	v_sub_f32_e32 v8, v6, v7
	v_mul_f32_e32 v12, 0x3fb8aa3b, v11
	v_mov_b32_e32 v6, v7
	v_mul_f32_e32 v7, 0x3fb8aa3b, v8
	v_fma_f32 v15, v11, s6, -v12
	v_rndne_f32_e32 v16, v12
	v_fma_f32 v13, v8, s6, -v7
	v_rndne_f32_e32 v14, v7
	v_fmac_f32_e32 v15, 0x32a5705f, v11
	v_sub_f32_e32 v12, v12, v16
	v_fmac_f32_e32 v13, 0x32a5705f, v8
	v_sub_f32_e32 v7, v7, v14
	v_add_f32_e32 v12, v12, v15
	v_cvt_i32_f32_e32 v16, v16
	v_add_f32_e32 v7, v7, v13
	v_exp_f32_e32 v12, v12
	v_cvt_i32_f32_e32 v14, v14
	v_exp_f32_e32 v7, v7
	v_cmp_ngt_f32_e32 vcc, s7, v11
	v_ldexp_f32 v12, v12, v16
	v_cmp_ngt_f32_e64 s[0:1], s7, v8
	v_ldexp_f32 v7, v7, v14
	v_cndmask_b32_e32 v12, 0, v12, vcc
	v_cmp_nlt_f32_e32 vcc, s8, v11
	v_cndmask_b32_e64 v7, 0, v7, s[0:1]
	v_cmp_nlt_f32_e64 s[0:1], s8, v8
	v_cndmask_b32_e32 v12, v5, v12, vcc
	v_cmp_le_f32_e32 vcc, s12, v11
	v_cndmask_b32_e64 v7, v5, v7, s[0:1]
	v_cmp_le_f32_e64 s[0:1], s12, v8
	v_cndmask_b32_e32 v8, 0, v12, vcc
	s_sub_i32 s4, s4, 32
	v_cndmask_b32_e64 v11, 0, v7, s[0:1]
	v_mul_f32_e32 v7, s15, v8
	v_add_u32_e32 v3, 0xfffff000, v3
	s_cmp_le_i32 s11, s9
	v_fmac_f32_e32 v7, v10, v11
	s_waitcnt vmcnt(0)
	v_mul_f32_e32 v8, v4, v8
	v_fmac_f32_e32 v8, v9, v11
	s_cbranch_scc0 .LBB7_3
	s_branch .LBB7_5
.LBB7_4:
	s_waitcnt lgkmcnt(0)
	v_mov_b32_e32 v7, s5
.LBB7_5:
	s_waitcnt vmcnt(0)
	v_div_scale_f32 v0, s[0:1], v7, v7, v8
	v_div_scale_f32 v3, vcc, v8, v7, v8
	v_rcp_f32_e32 v4, v0
	v_fma_f32 v5, -v0, v4, 1.0
	v_fmac_f32_e32 v4, v5, v4
	v_mul_f32_e32 v5, v3, v4
	v_fma_f32 v6, -v0, v5, v3
	v_fmac_f32_e32 v5, v6, v4
	v_fma_f32 v0, -v0, v5, v3
	v_div_fmas_f32 v0, v0, v4, v5
	v_div_fixup_f32 v0, v0, v7, v8
	global_store_dword v[1:2], v0, off
.LBB7_6:
	s_endpgm
	.section	.rodata,"a",@progbits
	.p2align	6, 0x0
	.amdhsa_kernel _ZL33flash_attn_stream_k_fixup_uniformILi128ELi4ELi8EEvPfPK15HIP_vector_typeIfLj2EEiiiiiiS1_IjLj3EES5_S5_
		.amdhsa_group_segment_fixed_size 0
		.amdhsa_private_segment_fixed_size 0
		.amdhsa_kernarg_size 76
		.amdhsa_user_sgpr_count 6
		.amdhsa_user_sgpr_private_segment_buffer 1
		.amdhsa_user_sgpr_dispatch_ptr 0
		.amdhsa_user_sgpr_queue_ptr 0
		.amdhsa_user_sgpr_kernarg_segment_ptr 1
		.amdhsa_user_sgpr_dispatch_id 0
		.amdhsa_user_sgpr_flat_scratch_init 0
		.amdhsa_user_sgpr_private_segment_size 0
		.amdhsa_uses_dynamic_stack 0
		.amdhsa_system_sgpr_private_segment_wavefront_offset 0
		.amdhsa_system_sgpr_workgroup_id_x 1
		.amdhsa_system_sgpr_workgroup_id_y 1
		.amdhsa_system_sgpr_workgroup_id_z 1
		.amdhsa_system_sgpr_workgroup_info 0
		.amdhsa_system_vgpr_workitem_id 0
		.amdhsa_next_free_vgpr 17
		.amdhsa_next_free_sgpr 20
		.amdhsa_reserve_vcc 1
		.amdhsa_reserve_flat_scratch 0
		.amdhsa_float_round_mode_32 0
		.amdhsa_float_round_mode_16_64 0
		.amdhsa_float_denorm_mode_32 3
		.amdhsa_float_denorm_mode_16_64 3
		.amdhsa_dx10_clamp 1
		.amdhsa_ieee_mode 1
		.amdhsa_fp16_overflow 0
		.amdhsa_exception_fp_ieee_invalid_op 0
		.amdhsa_exception_fp_denorm_src 0
		.amdhsa_exception_fp_ieee_div_zero 0
		.amdhsa_exception_fp_ieee_overflow 0
		.amdhsa_exception_fp_ieee_underflow 0
		.amdhsa_exception_fp_ieee_inexact 0
		.amdhsa_exception_int_div_zero 0
	.end_amdhsa_kernel
	.section	.text._ZL33flash_attn_stream_k_fixup_uniformILi128ELi4ELi8EEvPfPK15HIP_vector_typeIfLj2EEiiiiiiS1_IjLj3EES5_S5_,"axG",@progbits,_ZL33flash_attn_stream_k_fixup_uniformILi128ELi4ELi8EEvPfPK15HIP_vector_typeIfLj2EEiiiiiiS1_IjLj3EES5_S5_,comdat
.Lfunc_end7:
	.size	_ZL33flash_attn_stream_k_fixup_uniformILi128ELi4ELi8EEvPfPK15HIP_vector_typeIfLj2EEiiiiiiS1_IjLj3EES5_S5_, .Lfunc_end7-_ZL33flash_attn_stream_k_fixup_uniformILi128ELi4ELi8EEvPfPK15HIP_vector_typeIfLj2EEiiiiiiS1_IjLj3EES5_S5_
                                        ; -- End function
	.set _ZL33flash_attn_stream_k_fixup_uniformILi128ELi4ELi8EEvPfPK15HIP_vector_typeIfLj2EEiiiiiiS1_IjLj3EES5_S5_.num_vgpr, 17
	.set _ZL33flash_attn_stream_k_fixup_uniformILi128ELi4ELi8EEvPfPK15HIP_vector_typeIfLj2EEiiiiiiS1_IjLj3EES5_S5_.num_agpr, 0
	.set _ZL33flash_attn_stream_k_fixup_uniformILi128ELi4ELi8EEvPfPK15HIP_vector_typeIfLj2EEiiiiiiS1_IjLj3EES5_S5_.numbered_sgpr, 20
	.set _ZL33flash_attn_stream_k_fixup_uniformILi128ELi4ELi8EEvPfPK15HIP_vector_typeIfLj2EEiiiiiiS1_IjLj3EES5_S5_.num_named_barrier, 0
	.set _ZL33flash_attn_stream_k_fixup_uniformILi128ELi4ELi8EEvPfPK15HIP_vector_typeIfLj2EEiiiiiiS1_IjLj3EES5_S5_.private_seg_size, 0
	.set _ZL33flash_attn_stream_k_fixup_uniformILi128ELi4ELi8EEvPfPK15HIP_vector_typeIfLj2EEiiiiiiS1_IjLj3EES5_S5_.uses_vcc, 1
	.set _ZL33flash_attn_stream_k_fixup_uniformILi128ELi4ELi8EEvPfPK15HIP_vector_typeIfLj2EEiiiiiiS1_IjLj3EES5_S5_.uses_flat_scratch, 0
	.set _ZL33flash_attn_stream_k_fixup_uniformILi128ELi4ELi8EEvPfPK15HIP_vector_typeIfLj2EEiiiiiiS1_IjLj3EES5_S5_.has_dyn_sized_stack, 0
	.set _ZL33flash_attn_stream_k_fixup_uniformILi128ELi4ELi8EEvPfPK15HIP_vector_typeIfLj2EEiiiiiiS1_IjLj3EES5_S5_.has_recursion, 0
	.set _ZL33flash_attn_stream_k_fixup_uniformILi128ELi4ELi8EEvPfPK15HIP_vector_typeIfLj2EEiiiiiiS1_IjLj3EES5_S5_.has_indirect_call, 0
	.section	.AMDGPU.csdata,"",@progbits
; Kernel info:
; codeLenInByte = 856
; TotalNumSgprs: 24
; NumVgprs: 17
; ScratchSize: 0
; MemoryBound: 0
; FloatMode: 240
; IeeeMode: 1
; LDSByteSize: 0 bytes/workgroup (compile time only)
; SGPRBlocks: 2
; VGPRBlocks: 4
; NumSGPRsForWavesPerEU: 24
; NumVGPRsForWavesPerEU: 17
; Occupancy: 10
; WaveLimiterHint : 0
; COMPUTE_PGM_RSRC2:SCRATCH_EN: 0
; COMPUTE_PGM_RSRC2:USER_SGPR: 6
; COMPUTE_PGM_RSRC2:TRAP_HANDLER: 0
; COMPUTE_PGM_RSRC2:TGID_X_EN: 1
; COMPUTE_PGM_RSRC2:TGID_Y_EN: 1
; COMPUTE_PGM_RSRC2:TGID_Z_EN: 1
; COMPUTE_PGM_RSRC2:TIDIG_COMP_CNT: 0
	.section	.text._ZL33flash_attn_stream_k_fixup_generalILi128ELi4ELi8EEvPfPK15HIP_vector_typeIfLj2EEiiiiS1_IjLj3EES5_S5_S5_,"axG",@progbits,_ZL33flash_attn_stream_k_fixup_generalILi128ELi4ELi8EEvPfPK15HIP_vector_typeIfLj2EEiiiiS1_IjLj3EES5_S5_S5_,comdat
	.globl	_ZL33flash_attn_stream_k_fixup_generalILi128ELi4ELi8EEvPfPK15HIP_vector_typeIfLj2EEiiiiS1_IjLj3EES5_S5_S5_ ; -- Begin function _ZL33flash_attn_stream_k_fixup_generalILi128ELi4ELi8EEvPfPK15HIP_vector_typeIfLj2EEiiiiS1_IjLj3EES5_S5_S5_
	.p2align	8
	.type	_ZL33flash_attn_stream_k_fixup_generalILi128ELi4ELi8EEvPfPK15HIP_vector_typeIfLj2EEiiiiS1_IjLj3EES5_S5_S5_,@function
_ZL33flash_attn_stream_k_fixup_generalILi128ELi4ELi8EEvPfPK15HIP_vector_typeIfLj2EEiiiiS1_IjLj3EES5_S5_S5_: ; @_ZL33flash_attn_stream_k_fixup_generalILi128ELi4ELi8EEvPfPK15HIP_vector_typeIfLj2EEiiiiS1_IjLj3EES5_S5_S5_
; %bb.0:
	s_load_dwordx4 s[0:3], s[4:5], 0x10
	s_load_dword s22, s[4:5], 0x50
	s_mov_b32 s12, 0
	s_waitcnt lgkmcnt(0)
	s_mul_hi_i32 s13, s3, s6
	s_cmp_lg_u64 s[12:13], 0
	s_mul_i32 s9, s3, s6
	s_cbranch_scc0 .LBB8_20
; %bb.1:
	s_add_u32 s10, s22, 0
	s_addc_u32 s11, 0, 0
	s_xor_b64 s[10:11], s[10:11], 0
	v_cvt_f32_u32_e32 v1, s10
	v_cvt_f32_u32_e32 v2, s11
	s_sub_u32 s12, 0, s10
	s_subb_u32 s18, 0, s11
	v_madmk_f32 v1, v2, 0x4f800000, v1
	v_rcp_f32_e32 v1, v1
	v_mul_f32_e32 v1, 0x5f7ffffc, v1
	v_mul_f32_e32 v2, 0x2f800000, v1
	v_trunc_f32_e32 v2, v2
	v_madmk_f32 v1, v2, 0xcf800000, v1
	v_cvt_u32_f32_e32 v2, v2
	v_cvt_u32_f32_e32 v1, v1
	v_readfirstlane_b32 s19, v2
	v_readfirstlane_b32 s14, v1
	s_mul_i32 s15, s12, s19
	s_mul_hi_u32 s21, s12, s14
	s_mul_i32 s20, s18, s14
	s_add_i32 s15, s21, s15
	s_add_i32 s15, s15, s20
	s_mul_i32 s23, s12, s14
	s_mul_i32 s21, s14, s15
	s_mul_hi_u32 s24, s14, s23
	s_mul_hi_u32 s20, s14, s15
	s_add_u32 s21, s24, s21
	s_addc_u32 s20, 0, s20
	s_mul_hi_u32 s25, s19, s23
	s_mul_i32 s23, s19, s23
	s_add_u32 s21, s21, s23
	s_mul_hi_u32 s24, s19, s15
	s_addc_u32 s20, s20, s25
	s_addc_u32 s21, s24, 0
	s_mul_i32 s15, s19, s15
	s_add_u32 s15, s20, s15
	s_addc_u32 s20, 0, s21
	s_add_u32 s21, s14, s15
	s_cselect_b64 s[14:15], -1, 0
	s_cmp_lg_u64 s[14:15], 0
	s_addc_u32 s19, s19, s20
	s_mul_i32 s14, s12, s19
	s_mul_hi_u32 s15, s12, s21
	s_add_i32 s14, s15, s14
	s_mul_i32 s18, s18, s21
	s_add_i32 s14, s14, s18
	s_mul_i32 s12, s12, s21
	s_mul_hi_u32 s18, s19, s12
	s_mul_i32 s20, s19, s12
	s_mul_i32 s24, s21, s14
	s_mul_hi_u32 s12, s21, s12
	s_mul_hi_u32 s23, s21, s14
	s_add_u32 s12, s12, s24
	s_addc_u32 s23, 0, s23
	s_add_u32 s12, s12, s20
	s_mul_hi_u32 s15, s19, s14
	s_addc_u32 s12, s23, s18
	s_addc_u32 s15, s15, 0
	s_mul_i32 s14, s19, s14
	s_add_u32 s12, s12, s14
	s_addc_u32 s18, 0, s15
	s_add_u32 s20, s21, s12
	s_cselect_b64 s[14:15], -1, 0
	s_cmp_lg_u64 s[14:15], 0
	s_addc_u32 s18, s19, s18
	s_ashr_i32 s14, s13, 31
	s_add_u32 s12, s9, s14
	s_mov_b32 s15, s14
	s_addc_u32 s13, s13, s14
	s_xor_b64 s[12:13], s[12:13], s[14:15]
	s_mul_i32 s21, s12, s18
	s_mul_hi_u32 s23, s12, s20
	s_mul_hi_u32 s19, s12, s18
	s_add_u32 s21, s23, s21
	s_addc_u32 s19, 0, s19
	s_mul_hi_u32 s24, s13, s20
	s_mul_i32 s20, s13, s20
	s_add_u32 s20, s21, s20
	s_mul_hi_u32 s23, s13, s18
	s_addc_u32 s19, s19, s24
	s_addc_u32 s20, s23, 0
	s_mul_i32 s18, s13, s18
	s_add_u32 s23, s19, s18
	s_addc_u32 s24, 0, s20
	s_mul_i32 s18, s10, s24
	s_mul_hi_u32 s19, s10, s23
	s_add_i32 s18, s19, s18
	s_mul_i32 s19, s11, s23
	s_add_i32 s25, s18, s19
	s_sub_i32 s20, s13, s25
	s_mul_i32 s18, s10, s23
	s_sub_u32 s12, s12, s18
	s_cselect_b64 s[18:19], -1, 0
	s_cmp_lg_u64 s[18:19], 0
	s_subb_u32 s26, s20, s11
	s_sub_u32 s27, s12, s10
	s_cselect_b64 s[20:21], -1, 0
	s_cmp_lg_u64 s[20:21], 0
	s_subb_u32 s20, s26, 0
	s_cmp_ge_u32 s20, s11
	s_cselect_b32 s21, -1, 0
	s_cmp_ge_u32 s27, s10
	s_cselect_b32 s26, -1, 0
	s_cmp_eq_u32 s20, s11
	s_cselect_b32 s20, s26, s21
	s_add_u32 s21, s23, 1
	s_addc_u32 s26, s24, 0
	s_add_u32 s27, s23, 2
	s_addc_u32 s28, s24, 0
	s_cmp_lg_u32 s20, 0
	s_cselect_b32 s20, s27, s21
	s_cselect_b32 s21, s28, s26
	s_cmp_lg_u64 s[18:19], 0
	s_subb_u32 s13, s13, s25
	s_cmp_ge_u32 s13, s11
	s_cselect_b32 s18, -1, 0
	s_cmp_ge_u32 s12, s10
	s_cselect_b32 s10, -1, 0
	s_cmp_eq_u32 s13, s11
	s_cselect_b32 s10, s10, s18
	s_cmp_lg_u32 s10, 0
	s_cselect_b32 s11, s21, s24
	s_cselect_b32 s10, s20, s23
	s_xor_b64 s[12:13], s[14:15], 0
	s_xor_b64 s[10:11], s[10:11], s[12:13]
	s_sub_u32 s10, s10, s12
	s_load_dwordx4 s[12:15], s[4:5], 0x44
	s_cbranch_execnz .LBB8_3
.LBB8_2:
	v_cvt_f32_u32_e32 v1, s22
	s_sub_i32 s10, 0, s22
	v_rcp_iflag_f32_e32 v1, v1
	v_mul_f32_e32 v1, 0x4f7ffffe, v1
	v_cvt_u32_f32_e32 v1, v1
	v_readfirstlane_b32 s11, v1
	s_mul_i32 s10, s10, s11
	s_mul_hi_u32 s10, s11, s10
	s_add_i32 s11, s11, s10
	s_mul_hi_u32 s10, s9, s11
	s_waitcnt lgkmcnt(0)
	s_mul_i32 s15, s10, s22
	s_sub_i32 s9, s9, s15
	s_add_i32 s11, s10, 1
	s_sub_i32 s15, s9, s22
	s_cmp_ge_u32 s9, s22
	s_cselect_b32 s10, s11, s10
	s_cselect_b32 s9, s15, s9
	s_add_i32 s11, s10, 1
	s_cmp_ge_u32 s9, s22
	s_cselect_b32 s10, s11, s10
.LBB8_3:
	s_add_i32 s9, s6, 1
	s_mul_hi_i32 s21, s3, s9
	s_mov_b32 s20, 0
	s_cmp_lg_u64 s[20:21], 0
	s_mul_i32 s9, s3, s9
	s_cbranch_scc0 .LBB8_21
; %bb.4:
	s_add_u32 s16, s22, 0
	s_addc_u32 s17, 0, 0
	s_xor_b64 s[18:19], s[16:17], 0
	v_cvt_f32_u32_e32 v1, s18
	v_cvt_f32_u32_e32 v2, s19
	s_sub_u32 s11, 0, s18
	s_waitcnt lgkmcnt(0)
	s_subb_u32 s15, 0, s19
	v_madmk_f32 v1, v2, 0x4f800000, v1
	v_rcp_f32_e32 v1, v1
	v_mul_f32_e32 v1, 0x5f7ffffc, v1
	v_mul_f32_e32 v2, 0x2f800000, v1
	v_trunc_f32_e32 v2, v2
	v_madmk_f32 v1, v2, 0xcf800000, v1
	v_cvt_u32_f32_e32 v2, v2
	v_cvt_u32_f32_e32 v1, v1
	v_readfirstlane_b32 s20, v2
	v_readfirstlane_b32 s23, v1
	s_mul_i32 s24, s11, s20
	s_mul_hi_u32 s26, s11, s23
	s_mul_i32 s25, s15, s23
	s_add_i32 s24, s26, s24
	s_add_i32 s24, s24, s25
	s_mul_i32 s27, s11, s23
	s_mul_i32 s26, s23, s24
	s_mul_hi_u32 s28, s23, s27
	s_mul_hi_u32 s25, s23, s24
	s_add_u32 s26, s28, s26
	s_addc_u32 s25, 0, s25
	s_mul_hi_u32 s29, s20, s27
	s_mul_i32 s27, s20, s27
	s_add_u32 s26, s26, s27
	s_mul_hi_u32 s28, s20, s24
	s_addc_u32 s25, s25, s29
	s_addc_u32 s26, s28, 0
	s_mul_i32 s24, s20, s24
	s_add_u32 s24, s25, s24
	s_addc_u32 s26, 0, s26
	s_add_u32 s23, s23, s24
	s_cselect_b64 s[24:25], -1, 0
	s_cmp_lg_u64 s[24:25], 0
	s_addc_u32 s20, s20, s26
	s_mul_i32 s24, s11, s20
	s_mul_hi_u32 s25, s11, s23
	s_add_i32 s24, s25, s24
	s_mul_i32 s15, s15, s23
	s_add_i32 s24, s24, s15
	s_mul_i32 s11, s11, s23
	s_mul_hi_u32 s25, s20, s11
	s_mul_i32 s26, s20, s11
	s_mul_i32 s28, s23, s24
	s_mul_hi_u32 s11, s23, s11
	s_mul_hi_u32 s27, s23, s24
	s_add_u32 s11, s11, s28
	s_addc_u32 s27, 0, s27
	s_add_u32 s11, s11, s26
	s_mul_hi_u32 s15, s20, s24
	s_addc_u32 s11, s27, s25
	s_addc_u32 s15, s15, 0
	s_mul_i32 s24, s20, s24
	s_add_u32 s11, s11, s24
	s_addc_u32 s15, 0, s15
	s_add_u32 s11, s23, s11
	s_cselect_b64 s[24:25], -1, 0
	s_cmp_lg_u64 s[24:25], 0
	s_addc_u32 s15, s20, s15
	s_ashr_i32 s24, s21, 31
	s_add_u32 s20, s9, s24
	s_mov_b32 s25, s24
	s_addc_u32 s21, s21, s24
	s_xor_b64 s[20:21], s[20:21], s[24:25]
	s_mul_i32 s26, s20, s15
	s_mul_hi_u32 s27, s20, s11
	s_mul_hi_u32 s23, s20, s15
	s_add_u32 s26, s27, s26
	s_addc_u32 s23, 0, s23
	s_mul_hi_u32 s28, s21, s11
	s_mul_i32 s11, s21, s11
	s_add_u32 s11, s26, s11
	s_mul_hi_u32 s27, s21, s15
	s_addc_u32 s11, s23, s28
	s_addc_u32 s23, s27, 0
	s_mul_i32 s15, s21, s15
	s_add_u32 s11, s11, s15
	s_addc_u32 s15, 0, s23
	s_mul_i32 s23, s18, s15
	s_mul_hi_u32 s26, s18, s11
	s_add_i32 s23, s26, s23
	s_mul_i32 s26, s19, s11
	s_add_i32 s23, s23, s26
	s_sub_i32 s28, s21, s23
	s_mul_i32 s26, s18, s11
	s_sub_u32 s20, s20, s26
	s_cselect_b64 s[26:27], -1, 0
	s_cmp_lg_u64 s[26:27], 0
	s_subb_u32 s30, s28, s19
	s_sub_u32 s31, s20, s18
	s_cselect_b64 s[28:29], -1, 0
	s_cmp_lg_u64 s[28:29], 0
	s_subb_u32 s28, s30, 0
	s_cmp_ge_u32 s28, s19
	s_cselect_b32 s29, -1, 0
	s_cmp_ge_u32 s31, s18
	s_cselect_b32 s30, -1, 0
	s_cmp_eq_u32 s28, s19
	s_cselect_b32 s28, s30, s29
	s_add_u32 s29, s11, 1
	s_addc_u32 s30, s15, 0
	s_add_u32 s31, s11, 2
	s_addc_u32 s33, s15, 0
	s_cmp_lg_u32 s28, 0
	s_cselect_b32 s28, s31, s29
	s_cselect_b32 s29, s33, s30
	s_cmp_lg_u64 s[26:27], 0
	s_subb_u32 s21, s21, s23
	s_cmp_ge_u32 s21, s19
	s_cselect_b32 s23, -1, 0
	s_cmp_ge_u32 s20, s18
	s_cselect_b32 s18, -1, 0
	s_cmp_eq_u32 s21, s19
	s_cselect_b32 s18, s18, s23
	s_cmp_lg_u32 s18, 0
	s_cselect_b32 s19, s29, s15
	s_cselect_b32 s18, s28, s11
	s_xor_b64 s[20:21], s[24:25], 0
	s_xor_b64 s[18:19], s[18:19], s[20:21]
	s_sub_u32 s18, s18, s20
	s_cbranch_execnz .LBB8_6
.LBB8_5:
	v_cvt_f32_u32_e32 v1, s22
	s_sub_i32 s11, 0, s22
	v_rcp_iflag_f32_e32 v1, v1
	v_mul_f32_e32 v1, 0x4f7ffffe, v1
	v_cvt_u32_f32_e32 v1, v1
	s_waitcnt lgkmcnt(0)
	v_readfirstlane_b32 s15, v1
	s_mul_i32 s11, s11, s15
	s_mul_hi_u32 s11, s15, s11
	s_add_i32 s15, s15, s11
	s_mul_hi_u32 s11, s9, s15
	s_mul_i32 s16, s11, s22
	s_sub_i32 s9, s9, s16
	s_add_i32 s15, s11, 1
	s_sub_i32 s16, s9, s22
	s_cmp_ge_u32 s9, s22
	s_cselect_b32 s11, s15, s11
	s_cselect_b32 s9, s16, s9
	s_add_i32 s15, s11, 1
	s_cmp_ge_u32 s9, s22
	s_cselect_b32 s18, s15, s11
.LBB8_6:
	s_cmp_eq_u32 s10, s18
	s_waitcnt lgkmcnt(0)
	s_mul_hi_u32 s9, s10, s12
	s_cselect_b64 s[16:17], -1, 0
	s_add_i32 s9, s9, s10
	s_lshr_b32 s11, s9, s13
	s_mul_i32 s9, s11, s14
	s_cmp_eq_u32 s9, s10
	s_mul_hi_u32 s9, s18, s12
	s_cselect_b64 s[20:21], -1, 0
	s_add_i32 s9, s9, s18
	s_lshr_b32 s9, s9, s13
	s_cmp_eq_u32 s11, s9
	s_mul_i32 s9, s9, s14
	s_cselect_b64 s[24:25], -1, 0
	s_cmp_lg_u32 s9, s18
	s_cselect_b64 s[18:19], -1, 0
	s_and_b64 s[18:19], s[24:25], s[18:19]
	s_or_b64 s[16:17], s[16:17], s[20:21]
	s_or_b64 s[16:17], s[16:17], s[18:19]
	s_and_b64 vcc, exec, s[16:17]
	s_cbranch_vccnz .LBB8_23
; %bb.7:
	s_load_dwordx8 s[24:31], s[4:5], 0x20
	s_load_dword s15, s[4:5], 0x40
	s_waitcnt lgkmcnt(0)
	s_mul_hi_u32 s9, s10, s24
	s_add_i32 s9, s9, s10
	s_lshr_b32 s9, s9, s25
	s_mul_i32 s16, s9, s26
	s_sub_i32 s16, s10, s16
	s_mul_hi_u32 s17, s16, s27
	s_add_i32 s17, s16, s17
	s_lshr_b32 s23, s17, s28
	s_mul_i32 s17, s23, s29
	s_sub_i32 s16, s16, s17
	;; [unrolled: 5-line block ×3, first 2 shown]
	s_mul_hi_u32 s16, s15, s12
	s_add_i32 s15, s15, s16
	s_lshr_b32 s25, s15, s13
	s_lshl_b32 s15, s25, 2
	s_lshl_b32 s24, s17, 3
	s_add_i32 s15, s15, s7
	s_cmp_lt_i32 s15, s0
	s_cselect_b64 s[16:17], -1, 0
	s_add_i32 s15, s24, s8
	s_cmp_lt_i32 s15, s2
	s_cselect_b64 s[18:19], -1, 0
	s_and_b64 s[16:17], s[16:17], s[18:19]
	s_andn2_b64 vcc, exec, s[16:17]
	s_cbranch_vccnz .LBB8_23
; %bb.8:
	s_load_dwordx4 s[16:19], s[4:5], 0x0
	s_mov_b32 s4, 0
	s_lshl_b32 s15, s7, 3
	s_lshl_b32 s20, s22, 7
	s_mov_b32 s21, s4
	s_add_i32 s15, s15, s8
	s_lshl_b64 s[20:21], s[20:21], 2
	s_waitcnt lgkmcnt(0)
	s_add_u32 s20, s18, s20
	s_mul_i32 s0, s9, s0
	s_addc_u32 s21, s19, s21
	s_add_i32 s0, s0, s7
	s_mul_i32 s0, s0, s1
	s_mul_i32 s23, s23, s2
	s_add_i32 s0, s0, s8
	s_add_i32 s0, s0, s23
	s_mul_i32 s2, s1, s25
	s_add_i32 s0, s0, s24
	s_lshl_b32 s2, s2, 9
	s_lshl_b32 s0, s0, 7
	s_add_i32 s2, s2, s0
	v_or_b32_e32 v1, s2, v0
	v_ashrrev_i32_e32 v2, 31, v1
	v_lshlrev_b64 v[1:2], 2, v[1:2]
	v_mov_b32_e32 v3, s17
	v_add_co_u32_e32 v1, vcc, s16, v1
	v_addc_co_u32_e32 v2, vcc, v3, v2, vcc
	global_load_dword v3, v[1:2], off
	v_cvt_f32_u32_e32 v4, s22
	s_lshl_b32 s0, s6, 5
	s_add_i32 s0, s15, s0
	s_ashr_i32 s1, s0, 31
	s_lshl_b64 s[0:1], s[0:1], 3
	v_rcp_iflag_f32_e32 v4, v4
	s_add_u32 s0, s18, s0
	s_addc_u32 s1, s19, s1
	s_load_dwordx2 s[0:1], s[0:1], 0x0
	v_mul_f32_e32 v4, 0x4f7ffffe, v4
	v_cvt_u32_f32_e32 v4, v4
	s_add_i32 s24, s6, -1
	v_lshl_or_b32 v0, s15, 7, v0
	s_waitcnt lgkmcnt(0)
	v_mov_b32_e32 v6, s1
	v_mov_b32_e32 v7, s0
	s_mov_b32 s2, 0x3fb8aa3b
	s_mov_b32 s16, 0xc2ce8ed0
	;; [unrolled: 1-line block ×4, first 2 shown]
	v_mov_b32_e32 v5, 0x7f800000
	s_mul_hi_i32 s5, s24, s3
	s_cmp_lg_u64 s[4:5], 0
	s_mul_i32 s8, s24, s3
	s_cbranch_scc0 .LBB8_19
.LBB8_9:
	s_add_u32 s0, s22, 0
	s_addc_u32 s1, 0, 0
	s_xor_b64 s[0:1], s[0:1], 0
	v_cvt_f32_u32_e32 v8, s0
	v_cvt_f32_u32_e32 v9, s1
	s_sub_u32 s9, 0, s0
	s_subb_u32 s25, 0, s1
	v_mac_f32_e32 v8, 0x4f800000, v9
	v_rcp_f32_e32 v8, v8
	v_mul_f32_e32 v8, 0x5f7ffffc, v8
	v_mul_f32_e32 v9, 0x2f800000, v8
	v_trunc_f32_e32 v9, v9
	v_mac_f32_e32 v8, 0xcf800000, v9
	v_cvt_u32_f32_e32 v9, v9
	v_cvt_u32_f32_e32 v8, v8
	v_readfirstlane_b32 s26, v9
	v_readfirstlane_b32 s6, v8
	s_mul_i32 s7, s9, s26
	s_mul_hi_u32 s28, s9, s6
	s_mul_i32 s27, s25, s6
	s_add_i32 s7, s28, s7
	s_mul_i32 s29, s9, s6
	s_add_i32 s7, s7, s27
	s_mul_i32 s28, s6, s7
	s_mul_hi_u32 s30, s6, s29
	s_mul_hi_u32 s27, s6, s7
	s_add_u32 s28, s30, s28
	s_addc_u32 s27, 0, s27
	s_mul_hi_u32 s31, s26, s29
	s_mul_i32 s29, s26, s29
	s_add_u32 s28, s28, s29
	s_mul_hi_u32 s30, s26, s7
	s_addc_u32 s27, s27, s31
	s_addc_u32 s28, s30, 0
	s_mul_i32 s7, s26, s7
	s_add_u32 s7, s27, s7
	s_addc_u32 s27, 0, s28
	s_add_u32 s28, s6, s7
	s_cselect_b64 s[6:7], -1, 0
	s_cmp_lg_u64 s[6:7], 0
	s_addc_u32 s26, s26, s27
	s_mul_i32 s6, s9, s26
	s_mul_hi_u32 s7, s9, s28
	s_add_i32 s6, s7, s6
	s_mul_i32 s25, s25, s28
	s_add_i32 s6, s6, s25
	s_mul_i32 s9, s9, s28
	s_mul_hi_u32 s25, s26, s9
	s_mul_i32 s27, s26, s9
	s_mul_i32 s30, s28, s6
	s_mul_hi_u32 s9, s28, s9
	s_mul_hi_u32 s29, s28, s6
	s_add_u32 s9, s9, s30
	s_addc_u32 s29, 0, s29
	s_add_u32 s9, s9, s27
	s_mul_hi_u32 s7, s26, s6
	s_addc_u32 s9, s29, s25
	s_addc_u32 s7, s7, 0
	s_mul_i32 s6, s26, s6
	s_add_u32 s6, s9, s6
	s_addc_u32 s9, 0, s7
	s_add_u32 s25, s28, s6
	s_cselect_b64 s[6:7], -1, 0
	s_cmp_lg_u64 s[6:7], 0
	s_addc_u32 s9, s26, s9
	s_ashr_i32 s6, s5, 31
	s_add_u32 s26, s8, s6
	s_mov_b32 s7, s6
	s_addc_u32 s27, s5, s6
	s_xor_b64 s[26:27], s[26:27], s[6:7]
	s_mul_i32 s28, s26, s9
	s_mul_hi_u32 s29, s26, s25
	s_mul_hi_u32 s5, s26, s9
	s_add_u32 s28, s29, s28
	s_addc_u32 s5, 0, s5
	s_mul_hi_u32 s30, s27, s25
	s_mul_i32 s25, s27, s25
	s_add_u32 s25, s28, s25
	s_mul_hi_u32 s29, s27, s9
	s_addc_u32 s5, s5, s30
	s_addc_u32 s25, s29, 0
	s_mul_i32 s9, s27, s9
	s_add_u32 s5, s5, s9
	s_addc_u32 s9, 0, s25
	s_mul_i32 s25, s0, s9
	s_mul_hi_u32 s28, s0, s5
	s_add_i32 s25, s28, s25
	s_mul_i32 s28, s1, s5
	s_add_i32 s25, s25, s28
	s_sub_i32 s30, s27, s25
	s_mul_i32 s28, s0, s5
	s_sub_u32 s26, s26, s28
	s_cselect_b64 s[28:29], -1, 0
	s_cmp_lg_u64 s[28:29], 0
	s_subb_u32 s33, s30, s1
	s_sub_u32 s34, s26, s0
	s_cselect_b64 s[30:31], -1, 0
	s_cmp_lg_u64 s[30:31], 0
	s_subb_u32 s30, s33, 0
	s_cmp_ge_u32 s30, s1
	s_cselect_b32 s31, -1, 0
	s_cmp_ge_u32 s34, s0
	s_cselect_b32 s33, -1, 0
	s_cmp_eq_u32 s30, s1
	s_cselect_b32 s30, s33, s31
	s_add_u32 s31, s5, 1
	s_addc_u32 s33, s9, 0
	s_add_u32 s34, s5, 2
	s_addc_u32 s35, s9, 0
	s_cmp_lg_u32 s30, 0
	s_cselect_b32 s30, s34, s31
	s_cselect_b32 s31, s35, s33
	s_cmp_lg_u64 s[28:29], 0
	s_subb_u32 s25, s27, s25
	s_cmp_ge_u32 s25, s1
	s_cselect_b32 s27, -1, 0
	s_cmp_ge_u32 s26, s0
	s_cselect_b32 s0, -1, 0
	s_cmp_eq_u32 s25, s1
	s_cselect_b32 s0, s0, s27
	s_cmp_lg_u32 s0, 0
	s_cselect_b32 s1, s31, s9
	s_cselect_b32 s0, s30, s5
	s_xor_b64 s[6:7], s[6:7], 0
	s_xor_b64 s[0:1], s[0:1], s[6:7]
	s_sub_u32 s6, s0, s6
	s_cbranch_execnz .LBB8_11
.LBB8_10:
	s_sub_i32 s0, 0, s22
	v_readfirstlane_b32 s1, v4
	s_mul_i32 s0, s0, s1
	s_mul_hi_u32 s0, s1, s0
	s_add_i32 s1, s1, s0
	s_mul_hi_u32 s0, s8, s1
	s_mul_i32 s5, s0, s22
	s_sub_i32 s5, s8, s5
	s_add_i32 s1, s0, 1
	s_sub_i32 s6, s5, s22
	s_cmp_ge_u32 s5, s22
	s_cselect_b32 s0, s1, s0
	s_cselect_b32 s5, s6, s5
	s_add_i32 s1, s0, 1
	s_cmp_ge_u32 s5, s22
	s_cselect_b32 s6, s1, s0
.LBB8_11:
	s_cmp_lg_u32 s10, s6
	s_mov_b64 s[8:9], -1
                                        ; implicit-def: $sgpr0_sgpr1
                                        ; implicit-def: $vgpr10
                                        ; implicit-def: $vgpr8
                                        ; implicit-def: $vgpr9
                                        ; implicit-def: $sgpr5
                                        ; implicit-def: $sgpr7
	s_cbranch_scc1 .LBB8_14
; %bb.12:
	s_andn2_b64 vcc, exec, s[8:9]
	s_cbranch_vccz .LBB8_17
.LBB8_13:
	s_andn2_b64 vcc, exec, s[0:1]
	s_cbranch_vccnz .LBB8_18
	s_branch .LBB8_22
.LBB8_14:
	s_add_i32 s0, s24, s22
	s_lshl_b32 s0, s0, 5
	s_add_i32 s0, s0, s15
	s_mov_b32 s1, s4
	s_lshl_b64 s[0:1], s[0:1], 3
	s_add_u32 s8, s18, s0
	s_mul_hi_u32 s0, s6, s12
	s_addc_u32 s9, s19, s1
	s_add_i32 s0, s0, s6
	s_lshr_b32 s5, s0, s13
	s_mul_i32 s0, s5, s14
	s_cmp_eq_u32 s0, s6
	s_cselect_b64 s[0:1], -1, 0
	s_cmp_lt_u32 s5, s11
	s_cselect_b64 s[26:27], -1, 0
	s_or_b64 s[26:27], s[26:27], s[0:1]
	s_mov_b64 s[0:1], -1
	s_and_b64 vcc, exec, s[26:27]
	s_mov_b32 s5, s24
	s_mov_b32 s7, s10
	s_cbranch_vccnz .LBB8_16
; %bb.15:
	s_add_i32 s5, s24, -1
	s_mov_b64 s[0:1], 0
	s_mov_b32 s7, s6
.LBB8_16:
	v_lshl_add_u32 v8, s24, 12, v0
	v_ashrrev_i32_e32 v9, 31, v8
	v_lshlrev_b64 v[8:9], 2, v[8:9]
	v_mov_b32_e32 v10, s21
	v_add_co_u32_e32 v8, vcc, s20, v8
	v_addc_co_u32_e32 v9, vcc, v10, v9, vcc
	global_load_dword v10, v[8:9], off
	s_load_dwordx2 s[8:9], s[8:9], 0x0
	v_max_f32_e32 v8, v7, v7
	s_waitcnt lgkmcnt(0)
	v_max_f32_e64 v9, s8, s8
	v_max_f32_e32 v8, v8, v9
	v_sub_f32_e32 v9, v7, v8
	v_sub_f32_e32 v11, s8, v8
	v_mul_f32_e32 v12, 0x3fb8aa3b, v9
	v_mul_f32_e32 v13, 0x3fb8aa3b, v11
	v_fma_f32 v14, v9, s2, -v12
	v_rndne_f32_e32 v15, v12
	v_fma_f32 v16, v11, s2, -v13
	v_rndne_f32_e32 v17, v13
	v_fmac_f32_e32 v14, 0x32a5705f, v9
	v_sub_f32_e32 v12, v12, v15
	v_fmac_f32_e32 v16, 0x32a5705f, v11
	v_sub_f32_e32 v13, v13, v17
	v_add_f32_e32 v12, v12, v14
	v_cvt_i32_f32_e32 v15, v15
	v_add_f32_e32 v13, v13, v16
	v_exp_f32_e32 v12, v12
	v_cvt_i32_f32_e32 v17, v17
	v_exp_f32_e32 v13, v13
	v_cmp_ngt_f32_e32 vcc, s16, v9
	v_ldexp_f32 v12, v12, v15
	v_cndmask_b32_e32 v12, 0, v12, vcc
	v_ldexp_f32 v13, v13, v17
	v_cmp_ngt_f32_e32 vcc, s16, v11
	v_cndmask_b32_e32 v13, 0, v13, vcc
	v_cmp_nlt_f32_e32 vcc, s17, v9
	v_cndmask_b32_e32 v12, v5, v12, vcc
	v_cmp_nlt_f32_e32 vcc, s17, v11
	v_cndmask_b32_e32 v13, v5, v13, vcc
	v_cmp_le_f32_e32 vcc, s23, v9
	v_cndmask_b32_e32 v12, 0, v12, vcc
	v_cmp_le_f32_e32 vcc, s23, v11
	v_cndmask_b32_e32 v11, 0, v13, vcc
	v_mul_f32_e32 v9, s9, v11
	v_fmac_f32_e32 v9, v6, v12
	s_waitcnt vmcnt(0)
	v_mul_f32_e32 v10, v10, v11
	v_fmac_f32_e32 v10, v3, v12
	s_cbranch_execnz .LBB8_13
.LBB8_17:
	s_add_i32 s5, s24, -1
	s_mov_b32 s7, s10
	v_mov_b32_e32 v9, v6
	v_mov_b32_e32 v8, v7
	s_waitcnt vmcnt(0)
	v_mov_b32_e32 v10, v3
	s_cbranch_execz .LBB8_22
.LBB8_18:
	s_mov_b32 s10, s7
	s_mov_b32 s24, s5
	v_mov_b32_e32 v6, v9
	v_mov_b32_e32 v7, v8
	s_waitcnt vmcnt(0)
	v_mov_b32_e32 v3, v10
	s_mul_hi_i32 s5, s24, s3
	s_cmp_lg_u64 s[4:5], 0
	s_mul_i32 s8, s24, s3
	s_cbranch_scc1 .LBB8_9
.LBB8_19:
                                        ; implicit-def: $sgpr6_sgpr7
	s_branch .LBB8_10
.LBB8_20:
                                        ; implicit-def: $sgpr10_sgpr11
	s_load_dwordx4 s[12:15], s[4:5], 0x44
	s_branch .LBB8_2
.LBB8_21:
                                        ; implicit-def: $sgpr18_sgpr19
	s_branch .LBB8_5
.LBB8_22:
	v_div_scale_f32 v0, s[0:1], v9, v9, v10
	s_waitcnt vmcnt(0)
	v_div_scale_f32 v3, vcc, v10, v9, v10
	v_rcp_f32_e32 v4, v0
	v_fma_f32 v5, -v0, v4, 1.0
	v_fmac_f32_e32 v4, v5, v4
	v_mul_f32_e32 v5, v3, v4
	v_fma_f32 v6, -v0, v5, v3
	v_fmac_f32_e32 v5, v6, v4
	v_fma_f32 v0, -v0, v5, v3
	v_div_fmas_f32 v0, v0, v4, v5
	v_div_fixup_f32 v0, v0, v9, v10
	global_store_dword v[1:2], v0, off
.LBB8_23:
	s_endpgm
	.section	.rodata,"a",@progbits
	.p2align	6, 0x0
	.amdhsa_kernel _ZL33flash_attn_stream_k_fixup_generalILi128ELi4ELi8EEvPfPK15HIP_vector_typeIfLj2EEiiiiS1_IjLj3EES5_S5_S5_
		.amdhsa_group_segment_fixed_size 0
		.amdhsa_private_segment_fixed_size 0
		.amdhsa_kernarg_size 336
		.amdhsa_user_sgpr_count 6
		.amdhsa_user_sgpr_private_segment_buffer 1
		.amdhsa_user_sgpr_dispatch_ptr 0
		.amdhsa_user_sgpr_queue_ptr 0
		.amdhsa_user_sgpr_kernarg_segment_ptr 1
		.amdhsa_user_sgpr_dispatch_id 0
		.amdhsa_user_sgpr_flat_scratch_init 0
		.amdhsa_user_sgpr_private_segment_size 0
		.amdhsa_uses_dynamic_stack 0
		.amdhsa_system_sgpr_private_segment_wavefront_offset 0
		.amdhsa_system_sgpr_workgroup_id_x 1
		.amdhsa_system_sgpr_workgroup_id_y 1
		.amdhsa_system_sgpr_workgroup_id_z 1
		.amdhsa_system_sgpr_workgroup_info 0
		.amdhsa_system_vgpr_workitem_id 0
		.amdhsa_next_free_vgpr 18
		.amdhsa_next_free_sgpr 36
		.amdhsa_reserve_vcc 1
		.amdhsa_reserve_flat_scratch 0
		.amdhsa_float_round_mode_32 0
		.amdhsa_float_round_mode_16_64 0
		.amdhsa_float_denorm_mode_32 3
		.amdhsa_float_denorm_mode_16_64 3
		.amdhsa_dx10_clamp 1
		.amdhsa_ieee_mode 1
		.amdhsa_fp16_overflow 0
		.amdhsa_exception_fp_ieee_invalid_op 0
		.amdhsa_exception_fp_denorm_src 0
		.amdhsa_exception_fp_ieee_div_zero 0
		.amdhsa_exception_fp_ieee_overflow 0
		.amdhsa_exception_fp_ieee_underflow 0
		.amdhsa_exception_fp_ieee_inexact 0
		.amdhsa_exception_int_div_zero 0
	.end_amdhsa_kernel
	.section	.text._ZL33flash_attn_stream_k_fixup_generalILi128ELi4ELi8EEvPfPK15HIP_vector_typeIfLj2EEiiiiS1_IjLj3EES5_S5_S5_,"axG",@progbits,_ZL33flash_attn_stream_k_fixup_generalILi128ELi4ELi8EEvPfPK15HIP_vector_typeIfLj2EEiiiiS1_IjLj3EES5_S5_S5_,comdat
.Lfunc_end8:
	.size	_ZL33flash_attn_stream_k_fixup_generalILi128ELi4ELi8EEvPfPK15HIP_vector_typeIfLj2EEiiiiS1_IjLj3EES5_S5_S5_, .Lfunc_end8-_ZL33flash_attn_stream_k_fixup_generalILi128ELi4ELi8EEvPfPK15HIP_vector_typeIfLj2EEiiiiS1_IjLj3EES5_S5_S5_
                                        ; -- End function
	.set _ZL33flash_attn_stream_k_fixup_generalILi128ELi4ELi8EEvPfPK15HIP_vector_typeIfLj2EEiiiiS1_IjLj3EES5_S5_S5_.num_vgpr, 18
	.set _ZL33flash_attn_stream_k_fixup_generalILi128ELi4ELi8EEvPfPK15HIP_vector_typeIfLj2EEiiiiS1_IjLj3EES5_S5_S5_.num_agpr, 0
	.set _ZL33flash_attn_stream_k_fixup_generalILi128ELi4ELi8EEvPfPK15HIP_vector_typeIfLj2EEiiiiS1_IjLj3EES5_S5_S5_.numbered_sgpr, 36
	.set _ZL33flash_attn_stream_k_fixup_generalILi128ELi4ELi8EEvPfPK15HIP_vector_typeIfLj2EEiiiiS1_IjLj3EES5_S5_S5_.num_named_barrier, 0
	.set _ZL33flash_attn_stream_k_fixup_generalILi128ELi4ELi8EEvPfPK15HIP_vector_typeIfLj2EEiiiiS1_IjLj3EES5_S5_S5_.private_seg_size, 0
	.set _ZL33flash_attn_stream_k_fixup_generalILi128ELi4ELi8EEvPfPK15HIP_vector_typeIfLj2EEiiiiS1_IjLj3EES5_S5_S5_.uses_vcc, 1
	.set _ZL33flash_attn_stream_k_fixup_generalILi128ELi4ELi8EEvPfPK15HIP_vector_typeIfLj2EEiiiiS1_IjLj3EES5_S5_S5_.uses_flat_scratch, 0
	.set _ZL33flash_attn_stream_k_fixup_generalILi128ELi4ELi8EEvPfPK15HIP_vector_typeIfLj2EEiiiiS1_IjLj3EES5_S5_S5_.has_dyn_sized_stack, 0
	.set _ZL33flash_attn_stream_k_fixup_generalILi128ELi4ELi8EEvPfPK15HIP_vector_typeIfLj2EEiiiiS1_IjLj3EES5_S5_S5_.has_recursion, 0
	.set _ZL33flash_attn_stream_k_fixup_generalILi128ELi4ELi8EEvPfPK15HIP_vector_typeIfLj2EEiiiiS1_IjLj3EES5_S5_S5_.has_indirect_call, 0
	.section	.AMDGPU.csdata,"",@progbits
; Kernel info:
; codeLenInByte = 2940
; TotalNumSgprs: 40
; NumVgprs: 18
; ScratchSize: 0
; MemoryBound: 0
; FloatMode: 240
; IeeeMode: 1
; LDSByteSize: 0 bytes/workgroup (compile time only)
; SGPRBlocks: 4
; VGPRBlocks: 4
; NumSGPRsForWavesPerEU: 40
; NumVGPRsForWavesPerEU: 18
; Occupancy: 10
; WaveLimiterHint : 0
; COMPUTE_PGM_RSRC2:SCRATCH_EN: 0
; COMPUTE_PGM_RSRC2:USER_SGPR: 6
; COMPUTE_PGM_RSRC2:TRAP_HANDLER: 0
; COMPUTE_PGM_RSRC2:TGID_X_EN: 1
; COMPUTE_PGM_RSRC2:TGID_Y_EN: 1
; COMPUTE_PGM_RSRC2:TGID_Z_EN: 1
; COMPUTE_PGM_RSRC2:TIDIG_COMP_CNT: 0
	.section	.text._ZL15flash_attn_tileILi128ELi128ELi2ELi8ELb0EEvPKcS1_S1_S1_S1_PKiPfP15HIP_vector_typeIfLj2EEffffjfiS5_IjLj3EEiiiiiiiiiiiliiliiiiil,"axG",@progbits,_ZL15flash_attn_tileILi128ELi128ELi2ELi8ELb0EEvPKcS1_S1_S1_S1_PKiPfP15HIP_vector_typeIfLj2EEffffjfiS5_IjLj3EEiiiiiiiiiiiliiliiiiil,comdat
	.globl	_ZL15flash_attn_tileILi128ELi128ELi2ELi8ELb0EEvPKcS1_S1_S1_S1_PKiPfP15HIP_vector_typeIfLj2EEffffjfiS5_IjLj3EEiiiiiiiiiiiliiliiiiil ; -- Begin function _ZL15flash_attn_tileILi128ELi128ELi2ELi8ELb0EEvPKcS1_S1_S1_S1_PKiPfP15HIP_vector_typeIfLj2EEffffjfiS5_IjLj3EEiiiiiiiiiiiliiliiiiil
	.p2align	8
	.type	_ZL15flash_attn_tileILi128ELi128ELi2ELi8ELb0EEvPKcS1_S1_S1_S1_PKiPfP15HIP_vector_typeIfLj2EEffffjfiS5_IjLj3EEiiiiiiiiiiiliiliiiiil,@function
_ZL15flash_attn_tileILi128ELi128ELi2ELi8ELb0EEvPKcS1_S1_S1_S1_PKiPfP15HIP_vector_typeIfLj2EEffffjfiS5_IjLj3EEiiiiiiiiiiiliiliiiiil: ; @_ZL15flash_attn_tileILi128ELi128ELi2ELi8ELb0EEvPKcS1_S1_S1_S1_PKiPfP15HIP_vector_typeIfLj2EEffffjfiS5_IjLj3EEiiiiiiiiiiiliiliiiiil
; %bb.0:
	s_load_dwordx4 s[24:27], s[4:5], 0x5c
	s_load_dwordx2 s[28:29], s[4:5], 0x80
	s_mov_b64 s[46:47], s[2:3]
	s_mov_b64 s[44:45], s[0:1]
	s_add_u32 s44, s44, s9
	s_addc_u32 s45, s45, 0
	s_waitcnt lgkmcnt(0)
	s_ashr_i32 s0, s27, 31
	s_lshr_b32 s0, s0, 29
	s_add_i32 s0, s27, s0
	s_ashr_i32 s0, s0, 3
	v_mov_b32_e32 v23, v0
	v_cvt_f32_u32_e32 v0, s0
	s_sub_i32 s1, 0, s0
	s_mov_b64 s[30:31], 0
	v_rcp_iflag_f32_e32 v0, v0
	v_mul_f32_e32 v0, 0x4f7ffffe, v0
	v_cvt_u32_f32_e32 v0, v0
	v_readfirstlane_b32 s2, v0
	s_mul_i32 s1, s1, s2
	s_mul_hi_u32 s1, s2, s1
	s_add_i32 s2, s2, s1
	s_mul_hi_u32 s1, s8, s2
	s_mul_i32 s2, s1, s0
	s_sub_i32 s2, s8, s2
	s_add_i32 s3, s1, 1
	s_sub_i32 s9, s2, s0
	s_cmp_ge_u32 s2, s0
	s_cselect_b32 s1, s3, s1
	s_cselect_b32 s2, s9, s2
	s_add_i32 s3, s1, 1
	s_cmp_ge_u32 s2, s0
	s_cselect_b32 s33, s3, s1
	s_abs_i32 s0, s29
	v_cvt_f32_u32_e32 v0, s0
	s_lshl_b32 s1, s8, 3
	s_mul_i32 s8, s33, s27
	s_xor_b32 s2, s27, s29
	v_rcp_iflag_f32_e32 v0, v0
	s_sub_i32 s9, 0, s0
	s_sub_i32 s29, s1, s8
	s_abs_i32 s3, s27
	v_mul_f32_e32 v0, 0x4f7ffffe, v0
	v_cvt_u32_f32_e32 v0, v0
	s_ashr_i32 s2, s2, 31
	v_readfirstlane_b32 s1, v0
	s_mul_i32 s9, s9, s1
	s_mul_hi_u32 s8, s1, s9
	s_add_i32 s1, s1, s8
	s_mul_hi_u32 s1, s3, s1
	s_mul_i32 s8, s1, s0
	s_sub_i32 s3, s3, s8
	s_add_i32 s9, s1, 1
	s_sub_i32 s8, s3, s0
	s_cmp_ge_u32 s3, s0
	s_cselect_b32 s1, s9, s1
	s_cselect_b32 s3, s8, s3
	s_add_i32 s8, s1, 1
	s_cmp_ge_u32 s3, s0
	s_cselect_b32 s0, s8, s1
	s_xor_b32 s0, s0, s2
	s_sub_i32 s35, s0, s2
	s_abs_i32 s34, s35
	v_cvt_f32_u32_e32 v0, s34
	s_load_dwordx16 s[8:23], s[4:5], 0x0
	s_load_dwordx2 s[0:1], s[4:5], 0xb8
	v_rcp_iflag_f32_e32 v0, v0
	s_waitcnt lgkmcnt(0)
	s_cmp_eq_u64 s[14:15], 0
	v_mul_f32_e32 v0, 0x4f7ffffe, v0
	v_cvt_u32_f32_e32 v0, v0
	v_readfirstlane_b32 s36, v0
	s_cbranch_scc1 .LBB9_2
; %bb.1:
	s_abs_i32 s0, s0
	v_cvt_f32_u32_e32 v0, s0
	s_sub_i32 s37, 0, s0
	s_abs_i32 s31, s33
	s_ashr_i32 s30, s33, 31
	v_rcp_iflag_f32_e32 v0, v0
	s_load_dwordx2 s[2:3], s[4:5], 0xc8
	v_mul_f32_e32 v0, 0x4f7ffffe, v0
	v_cvt_u32_f32_e32 v0, v0
	v_readfirstlane_b32 s38, v0
	s_mul_i32 s37, s37, s38
	s_mul_hi_u32 s37, s38, s37
	s_add_i32 s38, s38, s37
	s_mul_hi_u32 s37, s31, s38
	s_mul_i32 s37, s37, s0
	s_sub_i32 s31, s31, s37
	s_sub_i32 s37, s31, s0
	s_cmp_ge_u32 s31, s0
	s_cselect_b32 s31, s37, s31
	s_sub_i32 s37, s31, s0
	s_cmp_ge_u32 s31, s0
	s_cselect_b32 s0, s37, s31
	s_xor_b32 s0, s0, s30
	s_sub_i32 s0, s0, s30
	s_ashr_i32 s30, s0, 31
	s_waitcnt lgkmcnt(0)
	s_mul_hi_u32 s31, s2, s0
	s_mul_i32 s30, s2, s30
	s_mul_i32 s3, s3, s0
	s_add_i32 s30, s31, s30
	s_add_i32 s3, s30, s3
	s_mul_i32 s0, s2, s0
	s_add_u32 s30, s14, s0
	s_addc_u32 s31, s15, s3
.LBB9_2:
	v_lshrrev_b32_e32 v0, 2, v1
	s_load_dwordx4 s[40:43], s[4:5], 0x70
	v_lshl_add_u32 v24, s6, 1, v0
	v_mul_hi_u32 v0, s24, v24
	v_lshlrev_b32_e32 v3, 1, v1
	v_and_b32_e32 v25, 6, v3
	s_waitcnt lgkmcnt(0)
	s_mul_i32 s0, s33, s42
	v_add_u32_e32 v0, v24, v0
	s_ashr_i32 s3, s0, 31
	v_lshrrev_b32_e32 v0, s25, v0
	s_mul_i32 s2, s29, s41
	s_add_u32 s0, s8, s0
	v_mul_lo_u32 v0, v0, s26
	s_addc_u32 s3, s9, s3
	s_ashr_i32 s8, s2, 31
	s_add_u32 s0, s0, s2
	s_addc_u32 s14, s3, s8
	s_ashr_i32 s3, s41, 31
	s_mov_b32 s2, s41
	s_ashr_i32 s41, s40, 31
	v_sub_u32_e32 v2, v24, v0
	s_lshr_b64 s[8:9], s[40:41], 2
	v_mad_u64_u32 v[4:5], s[8:9], s8, v2, 0
	s_lshr_b32 s8, s41, 2
	v_or_b32_e32 v13, 1, v3
	v_mov_b32_e32 v0, v5
	v_mad_u64_u32 v[5:6], s[8:9], s8, v2, v[0:1]
	s_lshr_b64 s[8:9], s[2:3], 2
	v_mov_b32_e32 v0, s14
	v_mad_u64_u32 v[6:7], s[14:15], s8, v25, 0
	v_lshlrev_b64 v[4:5], 2, v[4:5]
	v_and_b32_e32 v14, 7, v13
	v_add_co_u32_e32 v8, vcc, s0, v4
	s_lshr_b32 s0, s3, 2
	v_mad_u64_u32 v[9:10], s[2:3], s8, v14, 0
	v_addc_co_u32_e32 v11, vcc, v0, v5, vcc
	v_mov_b32_e32 v0, v7
	v_mad_u64_u32 v[4:5], s[2:3], s0, v25, v[0:1]
	v_lshlrev_b32_e32 v12, 4, v23
	v_add_co_u32_e32 v12, vcc, v8, v12
	v_mov_b32_e32 v0, v10
	v_addc_co_u32_e32 v15, vcc, 0, v11, vcc
	v_mad_u64_u32 v[10:11], s[2:3], s0, v14, v[0:1]
	v_mov_b32_e32 v7, v4
	v_lshlrev_b64 v[4:5], 2, v[6:7]
	v_lshlrev_b64 v[9:10], 2, v[9:10]
	v_add_co_u32_e32 v4, vcc, v12, v4
	v_addc_co_u32_e32 v5, vcc, v15, v5, vcc
	v_add_co_u32_e32 v9, vcc, v12, v9
	global_load_dwordx4 v[5:8], v[4:5], off
	v_addc_co_u32_e32 v10, vcc, v15, v10, vcc
	global_load_dwordx4 v[9:12], v[9:10], off
	s_load_dword s0, s[4:5], 0x40
	v_lshlrev_b32_e32 v95, 3, v23
	v_lshlrev_b32_e32 v4, 9, v1
	v_add_u32_e32 v0, 0x4400, v95
	v_add_u32_e32 v14, v0, v4
	s_cmp_eq_u64 s[18:19], 0
	v_lshl_add_u32 v0, v13, 8, v0
	s_waitcnt vmcnt(1) lgkmcnt(0)
	v_fma_mixlo_f16 v5, s0, v5, 0
	v_fma_mixlo_f16 v6, s0, v6, 0
	;; [unrolled: 1-line block ×4, first 2 shown]
	s_waitcnt vmcnt(0)
	v_fma_mixlo_f16 v9, s0, v9, 0
	v_fma_mixlo_f16 v10, s0, v10, 0
	v_lshlrev_b32_e32 v6, 16, v6
	v_and_b32_e32 v5, 0xffff, v5
	v_fma_mixlo_f16 v11, s0, v11, 0
	v_fma_mixlo_f16 v12, s0, v12, 0
	v_lshlrev_b32_e32 v8, 16, v8
	v_and_b32_e32 v7, 0xffff, v7
	v_lshlrev_b32_e32 v10, 16, v10
	v_and_b32_e32 v9, 0xffff, v9
	v_or_b32_e32 v5, v6, v5
	v_lshlrev_b32_e32 v12, 16, v12
	v_and_b32_e32 v11, 0xffff, v11
	v_or3_b32 v6, v8, v7, 0
	v_or_b32_e32 v7, v10, v9
	v_or3_b32 v5, 0, 0, v5
	v_or3_b32 v8, v12, v11, 0
	;; [unrolled: 1-line block ×3, first 2 shown]
	ds_write_b64 v14, v[5:6]
	ds_write_b64 v0, v[7:8]
	s_waitcnt lgkmcnt(0)
	s_barrier
	s_cbranch_scc1 .LBB9_4
; %bb.3:
	s_load_dword s0, s[4:5], 0xd0
	s_mov_b32 s3, 0
	s_waitcnt lgkmcnt(0)
	s_mul_i32 s0, s0, s33
	s_add_i32 s2, s0, s6
	s_lshl_b64 s[2:3], s[2:3], 2
	s_add_u32 s2, s18, s2
	s_addc_u32 s3, s19, s3
	s_load_dword s28, s[2:3], 0x0
.LBB9_4:
	s_lshl_b32 s6, s7, 6
	s_waitcnt lgkmcnt(0)
	s_cmp_lt_i32 s6, s28
	v_mbcnt_lo_u32_b32 v5, -1, 0
	s_cbranch_scc1 .LBB9_7
; %bb.5:
	v_mbcnt_hi_u32_b32 v96, -1, v5
	v_and_b32_e32 v0, 0x60, v96
	v_add_u32_e32 v97, 32, v0
	v_xor_b32_e32 v102, 16, v96
	v_xor_b32_e32 v101, 8, v96
	;; [unrolled: 1-line block ×5, first 2 shown]
	v_lshlrev_b32_e32 v26, 2, v23
	s_cbranch_execz .LBB9_8
; %bb.6:
	v_mov_b32_e32 v14, 0
	v_mov_b32_e32 v125, 0
	;; [unrolled: 1-line block ×8, first 2 shown]
	s_branch .LBB9_11
.LBB9_7:
                                        ; implicit-def: $vgpr96
                                        ; implicit-def: $vgpr97
                                        ; implicit-def: $vgpr102
                                        ; implicit-def: $vgpr101
                                        ; implicit-def: $vgpr100
                                        ; implicit-def: $vgpr99
                                        ; implicit-def: $vgpr98
	v_lshlrev_b32_e32 v26, 2, v23
.LBB9_8:
	s_sub_i32 s0, 0, s34
	s_mul_i32 s0, s0, s36
	buffer_store_dword v25, off, s[44:47], 0 offset:12 ; 4-byte Folded Spill
	buffer_store_dword v24, off, s[44:47], 0 offset:8 ; 4-byte Folded Spill
	s_mul_hi_u32 s0, s36, s0
	v_add_u32_e32 v107, 0x4400, v4
	v_mov_b32_e32 v4, v23
	s_add_i32 s0, s36, s0
	s_load_dwordx2 s[2:3], s[4:5], 0x8c
	s_load_dwordx4 s[36:39], s[4:5], 0x98
	buffer_store_dword v4, off, s[44:47], 0 ; 4-byte Folded Spill
	s_nop 0
	buffer_store_dword v5, off, s[44:47], 0 offset:4 ; 4-byte Folded Spill
	s_ashr_i32 s24, s35, 31
	s_abs_i32 s14, s29
	s_waitcnt lgkmcnt(0)
	s_ashr_i32 s19, s2, 2
	s_ashr_i32 s2, s33, 31
	s_mul_hi_u32 s25, s36, s33
	s_mul_i32 s35, s36, s2
	s_add_i32 s25, s25, s35
	s_mul_i32 s35, s37, s33
	s_ashr_i32 s15, s29, 31
	s_ashr_i32 s18, s38, 2
	;; [unrolled: 1-line block ×3, first 2 shown]
	s_add_i32 s25, s25, s35
	s_mul_i32 s35, s36, s33
	s_mul_hi_u32 s0, s14, s0
	s_add_u32 s10, s10, s35
	s_addc_u32 s11, s11, s25
	s_xor_b32 s15, s15, s24
	s_mul_i32 s24, s0, s34
	s_sub_i32 s14, s14, s24
	s_add_i32 s24, s0, 1
	s_sub_i32 s25, s14, s34
	s_cmp_ge_u32 s14, s34
	s_cselect_b32 s0, s24, s0
	s_cselect_b32 s14, s25, s14
	s_add_i32 s24, s0, 1
	s_cmp_ge_u32 s14, s34
	s_load_dwordx2 s[8:9], s[4:5], 0xa8
	s_cselect_b32 s0, s24, s0
	s_xor_b32 s0, s0, s15
	s_sub_i32 s0, s0, s15
	s_mul_i32 s3, s0, s3
	s_ashr_i32 s14, s3, 31
	s_add_u32 s24, s10, s3
	s_waitcnt lgkmcnt(0)
	s_mul_hi_u32 s3, s8, s33
	s_mul_i32 s2, s8, s2
	s_addc_u32 s25, s11, s14
	s_add_i32 s2, s3, s2
	s_mul_i32 s3, s9, s33
	v_lshrrev_b32_e32 v0, 4, v23
	s_add_i32 s2, s2, s3
	s_mul_i32 s3, s8, s33
	v_add_u32_e32 v3, v0, v3
	s_add_u32 s3, s12, s3
	s_mul_i32 s0, s0, s39
	v_mul_lo_u32 v6, s19, v3
	s_addc_u32 s2, s13, s2
	s_ashr_i32 s8, s0, 31
	v_and_b32_e32 v10, 60, v26
	s_add_u32 s34, s3, s0
	v_lshlrev_b32_e32 v16, 2, v10
	s_movk_i32 s0, 0x110
	s_addc_u32 s35, s2, s8
	v_mad_u32_u24 v127, v3, s0, v16
	s_lshl_b32 s0, s19, 4
	v_add_u32_e32 v8, s0, v6
	v_add_u32_e32 v12, s0, v8
	v_add_u32_e32 v14, s0, v12
	v_mad_u64_u32 v[73:74], s[0:1], v2, s1, v[23:24]
	v_mul_lo_u32 v2, s18, v3
	s_lshl_b32 s0, s18, 4
	v_lshl_or_b32 v94, v3, 8, v16
	v_ashrrev_i32_e32 v7, 31, v6
	v_add_u32_e32 v16, s0, v2
	v_add_u32_e32 v18, s0, v16
	;; [unrolled: 1-line block ×3, first 2 shown]
	v_ashrrev_i32_e32 v9, 31, v8
	v_ashrrev_i32_e32 v13, 31, v12
	;; [unrolled: 1-line block ×3, first 2 shown]
	v_mov_b32_e32 v4, 0x5400
	v_ashrrev_i32_e32 v3, 31, v2
	v_ashrrev_i32_e32 v17, 31, v16
	;; [unrolled: 1-line block ×4, first 2 shown]
	v_lshl_add_u32 v109, v1, 8, v4
	s_add_u32 s14, s4, 0xd0
	v_lshlrev_b64 v[74:75], 2, v[6:7]
	v_lshlrev_b64 v[76:77], 2, v[8:9]
	v_mbcnt_hi_u32_b32 v96, -1, v5
	v_lshlrev_b64 v[78:79], 2, v[12:13]
	v_lshlrev_b64 v[80:81], 2, v[14:15]
	v_and_b32_e32 v1, 0x60, v96
	v_lshlrev_b64 v[82:83], 2, v[2:3]
	v_lshlrev_b64 v[84:85], 2, v[16:17]
	;; [unrolled: 1-line block ×4, first 2 shown]
	v_mov_b32_e32 v11, 0
	v_add_u32_e32 v0, 0x1100, v127
	v_mul_u32_u24_e32 v108, 0x110, v23
	v_add_u32_e32 v93, 0x1000, v94
	v_add_u32_e32 v92, 0x2000, v94
	s_addc_u32 s15, s5, 0
	v_mov_b32_e32 v90, 0xfeffffff
	v_lshlrev_b32_e32 v114, 2, v10
	v_add_u32_e32 v97, 32, v1
	v_xor_b32_e32 v102, 16, v96
	v_xor_b32_e32 v101, 8, v96
	v_xor_b32_e32 v100, 4, v96
	v_xor_b32_e32 v99, 2, v96
	v_xor_b32_e32 v98, 1, v96
	v_mov_b32_e32 v115, s31
	s_mov_b32 s31, 0x3fb8aa3b
	s_mov_b32 s36, 0xc2ce8ed0
	s_mov_b32 s37, 0x42b17218
	v_mov_b32_e32 v116, 0x7f800000
	s_mov_b32 s38, 0x10001
	v_add_u32_e32 v117, v109, v26
	v_add_u32_e32 v118, 0x800, v95
	v_add_u32_e32 v119, 0x1000, v95
	v_add_u32_e32 v120, 0x1800, v95
	v_add_u32_e32 v121, 0x2000, v95
	v_add_u32_e32 v122, 0x2800, v95
	v_add_u32_e32 v123, 0x3000, v95
	v_add_u32_e32 v124, 0x3800, v95
	v_mov_b32_e32 v13, 0
	v_mov_b32_e32 v12, 0
	;; [unrolled: 1-line block ×6, first 2 shown]
	buffer_store_dword v26, off, s[44:47], 0 offset:16 ; 4-byte Folded Spill
.LBB9_9:                                ; =>This Inner Loop Header: Depth=1
	v_cmp_lt_i32_e32 vcc, v102, v97
	v_cndmask_b32_e32 v2, v96, v102, vcc
	v_cmp_lt_i32_e32 vcc, v101, v97
	s_mul_hi_i32 s1, s6, s19
	s_mul_i32 s0, s6, s19
	v_add_u32_e32 v1, s6, v73
	v_cndmask_b32_e32 v3, v96, v101, vcc
	v_cmp_lt_i32_e32 vcc, v100, v97
	v_cndmask_b32_e32 v4, v96, v100, vcc
	v_cmp_lt_i32_e32 vcc, v99, v97
	s_lshl_b64 s[0:1], s[0:1], 2
	v_lshlrev_b32_e32 v27, 2, v2
	v_ashrrev_i32_e32 v2, 31, v1
	v_cndmask_b32_e32 v5, v96, v99, vcc
	v_cmp_lt_i32_e32 vcc, v98, v97
	s_add_u32 s12, s24, s0
	v_lshlrev_b64 v[1:2], 1, v[1:2]
	v_cndmask_b32_e32 v6, v96, v98, vcc
	s_addc_u32 s8, s25, s1
	v_lshlrev_b32_e32 v26, 2, v3
	v_lshlrev_b32_e32 v25, 2, v4
	;; [unrolled: 1-line block ×3, first 2 shown]
	v_mov_b32_e32 v3, s8
	v_mov_b32_e32 v4, s8
	v_mov_b32_e32 v6, s8
	v_mov_b32_e32 v8, s8
	v_add_co_u32_e64 v1, s[8:9], s30, v1
	s_mul_hi_i32 s3, s6, s18
	s_mul_i32 s2, s6, s18
	v_addc_co_u32_e64 v2, s[8:9], v115, v2, s[8:9]
	v_lshlrev_b32_e32 v24, 2, v5
	s_lshl_b64 s[10:11], s[2:3], 2
	v_add_co_u32_e32 v5, vcc, s12, v76
	v_add_co_u32_e64 v7, s[0:1], s12, v78
	v_add_co_u32_e64 v9, s[2:3], s12, v80
	;; [unrolled: 1-line block ×3, first 2 shown]
	v_addc_co_u32_e64 v28, s[8:9], v3, v75, s[8:9]
	v_addc_co_u32_e32 v4, vcc, v4, v77, vcc
	v_addc_co_u32_e64 v6, s[0:1], v6, v79, s[0:1]
	v_addc_co_u32_e64 v8, s[2:3], v8, v81, s[2:3]
	v_add_co_u32_e32 v3, vcc, v5, v114
	v_add_co_u32_e64 v5, s[0:1], v7, v114
	v_add_co_u32_e64 v7, s[2:3], v9, v114
	;; [unrolled: 1-line block ×3, first 2 shown]
	v_addc_co_u32_e64 v10, s[8:9], 0, v28, s[8:9]
	v_addc_co_u32_e32 v4, vcc, 0, v4, vcc
	v_addc_co_u32_e64 v6, vcc, 0, v6, s[0:1]
	v_addc_co_u32_e64 v8, vcc, 0, v8, s[2:3]
	global_load_dwordx4 v[28:31], v[9:10], off
	global_load_dwordx4 v[32:35], v[3:4], off
	;; [unrolled: 1-line block ×4, first 2 shown]
	v_mov_b32_e32 v18, 0
	v_mov_b32_e32 v19, 0
	;; [unrolled: 1-line block ×4, first 2 shown]
	s_add_u32 s10, s34, s10
	s_addc_u32 s11, s35, s11
	v_mov_b32_e32 v44, s11
	v_add_co_u32_e32 v45, vcc, s10, v82
	v_mov_b32_e32 v46, s11
	v_add_co_u32_e64 v47, s[0:1], s10, v84
	v_mov_b32_e32 v48, s11
	v_add_co_u32_e64 v49, s[2:3], s10, v86
	;; [unrolled: 2-line block ×3, first 2 shown]
	v_addc_co_u32_e32 v4, vcc, v44, v83, vcc
	v_addc_co_u32_e64 v6, vcc, v46, v85, s[0:1]
	v_addc_co_u32_e64 v8, s[0:1], v48, v87, s[2:3]
	s_waitcnt vmcnt(3)
	ds_write_b128 v127, v[28:31]
	s_waitcnt vmcnt(2)
	ds_write_b128 v0, v[32:35]
	v_add_u32_e32 v28, 0x2200, v127
	s_waitcnt vmcnt(1)
	ds_write_b128 v28, v[36:39]
	v_add_u32_e32 v28, 0x3300, v127
	s_waitcnt vmcnt(0)
	ds_write_b128 v28, v[40:43]
	s_waitcnt lgkmcnt(0)
	s_barrier
	ds_read_b128 v[28:31], v107
	ds_read_b128 v[32:35], v108
	ds_read_b128 v[36:39], v108 offset:8704
	ds_read_b128 v[40:43], v107 offset:256
	s_waitcnt lgkmcnt(2)
	;;#ASMSTART
	v_dot2_f32_f16 v18, v32, v28, v18
	;;#ASMEND
	;;#ASMSTART
	v_dot2_f32_f16 v18, v33, v29, v18
	;;#ASMEND
	;;#ASMSTART
	v_dot2_f32_f16 v18, v34, v30, v18
	;;#ASMEND
	;;#ASMSTART
	v_dot2_f32_f16 v18, v35, v31, v18
	;;#ASMEND
	s_waitcnt lgkmcnt(0)
	;;#ASMSTART
	v_dot2_f32_f16 v19, v32, v40, v19
	;;#ASMEND
	;;#ASMSTART
	v_dot2_f32_f16 v19, v33, v41, v19
	;;#ASMEND
	;;#ASMSTART
	v_dot2_f32_f16 v19, v34, v42, v19
	;;#ASMEND
	;;#ASMSTART
	v_dot2_f32_f16 v19, v35, v43, v19
	;;#ASMEND
	;;#ASMSTART
	v_dot2_f32_f16 v20, v36, v28, v20
	;;#ASMEND
	;;#ASMSTART
	v_dot2_f32_f16 v20, v37, v29, v20
	;;#ASMEND
	;;#ASMSTART
	v_dot2_f32_f16 v20, v38, v30, v20
	;;#ASMEND
	;;#ASMSTART
	v_dot2_f32_f16 v20, v39, v31, v20
	;;#ASMEND
	;;#ASMSTART
	v_dot2_f32_f16 v21, v36, v40, v21
	;;#ASMEND
	;;#ASMSTART
	v_dot2_f32_f16 v21, v37, v41, v21
	;;#ASMEND
	;;#ASMSTART
	v_dot2_f32_f16 v21, v38, v42, v21
	;;#ASMEND
	;;#ASMSTART
	v_dot2_f32_f16 v21, v39, v43, v21
	;;#ASMEND
	ds_read_b128 v[28:31], v107 offset:16
	ds_read_b128 v[32:35], v108 offset:16
	ds_read_b128 v[36:39], v108 offset:8720
	ds_read_b128 v[40:43], v107 offset:272
	s_waitcnt lgkmcnt(2)
	;;#ASMSTART
	v_dot2_f32_f16 v18, v32, v28, v18
	;;#ASMEND
	;;#ASMSTART
	v_dot2_f32_f16 v18, v33, v29, v18
	;;#ASMEND
	;;#ASMSTART
	v_dot2_f32_f16 v18, v34, v30, v18
	;;#ASMEND
	;;#ASMSTART
	v_dot2_f32_f16 v18, v35, v31, v18
	;;#ASMEND
	s_waitcnt lgkmcnt(0)
	;;#ASMSTART
	v_dot2_f32_f16 v19, v32, v40, v19
	;;#ASMEND
	;;#ASMSTART
	v_dot2_f32_f16 v19, v33, v41, v19
	;;#ASMEND
	;;#ASMSTART
	v_dot2_f32_f16 v19, v34, v42, v19
	;;#ASMEND
	;;#ASMSTART
	v_dot2_f32_f16 v19, v35, v43, v19
	;;#ASMEND
	;;#ASMSTART
	v_dot2_f32_f16 v20, v36, v28, v20
	;;#ASMEND
	;;#ASMSTART
	v_dot2_f32_f16 v20, v37, v29, v20
	;;#ASMEND
	;;#ASMSTART
	v_dot2_f32_f16 v20, v38, v30, v20
	;;#ASMEND
	;;#ASMSTART
	v_dot2_f32_f16 v20, v39, v31, v20
	;;#ASMEND
	;;#ASMSTART
	v_dot2_f32_f16 v21, v36, v40, v21
	;;#ASMEND
	;;#ASMSTART
	v_dot2_f32_f16 v21, v37, v41, v21
	;;#ASMEND
	;;#ASMSTART
	v_dot2_f32_f16 v21, v38, v42, v21
	;;#ASMEND
	;;#ASMSTART
	v_dot2_f32_f16 v21, v39, v43, v21
	;;#ASMEND
	ds_read_b128 v[28:31], v107 offset:32
	ds_read_b128 v[32:35], v108 offset:32
	;; [unrolled: 54-line block ×15, first 2 shown]
	ds_read_b128 v[36:39], v108 offset:8944
	ds_read_b128 v[40:43], v107 offset:496
	s_waitcnt lgkmcnt(2)
	;;#ASMSTART
	v_dot2_f32_f16 v18, v32, v28, v18
	;;#ASMEND
	;;#ASMSTART
	v_dot2_f32_f16 v18, v33, v29, v18
	;;#ASMEND
	;; [unrolled: 3-line block ×4, first 2 shown]
	s_waitcnt lgkmcnt(0)
	;;#ASMSTART
	v_dot2_f32_f16 v19, v32, v40, v19
	;;#ASMEND
	;;#ASMSTART
	v_dot2_f32_f16 v19, v33, v41, v19
	;;#ASMEND
	;; [unrolled: 3-line block ×12, first 2 shown]
	global_load_ushort v36, v[1:2], off
	global_load_ushort v37, v[1:2], off offset:64
	v_addc_co_u32_e64 v44, s[2:3], v50, v89, s[8:9]
	v_add_co_u32_e32 v3, vcc, v47, v114
	v_add_co_u32_e64 v5, s[0:1], v49, v114
	v_add_co_u32_e64 v7, s[2:3], v51, v114
	;; [unrolled: 1-line block ×3, first 2 shown]
	v_addc_co_u32_e64 v10, s[8:9], 0, v4, s[8:9]
	v_addc_co_u32_e32 v4, vcc, 0, v6, vcc
	v_addc_co_u32_e64 v6, vcc, 0, v8, s[0:1]
	v_addc_co_u32_e64 v8, vcc, 0, v44, s[2:3]
	s_waitcnt vmcnt(0)
	s_barrier
	global_load_dwordx4 v[28:31], v[9:10], off
	s_nop 0
	global_load_dwordx4 v[1:4], v[3:4], off
	s_nop 0
	;; [unrolled: 2-line block ×3, first 2 shown]
	global_load_dwordx4 v[5:8], v[7:8], off
	v_mov_b32_e32 v16, v91
	v_mov_b32_e32 v17, v90
	;; [unrolled: 1-line block ×4, first 2 shown]
	v_cvt_f32_f16_e32 v9, v36
	v_cvt_f32_f16_e32 v10, v37
	v_add_f32_e32 v18, v18, v9
	v_add_f32_e32 v20, v20, v10
	;; [unrolled: 1-line block ×8, first 2 shown]
	v_max3_f32 v19, v17, v19, v21
	v_max3_f32 v21, v16, v36, v37
	ds_bpermute_b32 v36, v27, v19
	ds_bpermute_b32 v27, v27, v21
	s_waitcnt lgkmcnt(1)
	v_max_f32_e32 v36, v36, v36
	s_waitcnt lgkmcnt(0)
	v_max_f32_e32 v27, v27, v27
	v_max_f32_e32 v19, v19, v36
	v_max_f32_e32 v21, v21, v27
	ds_bpermute_b32 v27, v26, v19
	ds_bpermute_b32 v26, v26, v21
	s_waitcnt lgkmcnt(1)
	v_max_f32_e32 v27, v27, v27
	s_waitcnt lgkmcnt(0)
	v_max_f32_e32 v26, v26, v26
	v_max_f32_e32 v19, v19, v27
	v_max_f32_e32 v21, v21, v26
	;; [unrolled: 8-line block ×5, first 2 shown]
	v_sub_f32_e32 v17, v17, v90
	v_sub_f32_e32 v18, v18, v90
	;; [unrolled: 1-line block ×6, first 2 shown]
	v_mul_f32_e32 v20, 0x3fb8aa3b, v18
	v_mul_f32_e32 v21, 0x3fb8aa3b, v19
	;; [unrolled: 1-line block ×6, first 2 shown]
	v_fma_f32 v27, v18, s31, -v20
	v_rndne_f32_e32 v36, v20
	v_fma_f32 v37, v19, s31, -v21
	v_rndne_f32_e32 v38, v21
	;; [unrolled: 2-line block ×6, first 2 shown]
	v_fmac_f32_e32 v27, 0x32a5705f, v18
	v_sub_f32_e32 v20, v20, v36
	v_fmac_f32_e32 v37, 0x32a5705f, v19
	v_sub_f32_e32 v21, v21, v38
	;; [unrolled: 2-line block ×6, first 2 shown]
	v_add_f32_e32 v20, v20, v27
	v_add_f32_e32 v21, v21, v37
	;; [unrolled: 1-line block ×5, first 2 shown]
	v_cvt_i32_f32_e32 v36, v36
	v_cvt_i32_f32_e32 v38, v38
	;; [unrolled: 1-line block ×5, first 2 shown]
	v_add_f32_e32 v26, v26, v45
	v_exp_f32_e32 v20, v20
	v_exp_f32_e32 v21, v21
	;; [unrolled: 1-line block ×5, first 2 shown]
	v_cvt_i32_f32_e32 v46, v46
	v_exp_f32_e32 v26, v26
	v_ldexp_f32 v20, v20, v36
	v_ldexp_f32 v21, v21, v38
	v_cmp_ngt_f32_e32 vcc, s36, v19
	v_ldexp_f32 v23, v23, v40
	v_cmp_ngt_f32_e64 s[0:1], s36, v17
	v_ldexp_f32 v24, v24, v42
	v_cmp_ngt_f32_e64 s[2:3], s36, v9
	;; [unrolled: 2-line block ×3, first 2 shown]
	v_cmp_ngt_f32_e64 s[12:13], s36, v18
	v_ldexp_f32 v26, v26, v46
	v_cmp_ngt_f32_e64 s[10:11], s36, v16
	v_cndmask_b32_e64 v20, 0, v20, s[12:13]
	v_cndmask_b32_e32 v21, 0, v21, vcc
	v_cmp_nlt_f32_e32 vcc, s37, v19
	v_cndmask_b32_e64 v19, 0, v23, s[0:1]
	v_cmp_nlt_f32_e64 s[0:1], s37, v17
	v_cndmask_b32_e64 v17, 0, v24, s[2:3]
	v_cmp_nlt_f32_e64 s[2:3], s37, v9
	;; [unrolled: 2-line block ×3, first 2 shown]
	v_cmp_nlt_f32_e64 s[12:13], s37, v18
	v_cndmask_b32_e64 v10, 0, v26, s[10:11]
	v_cmp_nlt_f32_e64 s[10:11], s37, v16
	v_cndmask_b32_e64 v16, v116, v20, s[12:13]
	v_cndmask_b32_e32 v18, v116, v21, vcc
	v_cndmask_b32_e64 v17, v116, v17, s[2:3]
	v_cndmask_b32_e64 v9, v116, v9, s[8:9]
	;; [unrolled: 1-line block ×4, first 2 shown]
	v_cvt_f16_f32_e32 v20, v16
	v_add_f32_e32 v126, v16, v18
	v_cvt_f16_f32_e32 v16, v18
	v_cvt_f16_f32_e32 v21, v17
	v_add_f32_e32 v125, v17, v9
	v_cvt_f16_f32_e32 v9, v9
	v_cvt_f16_f32_e32 v18, v19
	;; [unrolled: 1-line block ×3, first 2 shown]
	v_fmac_f32_e32 v125, v22, v10
	v_pack_b32_f16 v10, v20, v21
	v_pack_b32_f16 v9, v16, v9
	v_mul_u32_u24_e32 v23, 0x10001, v18
	v_mul_u32_u24_e32 v24, 0x10001, v17
	ds_write2_b32 v117, v10, v9 offset1:32
	s_waitcnt vmcnt(3)
	ds_write_b128 v94, v[28:31]
	s_waitcnt vmcnt(2)
	ds_write_b128 v93, v[1:4]
	;; [unrolled: 2-line block ×3, first 2 shown]
	v_add_u32_e32 v1, 0x3000, v94
	v_fmac_f32_e32 v126, v15, v19
	v_pk_mul_f16 v36, v12, v23
	v_pk_mul_f16 v37, v11, v24
	s_waitcnt vmcnt(0)
	ds_write_b128 v1, v[5:8]
	s_waitcnt lgkmcnt(0)
	s_barrier
	ds_read2_b64 v[15:18], v95 offset1:32
	ds_read_b128 v[19:22], v109
	ds_read_b128 v[29:32], v109 offset:16
	ds_read_b128 v[5:8], v109 offset:32
	;; [unrolled: 1-line block ×3, first 2 shown]
	ds_read2_b64 v[41:44], v95 offset0:64 offset1:96
	ds_read2_b64 v[45:48], v95 offset0:128 offset1:160
	ds_read2_b64 v[57:60], v95 offset0:192 offset1:224
	ds_read2_b64 v[61:64], v118 offset1:32
	ds_read2_b64 v[103:106], v118 offset0:64 offset1:96
	ds_read2_b64 v[110:113], v118 offset0:128 offset1:160
	;; [unrolled: 1-line block ×3, first 2 shown]
	ds_read2_b64 v[65:68], v119 offset1:32
	ds_read_b128 v[49:52], v109 offset:64
	ds_read2_b64 v[25:28], v119 offset0:64 offset1:96
	ds_read2_b64 v[9:12], v119 offset0:128 offset1:160
	s_waitcnt lgkmcnt(14)
	v_mul_u32_u24_sdwa v33, v19, s38 dst_sel:DWORD dst_unused:UNUSED_PAD src0_sel:WORD_0 src1_sel:DWORD
	v_mul_u32_u24_sdwa v19, v19, s38 dst_sel:DWORD dst_unused:UNUSED_PAD src0_sel:WORD_1 src1_sel:DWORD
	v_pk_mul_f16 v34, v15, v33
	v_pk_mul_f16 v15, v15, v19
	v_pk_fma_f16 v14, v14, v23, v34
	v_mul_u32_u24_sdwa v23, v20, s38 dst_sel:DWORD dst_unused:UNUSED_PAD src0_sel:WORD_0 src1_sel:DWORD
	v_pk_fma_f16 v33, v16, v33, v36
	v_mul_u32_u24_sdwa v20, v20, s38 dst_sel:DWORD dst_unused:UNUSED_PAD src0_sel:WORD_1 src1_sel:DWORD
	v_pk_fma_f16 v16, v16, v19, v37
	v_pk_fma_f16 v13, v13, v24, v15
	v_pk_fma_f16 v15, v18, v23, v33
	v_pk_fma_f16 v16, v18, v20, v16
	v_pk_fma_f16 v14, v17, v23, v14
	v_pk_fma_f16 v13, v17, v20, v13
	v_mul_u32_u24_sdwa v17, v21, s38 dst_sel:DWORD dst_unused:UNUSED_PAD src0_sel:WORD_0 src1_sel:DWORD
	v_mul_u32_u24_sdwa v18, v21, s38 dst_sel:DWORD dst_unused:UNUSED_PAD src0_sel:WORD_1 src1_sel:DWORD
	v_mul_u32_u24_sdwa v19, v22, s38 dst_sel:DWORD dst_unused:UNUSED_PAD src0_sel:WORD_0 src1_sel:DWORD
	v_mul_u32_u24_sdwa v20, v22, s38 dst_sel:DWORD dst_unused:UNUSED_PAD src0_sel:WORD_1 src1_sel:DWORD
	s_waitcnt lgkmcnt(10)
	v_pk_fma_f16 v15, v42, v17, v15
	v_pk_fma_f16 v16, v42, v18, v16
	v_pk_fma_f16 v14, v41, v17, v14
	v_pk_fma_f16 v13, v41, v18, v13
	v_pk_fma_f16 v17, v44, v19, v15
	v_pk_fma_f16 v18, v44, v20, v16
	v_pk_fma_f16 v19, v43, v19, v14
	v_pk_fma_f16 v20, v43, v20, v13
	v_mul_u32_u24_sdwa v21, v29, s38 dst_sel:DWORD dst_unused:UNUSED_PAD src0_sel:WORD_0 src1_sel:DWORD
	v_mul_u32_u24_sdwa v22, v29, s38 dst_sel:DWORD dst_unused:UNUSED_PAD src0_sel:WORD_1 src1_sel:DWORD
	v_mul_u32_u24_sdwa v23, v30, s38 dst_sel:DWORD dst_unused:UNUSED_PAD src0_sel:WORD_0 src1_sel:DWORD
	v_mul_u32_u24_sdwa v24, v30, s38 dst_sel:DWORD dst_unused:UNUSED_PAD src0_sel:WORD_1 src1_sel:DWORD
	s_waitcnt lgkmcnt(9)
	v_pk_fma_f16 v17, v46, v21, v17
	v_pk_fma_f16 v18, v46, v22, v18
	;; [unrolled: 13-line block ×6, first 2 shown]
	v_pk_fma_f16 v6, v110, v8, v6
	v_pk_fma_f16 v1, v110, v1, v5
	v_pk_fma_f16 v5, v113, v30, v7
	v_pk_fma_f16 v7, v113, v2, v29
	v_pk_fma_f16 v6, v112, v30, v6
	v_pk_fma_f16 v1, v112, v2, v1
	v_mul_u32_u24_sdwa v2, v3, s38 dst_sel:DWORD dst_unused:UNUSED_PAD src0_sel:WORD_0 src1_sel:DWORD
	v_mul_u32_u24_sdwa v3, v3, s38 dst_sel:DWORD dst_unused:UNUSED_PAD src0_sel:WORD_1 src1_sel:DWORD
	ds_read_b128 v[33:36], v109 offset:80
	ds_read_b128 v[53:56], v109 offset:96
	v_mul_u32_u24_sdwa v8, v4, s38 dst_sel:DWORD dst_unused:UNUSED_PAD src0_sel:WORD_0 src1_sel:DWORD
	v_mul_u32_u24_sdwa v4, v4, s38 dst_sel:DWORD dst_unused:UNUSED_PAD src0_sel:WORD_1 src1_sel:DWORD
	s_waitcnt lgkmcnt(6)
	v_pk_fma_f16 v5, v70, v2, v5
	v_pk_fma_f16 v7, v70, v3, v7
	;; [unrolled: 1-line block ×8, first 2 shown]
	s_waitcnt lgkmcnt(4)
	v_mul_u32_u24_sdwa v4, v49, s38 dst_sel:DWORD dst_unused:UNUSED_PAD src0_sel:WORD_0 src1_sel:DWORD
	v_mul_u32_u24_sdwa v49, v49, s38 dst_sel:DWORD dst_unused:UNUSED_PAD src0_sel:WORD_1 src1_sel:DWORD
	v_mul_u32_u24_sdwa v70, v50, s38 dst_sel:DWORD dst_unused:UNUSED_PAD src0_sel:WORD_0 src1_sel:DWORD
	v_mul_u32_u24_sdwa v50, v50, s38 dst_sel:DWORD dst_unused:UNUSED_PAD src0_sel:WORD_1 src1_sel:DWORD
	v_pk_fma_f16 v3, v66, v4, v3
	v_pk_fma_f16 v66, v66, v49, v69
	;; [unrolled: 1-line block ×4, first 2 shown]
	ds_read2_b64 v[37:40], v119 offset0:192 offset1:224
	v_pk_fma_f16 v3, v68, v70, v3
	v_pk_fma_f16 v4, v68, v50, v66
	;; [unrolled: 1-line block ×4, first 2 shown]
	v_mul_u32_u24_sdwa v69, v51, s38 dst_sel:DWORD dst_unused:UNUSED_PAD src0_sel:WORD_0 src1_sel:DWORD
	v_mul_u32_u24_sdwa v70, v51, s38 dst_sel:DWORD dst_unused:UNUSED_PAD src0_sel:WORD_1 src1_sel:DWORD
	v_mul_u32_u24_sdwa v71, v52, s38 dst_sel:DWORD dst_unused:UNUSED_PAD src0_sel:WORD_0 src1_sel:DWORD
	v_mul_u32_u24_sdwa v72, v52, s38 dst_sel:DWORD dst_unused:UNUSED_PAD src0_sel:WORD_1 src1_sel:DWORD
	s_waitcnt lgkmcnt(4)
	v_pk_fma_f16 v3, v26, v69, v3
	v_pk_fma_f16 v4, v26, v70, v4
	;; [unrolled: 1-line block ×4, first 2 shown]
	ds_read2_b64 v[13:16], v120 offset1:32
	v_pk_fma_f16 v3, v28, v71, v3
	v_pk_fma_f16 v4, v28, v72, v4
	;; [unrolled: 1-line block ×4, first 2 shown]
	s_waitcnt lgkmcnt(3)
	v_mul_u32_u24_sdwa v69, v33, s38 dst_sel:DWORD dst_unused:UNUSED_PAD src0_sel:WORD_0 src1_sel:DWORD
	v_mul_u32_u24_sdwa v33, v33, s38 dst_sel:DWORD dst_unused:UNUSED_PAD src0_sel:WORD_1 src1_sel:DWORD
	v_mul_u32_u24_sdwa v70, v34, s38 dst_sel:DWORD dst_unused:UNUSED_PAD src0_sel:WORD_0 src1_sel:DWORD
	v_mul_u32_u24_sdwa v34, v34, s38 dst_sel:DWORD dst_unused:UNUSED_PAD src0_sel:WORD_1 src1_sel:DWORD
	v_pk_fma_f16 v3, v10, v69, v3
	v_pk_fma_f16 v4, v10, v33, v4
	;; [unrolled: 1-line block ×4, first 2 shown]
	ds_read2_b64 v[41:44], v120 offset0:64 offset1:96
	v_pk_fma_f16 v3, v12, v70, v3
	v_pk_fma_f16 v4, v12, v34, v4
	;; [unrolled: 1-line block ×4, first 2 shown]
	v_mul_u32_u24_sdwa v9, v35, s38 dst_sel:DWORD dst_unused:UNUSED_PAD src0_sel:WORD_0 src1_sel:DWORD
	v_mul_u32_u24_sdwa v10, v35, s38 dst_sel:DWORD dst_unused:UNUSED_PAD src0_sel:WORD_1 src1_sel:DWORD
	ds_read_b128 v[57:60], v109 offset:112
	ds_read_b128 v[61:64], v109 offset:128
	v_mul_u32_u24_sdwa v11, v36, s38 dst_sel:DWORD dst_unused:UNUSED_PAD src0_sel:WORD_0 src1_sel:DWORD
	v_mul_u32_u24_sdwa v12, v36, s38 dst_sel:DWORD dst_unused:UNUSED_PAD src0_sel:WORD_1 src1_sel:DWORD
	s_waitcnt lgkmcnt(4)
	v_pk_fma_f16 v3, v38, v9, v3
	v_pk_fma_f16 v4, v38, v10, v4
	;; [unrolled: 1-line block ×4, first 2 shown]
	ds_read2_b64 v[17:20], v120 offset0:128 offset1:160
	v_pk_fma_f16 v3, v40, v11, v3
	v_pk_fma_f16 v4, v40, v12, v4
	;; [unrolled: 1-line block ×4, first 2 shown]
	v_mul_u32_u24_sdwa v9, v53, s38 dst_sel:DWORD dst_unused:UNUSED_PAD src0_sel:WORD_0 src1_sel:DWORD
	v_mul_u32_u24_sdwa v10, v53, s38 dst_sel:DWORD dst_unused:UNUSED_PAD src0_sel:WORD_1 src1_sel:DWORD
	v_mul_u32_u24_sdwa v11, v54, s38 dst_sel:DWORD dst_unused:UNUSED_PAD src0_sel:WORD_0 src1_sel:DWORD
	v_mul_u32_u24_sdwa v12, v54, s38 dst_sel:DWORD dst_unused:UNUSED_PAD src0_sel:WORD_1 src1_sel:DWORD
	s_waitcnt lgkmcnt(4)
	v_pk_fma_f16 v3, v14, v9, v3
	v_pk_fma_f16 v4, v14, v10, v4
	;; [unrolled: 1-line block ×4, first 2 shown]
	ds_read2_b64 v[45:48], v120 offset0:192 offset1:224
	v_pk_fma_f16 v9, v16, v11, v3
	v_pk_fma_f16 v10, v16, v12, v4
	;; [unrolled: 1-line block ×4, first 2 shown]
	v_mul_u32_u24_sdwa v13, v55, s38 dst_sel:DWORD dst_unused:UNUSED_PAD src0_sel:WORD_0 src1_sel:DWORD
	v_mul_u32_u24_sdwa v14, v55, s38 dst_sel:DWORD dst_unused:UNUSED_PAD src0_sel:WORD_1 src1_sel:DWORD
	v_mul_u32_u24_sdwa v15, v56, s38 dst_sel:DWORD dst_unused:UNUSED_PAD src0_sel:WORD_0 src1_sel:DWORD
	v_mul_u32_u24_sdwa v16, v56, s38 dst_sel:DWORD dst_unused:UNUSED_PAD src0_sel:WORD_1 src1_sel:DWORD
	s_waitcnt lgkmcnt(4)
	v_pk_fma_f16 v9, v42, v13, v9
	v_pk_fma_f16 v10, v42, v14, v10
	;; [unrolled: 1-line block ×4, first 2 shown]
	ds_read2_b64 v[21:24], v121 offset1:32
	v_pk_fma_f16 v13, v44, v15, v9
	v_pk_fma_f16 v14, v44, v16, v10
	v_pk_fma_f16 v15, v43, v15, v11
	v_pk_fma_f16 v16, v43, v16, v12
	s_waitcnt lgkmcnt(4)
	v_mul_u32_u24_sdwa v41, v57, s38 dst_sel:DWORD dst_unused:UNUSED_PAD src0_sel:WORD_0 src1_sel:DWORD
	v_mul_u32_u24_sdwa v42, v57, s38 dst_sel:DWORD dst_unused:UNUSED_PAD src0_sel:WORD_1 src1_sel:DWORD
	v_mul_u32_u24_sdwa v43, v58, s38 dst_sel:DWORD dst_unused:UNUSED_PAD src0_sel:WORD_0 src1_sel:DWORD
	v_mul_u32_u24_sdwa v44, v58, s38 dst_sel:DWORD dst_unused:UNUSED_PAD src0_sel:WORD_1 src1_sel:DWORD
	s_waitcnt lgkmcnt(2)
	v_pk_fma_f16 v13, v18, v41, v13
	v_pk_fma_f16 v14, v18, v42, v14
	;; [unrolled: 1-line block ×4, first 2 shown]
	ds_read2_b64 v[29:32], v121 offset0:64 offset1:96
	v_pk_fma_f16 v17, v20, v43, v13
	v_pk_fma_f16 v18, v20, v44, v14
	;; [unrolled: 1-line block ×4, first 2 shown]
	v_mul_u32_u24_sdwa v53, v59, s38 dst_sel:DWORD dst_unused:UNUSED_PAD src0_sel:WORD_0 src1_sel:DWORD
	v_mul_u32_u24_sdwa v54, v59, s38 dst_sel:DWORD dst_unused:UNUSED_PAD src0_sel:WORD_1 src1_sel:DWORD
	ds_read_b128 v[65:68], v109 offset:144
	ds_read_b128 v[69:72], v109 offset:160
	v_mul_u32_u24_sdwa v55, v60, s38 dst_sel:DWORD dst_unused:UNUSED_PAD src0_sel:WORD_0 src1_sel:DWORD
	v_mul_u32_u24_sdwa v56, v60, s38 dst_sel:DWORD dst_unused:UNUSED_PAD src0_sel:WORD_1 src1_sel:DWORD
	s_waitcnt lgkmcnt(4)
	v_pk_fma_f16 v17, v46, v53, v17
	v_pk_fma_f16 v18, v46, v54, v18
	;; [unrolled: 1-line block ×4, first 2 shown]
	ds_read2_b64 v[5:8], v121 offset0:128 offset1:160
	v_pk_fma_f16 v45, v48, v55, v17
	v_pk_fma_f16 v46, v48, v56, v18
	;; [unrolled: 1-line block ×4, first 2 shown]
	v_mul_u32_u24_sdwa v53, v61, s38 dst_sel:DWORD dst_unused:UNUSED_PAD src0_sel:WORD_0 src1_sel:DWORD
	v_mul_u32_u24_sdwa v54, v61, s38 dst_sel:DWORD dst_unused:UNUSED_PAD src0_sel:WORD_1 src1_sel:DWORD
	v_mul_u32_u24_sdwa v55, v62, s38 dst_sel:DWORD dst_unused:UNUSED_PAD src0_sel:WORD_0 src1_sel:DWORD
	v_mul_u32_u24_sdwa v56, v62, s38 dst_sel:DWORD dst_unused:UNUSED_PAD src0_sel:WORD_1 src1_sel:DWORD
	s_waitcnt lgkmcnt(4)
	v_pk_fma_f16 v45, v22, v53, v45
	v_pk_fma_f16 v22, v22, v54, v46
	;; [unrolled: 1-line block ×4, first 2 shown]
	ds_read2_b64 v[49:52], v121 offset0:192 offset1:224
	v_pk_fma_f16 v53, v24, v55, v45
	v_pk_fma_f16 v54, v24, v56, v22
	;; [unrolled: 1-line block ×4, first 2 shown]
	v_mul_u32_u24_sdwa v57, v63, s38 dst_sel:DWORD dst_unused:UNUSED_PAD src0_sel:WORD_0 src1_sel:DWORD
	v_mul_u32_u24_sdwa v58, v63, s38 dst_sel:DWORD dst_unused:UNUSED_PAD src0_sel:WORD_1 src1_sel:DWORD
	v_mul_u32_u24_sdwa v59, v64, s38 dst_sel:DWORD dst_unused:UNUSED_PAD src0_sel:WORD_0 src1_sel:DWORD
	v_mul_u32_u24_sdwa v60, v64, s38 dst_sel:DWORD dst_unused:UNUSED_PAD src0_sel:WORD_1 src1_sel:DWORD
	s_waitcnt lgkmcnt(4)
	v_pk_fma_f16 v53, v30, v57, v53
	v_pk_fma_f16 v55, v29, v57, v55
	;; [unrolled: 1-line block ×4, first 2 shown]
	ds_read2_b64 v[25:28], v122 offset1:32
	s_waitcnt lgkmcnt(4)
	v_mul_u32_u24_sdwa v57, v65, s38 dst_sel:DWORD dst_unused:UNUSED_PAD src0_sel:WORD_0 src1_sel:DWORD
	v_mul_u32_u24_sdwa v54, v65, s38 dst_sel:DWORD dst_unused:UNUSED_PAD src0_sel:WORD_1 src1_sel:DWORD
	v_pk_fma_f16 v53, v32, v59, v53
	v_pk_fma_f16 v55, v31, v59, v55
	;; [unrolled: 1-line block ×4, first 2 shown]
	v_mul_u32_u24_sdwa v56, v66, s38 dst_sel:DWORD dst_unused:UNUSED_PAD src0_sel:WORD_0 src1_sel:DWORD
	v_mul_u32_u24_sdwa v60, v66, s38 dst_sel:DWORD dst_unused:UNUSED_PAD src0_sel:WORD_1 src1_sel:DWORD
	s_waitcnt lgkmcnt(2)
	v_pk_fma_f16 v53, v6, v57, v53
	v_pk_fma_f16 v55, v5, v57, v55
	;; [unrolled: 1-line block ×4, first 2 shown]
	ds_read2_b64 v[33:36], v122 offset0:64 offset1:96
	v_mul_u32_u24_sdwa v61, v67, s38 dst_sel:DWORD dst_unused:UNUSED_PAD src0_sel:WORD_0 src1_sel:DWORD
	v_mul_u32_u24_sdwa v62, v67, s38 dst_sel:DWORD dst_unused:UNUSED_PAD src0_sel:WORD_1 src1_sel:DWORD
	v_pk_fma_f16 v53, v8, v56, v53
	v_pk_fma_f16 v55, v7, v56, v55
	;; [unrolled: 1-line block ×4, first 2 shown]
	ds_read_b128 v[103:106], v109 offset:176
	ds_read_b128 v[41:44], v109 offset:192
	v_mul_u32_u24_sdwa v63, v68, s38 dst_sel:DWORD dst_unused:UNUSED_PAD src0_sel:WORD_0 src1_sel:DWORD
	v_mul_u32_u24_sdwa v64, v68, s38 dst_sel:DWORD dst_unused:UNUSED_PAD src0_sel:WORD_1 src1_sel:DWORD
	s_waitcnt lgkmcnt(4)
	v_pk_fma_f16 v53, v50, v61, v53
	v_pk_fma_f16 v55, v49, v61, v55
	;; [unrolled: 1-line block ×4, first 2 shown]
	ds_read2_b64 v[37:40], v122 offset0:128 offset1:160
	v_mul_u32_u24_sdwa v57, v69, s38 dst_sel:DWORD dst_unused:UNUSED_PAD src0_sel:WORD_0 src1_sel:DWORD
	v_mul_u32_u24_sdwa v54, v69, s38 dst_sel:DWORD dst_unused:UNUSED_PAD src0_sel:WORD_1 src1_sel:DWORD
	v_pk_fma_f16 v53, v52, v63, v53
	v_pk_fma_f16 v55, v51, v63, v55
	;; [unrolled: 1-line block ×4, first 2 shown]
	v_mul_u32_u24_sdwa v56, v70, s38 dst_sel:DWORD dst_unused:UNUSED_PAD src0_sel:WORD_0 src1_sel:DWORD
	v_mul_u32_u24_sdwa v60, v70, s38 dst_sel:DWORD dst_unused:UNUSED_PAD src0_sel:WORD_1 src1_sel:DWORD
	s_waitcnt lgkmcnt(4)
	v_pk_fma_f16 v53, v26, v57, v53
	v_pk_fma_f16 v55, v25, v57, v55
	;; [unrolled: 1-line block ×4, first 2 shown]
	ds_read2_b64 v[1:4], v122 offset0:192 offset1:224
	v_mul_u32_u24_sdwa v65, v71, s38 dst_sel:DWORD dst_unused:UNUSED_PAD src0_sel:WORD_0 src1_sel:DWORD
	v_mul_u32_u24_sdwa v66, v71, s38 dst_sel:DWORD dst_unused:UNUSED_PAD src0_sel:WORD_1 src1_sel:DWORD
	v_pk_fma_f16 v53, v28, v56, v53
	v_pk_fma_f16 v54, v27, v56, v55
	;; [unrolled: 1-line block ×4, first 2 shown]
	v_mul_u32_u24_sdwa v67, v72, s38 dst_sel:DWORD dst_unused:UNUSED_PAD src0_sel:WORD_0 src1_sel:DWORD
	v_mul_u32_u24_sdwa v68, v72, s38 dst_sel:DWORD dst_unused:UNUSED_PAD src0_sel:WORD_1 src1_sel:DWORD
	s_waitcnt lgkmcnt(4)
	v_pk_fma_f16 v53, v34, v65, v53
	v_pk_fma_f16 v54, v33, v65, v54
	;; [unrolled: 1-line block ×4, first 2 shown]
	ds_read2_b64 v[9:12], v123 offset1:32
	s_waitcnt lgkmcnt(4)
	v_mul_u32_u24_sdwa v61, v103, s38 dst_sel:DWORD dst_unused:UNUSED_PAD src0_sel:WORD_0 src1_sel:DWORD
	v_mul_u32_u24_sdwa v58, v103, s38 dst_sel:DWORD dst_unused:UNUSED_PAD src0_sel:WORD_1 src1_sel:DWORD
	v_pk_fma_f16 v53, v36, v67, v53
	v_pk_fma_f16 v54, v35, v67, v54
	;; [unrolled: 1-line block ×4, first 2 shown]
	v_mul_u32_u24_sdwa v59, v104, s38 dst_sel:DWORD dst_unused:UNUSED_PAD src0_sel:WORD_0 src1_sel:DWORD
	v_mul_u32_u24_sdwa v64, v104, s38 dst_sel:DWORD dst_unused:UNUSED_PAD src0_sel:WORD_1 src1_sel:DWORD
	s_waitcnt lgkmcnt(2)
	v_pk_fma_f16 v53, v38, v61, v53
	v_pk_fma_f16 v54, v37, v61, v54
	;; [unrolled: 1-line block ×4, first 2 shown]
	ds_read2_b64 v[13:16], v123 offset0:64 offset1:96
	v_mul_u32_u24_sdwa v69, v105, s38 dst_sel:DWORD dst_unused:UNUSED_PAD src0_sel:WORD_0 src1_sel:DWORD
	v_mul_u32_u24_sdwa v70, v105, s38 dst_sel:DWORD dst_unused:UNUSED_PAD src0_sel:WORD_1 src1_sel:DWORD
	v_pk_fma_f16 v38, v40, v59, v53
	v_pk_fma_f16 v53, v39, v59, v54
	;; [unrolled: 1-line block ×4, first 2 shown]
	ds_read_b128 v[21:24], v109 offset:208
	ds_read_b128 v[5:8], v109 offset:224
	v_mul_u32_u24_sdwa v71, v106, s38 dst_sel:DWORD dst_unused:UNUSED_PAD src0_sel:WORD_0 src1_sel:DWORD
	v_mul_u32_u24_sdwa v72, v106, s38 dst_sel:DWORD dst_unused:UNUSED_PAD src0_sel:WORD_1 src1_sel:DWORD
	s_waitcnt lgkmcnt(4)
	v_pk_fma_f16 v38, v2, v69, v38
	v_pk_fma_f16 v53, v1, v69, v53
	;; [unrolled: 1-line block ×4, first 2 shown]
	ds_read2_b64 v[17:20], v123 offset0:128 offset1:160
	v_mul_u32_u24_sdwa v57, v41, s38 dst_sel:DWORD dst_unused:UNUSED_PAD src0_sel:WORD_0 src1_sel:DWORD
	v_mul_u32_u24_sdwa v41, v41, s38 dst_sel:DWORD dst_unused:UNUSED_PAD src0_sel:WORD_1 src1_sel:DWORD
	v_pk_fma_f16 v33, v4, v71, v38
	v_pk_fma_f16 v34, v3, v71, v53
	v_pk_fma_f16 v2, v4, v72, v2
	v_pk_fma_f16 v1, v3, v72, v1
	v_mul_u32_u24_sdwa v55, v42, s38 dst_sel:DWORD dst_unused:UNUSED_PAD src0_sel:WORD_0 src1_sel:DWORD
	v_mul_u32_u24_sdwa v42, v42, s38 dst_sel:DWORD dst_unused:UNUSED_PAD src0_sel:WORD_1 src1_sel:DWORD
	s_waitcnt lgkmcnt(4)
	v_pk_fma_f16 v33, v10, v57, v33
	v_pk_fma_f16 v2, v10, v41, v2
	;; [unrolled: 1-line block ×4, first 2 shown]
	ds_read2_b64 v[45:48], v123 offset0:192 offset1:224
	v_mul_u32_u24_sdwa v62, v43, s38 dst_sel:DWORD dst_unused:UNUSED_PAD src0_sel:WORD_0 src1_sel:DWORD
	v_mul_u32_u24_sdwa v43, v43, s38 dst_sel:DWORD dst_unused:UNUSED_PAD src0_sel:WORD_1 src1_sel:DWORD
	v_pk_fma_f16 v9, v12, v55, v33
	v_pk_fma_f16 v2, v12, v42, v2
	v_pk_fma_f16 v10, v11, v55, v10
	v_pk_fma_f16 v1, v11, v42, v1
	v_mul_u32_u24_sdwa v63, v44, s38 dst_sel:DWORD dst_unused:UNUSED_PAD src0_sel:WORD_0 src1_sel:DWORD
	v_mul_u32_u24_sdwa v44, v44, s38 dst_sel:DWORD dst_unused:UNUSED_PAD src0_sel:WORD_1 src1_sel:DWORD
	s_waitcnt lgkmcnt(4)
	v_pk_fma_f16 v9, v14, v62, v9
	v_pk_fma_f16 v2, v14, v43, v2
	;; [unrolled: 1-line block ×4, first 2 shown]
	ds_read2_b64 v[29:32], v124 offset1:32
	s_waitcnt lgkmcnt(4)
	v_mul_u32_u24_sdwa v65, v21, s38 dst_sel:DWORD dst_unused:UNUSED_PAD src0_sel:WORD_0 src1_sel:DWORD
	v_mul_u32_u24_sdwa v56, v21, s38 dst_sel:DWORD dst_unused:UNUSED_PAD src0_sel:WORD_1 src1_sel:DWORD
	v_pk_fma_f16 v9, v16, v63, v9
	v_pk_fma_f16 v2, v16, v44, v2
	;; [unrolled: 1-line block ×4, first 2 shown]
	v_mul_u32_u24_sdwa v60, v22, s38 dst_sel:DWORD dst_unused:UNUSED_PAD src0_sel:WORD_0 src1_sel:DWORD
	v_mul_u32_u24_sdwa v35, v22, s38 dst_sel:DWORD dst_unused:UNUSED_PAD src0_sel:WORD_1 src1_sel:DWORD
	s_waitcnt lgkmcnt(2)
	v_pk_fma_f16 v9, v18, v65, v9
	v_pk_fma_f16 v2, v18, v56, v2
	;; [unrolled: 1-line block ×4, first 2 shown]
	ds_read2_b64 v[49:52], v124 offset0:64 offset1:96
	v_mul_u32_u24_sdwa v36, v23, s38 dst_sel:DWORD dst_unused:UNUSED_PAD src0_sel:WORD_0 src1_sel:DWORD
	v_mul_u32_u24_sdwa v66, v23, s38 dst_sel:DWORD dst_unused:UNUSED_PAD src0_sel:WORD_1 src1_sel:DWORD
	v_pk_fma_f16 v9, v20, v60, v9
	v_pk_fma_f16 v2, v20, v35, v2
	;; [unrolled: 1-line block ×4, first 2 shown]
	v_mul_u32_u24_sdwa v67, v24, s38 dst_sel:DWORD dst_unused:UNUSED_PAD src0_sel:WORD_0 src1_sel:DWORD
	v_mul_u32_u24_sdwa v68, v24, s38 dst_sel:DWORD dst_unused:UNUSED_PAD src0_sel:WORD_1 src1_sel:DWORD
	ds_read_b128 v[21:24], v109 offset:240
	s_waitcnt lgkmcnt(3)
	v_pk_fma_f16 v9, v46, v36, v9
	v_pk_fma_f16 v2, v46, v66, v2
	;; [unrolled: 1-line block ×4, first 2 shown]
	ds_read2_b64 v[25:28], v124 offset0:128 offset1:160
	v_mul_u32_u24_sdwa v61, v5, s38 dst_sel:DWORD dst_unused:UNUSED_PAD src0_sel:WORD_0 src1_sel:DWORD
	v_mul_u32_u24_sdwa v37, v5, s38 dst_sel:DWORD dst_unused:UNUSED_PAD src0_sel:WORD_1 src1_sel:DWORD
	v_pk_fma_f16 v9, v48, v67, v9
	v_pk_fma_f16 v2, v48, v68, v2
	;; [unrolled: 1-line block ×4, first 2 shown]
	v_mul_u32_u24_sdwa v54, v6, s38 dst_sel:DWORD dst_unused:UNUSED_PAD src0_sel:WORD_0 src1_sel:DWORD
	v_mul_u32_u24_sdwa v39, v6, s38 dst_sel:DWORD dst_unused:UNUSED_PAD src0_sel:WORD_1 src1_sel:DWORD
	v_mul_u32_u24_sdwa v40, v7, s38 dst_sel:DWORD dst_unused:UNUSED_PAD src0_sel:WORD_0 src1_sel:DWORD
	v_mul_u32_u24_sdwa v58, v7, s38 dst_sel:DWORD dst_unused:UNUSED_PAD src0_sel:WORD_1 src1_sel:DWORD
	;; [unrolled: 2-line block ×3, first 2 shown]
	ds_read2_b64 v[5:8], v124 offset0:192 offset1:224
	s_waitcnt lgkmcnt(0)
	s_barrier
	s_load_dword s0, s[14:15], 0x4
	v_pk_fma_f16 v9, v30, v61, v9
	v_pk_fma_f16 v2, v30, v37, v2
	;; [unrolled: 1-line block ×12, first 2 shown]
	v_mul_u32_u24_sdwa v69, v21, s38 dst_sel:DWORD dst_unused:UNUSED_PAD src0_sel:WORD_0 src1_sel:DWORD
	v_mul_u32_u24_sdwa v21, v21, s38 dst_sel:DWORD dst_unused:UNUSED_PAD src0_sel:WORD_1 src1_sel:DWORD
	v_pk_fma_f16 v9, v52, v59, v9
	v_pk_fma_f16 v2, v52, v64, v2
	;; [unrolled: 1-line block ×4, first 2 shown]
	v_mul_u32_u24_sdwa v38, v22, s38 dst_sel:DWORD dst_unused:UNUSED_PAD src0_sel:WORD_0 src1_sel:DWORD
	v_mul_u32_u24_sdwa v3, v22, s38 dst_sel:DWORD dst_unused:UNUSED_PAD src0_sel:WORD_1 src1_sel:DWORD
	v_pk_fma_f16 v9, v26, v69, v9
	v_pk_fma_f16 v2, v26, v21, v2
	;; [unrolled: 1-line block ×4, first 2 shown]
	v_mul_u32_u24_sdwa v4, v23, s38 dst_sel:DWORD dst_unused:UNUSED_PAD src0_sel:WORD_0 src1_sel:DWORD
	v_mul_u32_u24_sdwa v22, v23, s38 dst_sel:DWORD dst_unused:UNUSED_PAD src0_sel:WORD_1 src1_sel:DWORD
	s_waitcnt lgkmcnt(0)
	s_lshl_b32 s0, s0, 6
	v_pk_fma_f16 v9, v28, v38, v9
	v_pk_fma_f16 v2, v28, v3, v2
	;; [unrolled: 1-line block ×4, first 2 shown]
	v_mul_u32_u24_sdwa v23, v24, s38 dst_sel:DWORD dst_unused:UNUSED_PAD src0_sel:WORD_0 src1_sel:DWORD
	v_mul_u32_u24_sdwa v24, v24, s38 dst_sel:DWORD dst_unused:UNUSED_PAD src0_sel:WORD_1 src1_sel:DWORD
	s_add_i32 s6, s0, s6
	v_pk_fma_f16 v3, v6, v4, v9
	v_pk_fma_f16 v2, v6, v22, v2
	;; [unrolled: 1-line block ×4, first 2 shown]
	s_cmp_ge_i32 s6, s28
	v_pk_fma_f16 v12, v8, v23, v3
	v_pk_fma_f16 v11, v8, v24, v2
	;; [unrolled: 1-line block ×4, first 2 shown]
	s_cbranch_scc0 .LBB9_9
; %bb.10:
	buffer_load_dword v23, off, s[44:47], 0 ; 4-byte Folded Reload
	buffer_load_dword v24, off, s[44:47], 0 offset:4 ; 4-byte Folded Reload
	buffer_load_dword v24, off, s[44:47], 0 offset:8 ; 4-byte Folded Reload
	;; [unrolled: 1-line block ×4, first 2 shown]
.LBB9_11:
	v_cmp_lt_i32_e32 vcc, v102, v97
	v_cndmask_b32_e32 v0, v96, v102, vcc
	v_lshlrev_b32_e32 v0, 2, v0
	ds_bpermute_b32 v1, v0, v126
	ds_bpermute_b32 v0, v0, v125
	v_cmp_lt_i32_e32 vcc, v101, v97
	v_cndmask_b32_e32 v2, v96, v101, vcc
	v_lshlrev_b32_e32 v2, 2, v2
	s_waitcnt lgkmcnt(1)
	v_add_f32_e32 v1, v126, v1
	s_waitcnt lgkmcnt(0)
	v_add_f32_e32 v0, v125, v0
	ds_bpermute_b32 v3, v2, v1
	ds_bpermute_b32 v2, v2, v0
	v_cmp_lt_i32_e32 vcc, v100, v97
	v_cndmask_b32_e32 v4, v96, v100, vcc
	v_lshlrev_b32_e32 v4, 2, v4
	s_waitcnt lgkmcnt(1)
	v_add_f32_e32 v1, v1, v3
	s_waitcnt lgkmcnt(0)
	v_add_f32_e32 v0, v0, v2
	;; [unrolled: 9-line block ×4, first 2 shown]
	ds_bpermute_b32 v3, v4, v1
	ds_bpermute_b32 v2, v4, v0
	s_cmp_lg_u64 s[16:17], 0
	s_cselect_b64 s[0:1], -1, 0
	s_cmp_eq_u32 s7, 0
	s_cselect_b64 s[2:3], -1, 0
	s_and_b64 s[0:1], s[2:3], s[0:1]
	s_waitcnt lgkmcnt(1)
	v_add_f32_e32 v1, v1, v3
	s_waitcnt lgkmcnt(0)
	v_add_f32_e32 v2, v0, v2
	s_and_b64 vcc, exec, s[0:1]
	s_cbranch_vccz .LBB9_14
; %bb.12:
	s_waitcnt vmcnt(1)
	v_add_u32_e32 v3, s29, v25
	v_ashrrev_i32_e32 v4, 31, v3
	v_lshlrev_b64 v[3:4], 2, v[3:4]
	v_mov_b32_e32 v0, s17
	v_add_co_u32_e32 v3, vcc, s16, v3
	v_addc_co_u32_e32 v4, vcc, v0, v4, vcc
	global_load_dwordx2 v[3:4], v[3:4], off
	v_max_f32_e32 v0, v90, v90
	v_max_f32_e32 v6, v91, v91
	s_mov_b32 s0, 0x3fb8aa3b
	s_mov_b32 s1, 0xc2ce8ed0
	;; [unrolled: 1-line block ×3, first 2 shown]
	v_mov_b32_e32 v7, 0x7f800000
	s_waitcnt vmcnt(0)
	v_max_f32_e32 v5, v3, v3
	v_max_f32_e32 v8, v4, v4
	;; [unrolled: 1-line block ×4, first 2 shown]
	v_sub_f32_e32 v0, v90, v5
	v_sub_f32_e32 v8, v91, v6
	v_mov_b32_e32 v91, v6
	v_sub_f32_e32 v3, v3, v5
	v_mov_b32_e32 v90, v5
	v_mul_f32_e32 v5, 0x3fb8aa3b, v0
	v_sub_f32_e32 v4, v4, v6
	v_mul_f32_e32 v6, 0x3fb8aa3b, v3
	v_fma_f32 v15, v0, s0, -v5
	v_rndne_f32_e32 v16, v5
	v_mul_f32_e32 v9, 0x3fb8aa3b, v8
	v_fma_f32 v17, v3, s0, -v6
	v_rndne_f32_e32 v18, v6
	v_fmac_f32_e32 v15, 0x32a5705f, v0
	v_sub_f32_e32 v5, v5, v16
	v_mul_f32_e32 v10, 0x3fb8aa3b, v4
	v_fma_f32 v19, v8, s0, -v9
	v_rndne_f32_e32 v20, v9
	v_fmac_f32_e32 v17, 0x32a5705f, v3
	v_sub_f32_e32 v6, v6, v18
	v_add_f32_e32 v5, v5, v15
	v_fma_f32 v21, v4, s0, -v10
	v_rndne_f32_e32 v22, v10
	v_cvt_i32_f32_e32 v16, v16
	v_fmac_f32_e32 v19, 0x32a5705f, v8
	v_sub_f32_e32 v9, v9, v20
	v_add_f32_e32 v6, v6, v17
	v_exp_f32_e32 v5, v5
	v_cvt_i32_f32_e32 v18, v18
	v_fmac_f32_e32 v21, 0x32a5705f, v4
	v_sub_f32_e32 v10, v10, v22
	v_add_f32_e32 v9, v9, v19
	v_exp_f32_e32 v6, v6
	v_cvt_i32_f32_e32 v20, v20
	v_add_f32_e32 v10, v10, v21
	v_exp_f32_e32 v9, v9
	v_cvt_i32_f32_e32 v22, v22
	v_exp_f32_e32 v10, v10
	v_ldexp_f32 v5, v5, v16
	v_cmp_ngt_f32_e32 vcc, s1, v0
	v_ldexp_f32 v6, v6, v18
	v_cndmask_b32_e32 v5, 0, v5, vcc
	v_cmp_ngt_f32_e32 vcc, s1, v3
	v_ldexp_f32 v9, v9, v20
	v_cndmask_b32_e32 v6, 0, v6, vcc
	;; [unrolled: 3-line block ×3, first 2 shown]
	v_cmp_ngt_f32_e32 vcc, s1, v4
	v_cndmask_b32_e32 v10, 0, v10, vcc
	v_cmp_nlt_f32_e32 vcc, s2, v0
	v_cndmask_b32_e32 v0, v7, v5, vcc
	v_cmp_nlt_f32_e32 vcc, s2, v3
	;; [unrolled: 2-line block ×3, first 2 shown]
	v_cndmask_b32_e32 v5, v7, v9, vcc
	v_fmac_f32_e32 v3, v1, v0
	v_cvt_f16_f32_e32 v0, v0
	v_cvt_f16_f32_e32 v6, v5
	v_cmp_nlt_f32_e32 vcc, s2, v4
	v_cndmask_b32_e32 v4, v7, v10, vcc
	v_fmac_f32_e32 v4, v2, v5
	v_mul_u32_u24_e32 v0, 0x10001, v0
	v_mul_u32_u24_e32 v2, 0x10001, v6
	v_mov_b32_e32 v1, v3
	v_pk_mul_f16 v14, v14, v0
	v_pk_mul_f16 v12, v12, v0
	;; [unrolled: 1-line block ×4, first 2 shown]
	v_mov_b32_e32 v2, v4
	v_cmp_gt_i32_e32 vcc, s26, v24
	s_and_saveexec_b64 s[0:1], vcc
	s_cbranch_execnz .LBB9_15
.LBB9_13:
	s_endpgm
.LBB9_14:
	v_mov_b32_e32 v4, v2
	v_mov_b32_e32 v3, v1
	s_waitcnt vmcnt(2)
	v_cmp_gt_i32_e32 vcc, s26, v24
	s_and_saveexec_b64 s[0:1], vcc
	s_cbranch_execz .LBB9_13
.LBB9_15:
	s_load_dword s6, s[4:5], 0xd4
	v_mov_b32_e32 v5, 1.0
	s_waitcnt lgkmcnt(0)
	s_cmp_lg_u32 s6, 1
	s_cselect_b64 s[0:1], -1, 0
	s_cmp_eq_u32 s6, 1
	s_cselect_b64 s[2:3], -1, 0
	s_and_b64 vcc, exec, s[0:1]
	s_cbranch_vccnz .LBB9_17
; %bb.16:
	v_div_scale_f32 v0, s[4:5], v1, v1, 1.0
	v_div_scale_f32 v5, vcc, 1.0, v1, 1.0
	v_rcp_f32_e32 v6, v0
	v_fma_f32 v7, -v0, v6, 1.0
	v_fmac_f32_e32 v6, v7, v6
	v_mul_f32_e32 v7, v5, v6
	v_fma_f32 v8, -v0, v7, v5
	v_fmac_f32_e32 v7, v8, v6
	v_fma_f32 v0, -v0, v7, v5
	v_div_fmas_f32 v0, v0, v6, v7
	v_div_fixup_f32 v5, v0, v1, 1.0
.LBB9_17:
	s_mul_i32 s33, s33, s26
	v_add_u32_e32 v0, s33, v24
	v_mul_lo_u32 v0, v0, s27
	v_cvt_f32_f16_e32 v1, v14
	v_mov_b32_e32 v15, 0
	v_cvt_f32_f16_sdwa v7, v14 dst_sel:DWORD dst_unused:UNUSED_PAD src0_sel:WORD_1
	s_waitcnt vmcnt(1)
	v_add3_u32 v0, s29, v25, v0
	v_mul_lo_u32 v0, s6, v0
	v_cvt_f32_f16_e32 v8, v12
	v_cvt_f32_f16_sdwa v9, v12 dst_sel:DWORD dst_unused:UNUSED_PAD src0_sel:WORD_1
	v_cmp_eq_u32_e32 vcc, 0, v23
	v_add_u32_e32 v0, s7, v0
	s_waitcnt vmcnt(0)
	v_lshl_add_u32 v14, v0, 7, v26
	v_lshlrev_b64 v[14:15], 2, v[14:15]
	s_and_b64 s[0:1], vcc, s[0:1]
	v_mul_f32_e32 v6, v5, v1
	v_mov_b32_e32 v1, s21
	v_add_co_u32_e32 v14, vcc, s20, v14
	v_mul_f32_e32 v7, v5, v7
	v_mul_f32_e32 v8, v5, v8
	;; [unrolled: 1-line block ×3, first 2 shown]
	v_addc_co_u32_e32 v15, vcc, v1, v15, vcc
	global_store_dwordx4 v[14:15], v[6:9], off
	s_and_saveexec_b64 s[4:5], s[0:1]
	s_cbranch_execz .LBB9_19
; %bb.18:
	v_ashrrev_i32_e32 v1, 31, v0
	v_lshlrev_b64 v[5:6], 3, v[0:1]
	v_mov_b32_e32 v1, s23
	v_add_co_u32_e32 v5, vcc, s22, v5
	v_addc_co_u32_e32 v6, vcc, v1, v6, vcc
	v_mov_b32_e32 v7, v90
	v_mov_b32_e32 v8, v3
	global_store_dwordx2 v[5:6], v[7:8], off
.LBB9_19:
	s_or_b64 exec, exec, s[4:5]
	s_andn2_b64 vcc, exec, s[2:3]
	v_mov_b32_e32 v1, 1.0
	s_cbranch_vccnz .LBB9_21
; %bb.20:
	v_div_scale_f32 v1, s[2:3], v2, v2, 1.0
	v_div_scale_f32 v3, vcc, 1.0, v2, 1.0
	v_rcp_f32_e32 v5, v1
	v_fma_f32 v6, -v1, v5, 1.0
	v_fmac_f32_e32 v5, v6, v5
	v_mul_f32_e32 v6, v3, v5
	v_fma_f32 v7, -v1, v6, v3
	v_fmac_f32_e32 v6, v7, v5
	v_fma_f32 v1, -v1, v6, v3
	v_div_fmas_f32 v1, v1, v5, v6
	v_div_fixup_f32 v1, v1, v2, 1.0
.LBB9_21:
	v_cvt_f32_f16_e32 v5, v13
	v_cvt_f32_f16_sdwa v6, v13 dst_sel:DWORD dst_unused:UNUSED_PAD src0_sel:WORD_1
	v_cvt_f32_f16_e32 v7, v11
	v_cvt_f32_f16_sdwa v8, v11 dst_sel:DWORD dst_unused:UNUSED_PAD src0_sel:WORD_1
	v_add_u32_e32 v0, s6, v0
	v_lshl_add_u32 v2, v0, 7, v26
	v_mov_b32_e32 v3, 0
	v_mul_f32_e32 v5, v1, v5
	v_mul_f32_e32 v6, v1, v6
	;; [unrolled: 1-line block ×4, first 2 shown]
	v_lshlrev_b64 v[1:2], 2, v[2:3]
	v_mov_b32_e32 v3, s21
	v_add_co_u32_e32 v1, vcc, s20, v1
	v_addc_co_u32_e32 v2, vcc, v3, v2, vcc
	global_store_dwordx4 v[1:2], v[5:8], off
	s_and_b64 exec, exec, s[0:1]
	s_cbranch_execz .LBB9_13
; %bb.22:
	v_ashrrev_i32_e32 v1, 31, v0
	v_lshlrev_b64 v[0:1], 3, v[0:1]
	v_mov_b32_e32 v2, s23
	v_add_co_u32_e32 v0, vcc, s22, v0
	v_addc_co_u32_e32 v1, vcc, v2, v1, vcc
	v_mov_b32_e32 v3, v91
	global_store_dwordx2 v[0:1], v[3:4], off
	s_endpgm
	.section	.rodata,"a",@progbits
	.p2align	6, 0x0
	.amdhsa_kernel _ZL15flash_attn_tileILi128ELi128ELi2ELi8ELb0EEvPKcS1_S1_S1_S1_PKiPfP15HIP_vector_typeIfLj2EEffffjfiS5_IjLj3EEiiiiiiiiiiiliiliiiiil
		.amdhsa_group_segment_fixed_size 23552
		.amdhsa_private_segment_fixed_size 24
		.amdhsa_kernarg_size 464
		.amdhsa_user_sgpr_count 6
		.amdhsa_user_sgpr_private_segment_buffer 1
		.amdhsa_user_sgpr_dispatch_ptr 0
		.amdhsa_user_sgpr_queue_ptr 0
		.amdhsa_user_sgpr_kernarg_segment_ptr 1
		.amdhsa_user_sgpr_dispatch_id 0
		.amdhsa_user_sgpr_flat_scratch_init 0
		.amdhsa_user_sgpr_private_segment_size 0
		.amdhsa_uses_dynamic_stack 0
		.amdhsa_system_sgpr_private_segment_wavefront_offset 1
		.amdhsa_system_sgpr_workgroup_id_x 1
		.amdhsa_system_sgpr_workgroup_id_y 1
		.amdhsa_system_sgpr_workgroup_id_z 1
		.amdhsa_system_sgpr_workgroup_info 0
		.amdhsa_system_vgpr_workitem_id 1
		.amdhsa_next_free_vgpr 128
		.amdhsa_next_free_sgpr 98
		.amdhsa_reserve_vcc 1
		.amdhsa_reserve_flat_scratch 0
		.amdhsa_float_round_mode_32 0
		.amdhsa_float_round_mode_16_64 0
		.amdhsa_float_denorm_mode_32 3
		.amdhsa_float_denorm_mode_16_64 3
		.amdhsa_dx10_clamp 1
		.amdhsa_ieee_mode 1
		.amdhsa_fp16_overflow 0
		.amdhsa_exception_fp_ieee_invalid_op 0
		.amdhsa_exception_fp_denorm_src 0
		.amdhsa_exception_fp_ieee_div_zero 0
		.amdhsa_exception_fp_ieee_overflow 0
		.amdhsa_exception_fp_ieee_underflow 0
		.amdhsa_exception_fp_ieee_inexact 0
		.amdhsa_exception_int_div_zero 0
	.end_amdhsa_kernel
	.section	.text._ZL15flash_attn_tileILi128ELi128ELi2ELi8ELb0EEvPKcS1_S1_S1_S1_PKiPfP15HIP_vector_typeIfLj2EEffffjfiS5_IjLj3EEiiiiiiiiiiiliiliiiiil,"axG",@progbits,_ZL15flash_attn_tileILi128ELi128ELi2ELi8ELb0EEvPKcS1_S1_S1_S1_PKiPfP15HIP_vector_typeIfLj2EEffffjfiS5_IjLj3EEiiiiiiiiiiiliiliiiiil,comdat
.Lfunc_end9:
	.size	_ZL15flash_attn_tileILi128ELi128ELi2ELi8ELb0EEvPKcS1_S1_S1_S1_PKiPfP15HIP_vector_typeIfLj2EEffffjfiS5_IjLj3EEiiiiiiiiiiiliiliiiiil, .Lfunc_end9-_ZL15flash_attn_tileILi128ELi128ELi2ELi8ELb0EEvPKcS1_S1_S1_S1_PKiPfP15HIP_vector_typeIfLj2EEffffjfiS5_IjLj3EEiiiiiiiiiiiliiliiiiil
                                        ; -- End function
	.set _ZL15flash_attn_tileILi128ELi128ELi2ELi8ELb0EEvPKcS1_S1_S1_S1_PKiPfP15HIP_vector_typeIfLj2EEffffjfiS5_IjLj3EEiiiiiiiiiiiliiliiiiil.num_vgpr, 128
	.set _ZL15flash_attn_tileILi128ELi128ELi2ELi8ELb0EEvPKcS1_S1_S1_S1_PKiPfP15HIP_vector_typeIfLj2EEffffjfiS5_IjLj3EEiiiiiiiiiiiliiliiiiil.num_agpr, 0
	.set _ZL15flash_attn_tileILi128ELi128ELi2ELi8ELb0EEvPKcS1_S1_S1_S1_PKiPfP15HIP_vector_typeIfLj2EEffffjfiS5_IjLj3EEiiiiiiiiiiiliiliiiiil.numbered_sgpr, 48
	.set _ZL15flash_attn_tileILi128ELi128ELi2ELi8ELb0EEvPKcS1_S1_S1_S1_PKiPfP15HIP_vector_typeIfLj2EEffffjfiS5_IjLj3EEiiiiiiiiiiiliiliiiiil.num_named_barrier, 0
	.set _ZL15flash_attn_tileILi128ELi128ELi2ELi8ELb0EEvPKcS1_S1_S1_S1_PKiPfP15HIP_vector_typeIfLj2EEffffjfiS5_IjLj3EEiiiiiiiiiiiliiliiiiil.private_seg_size, 24
	.set _ZL15flash_attn_tileILi128ELi128ELi2ELi8ELb0EEvPKcS1_S1_S1_S1_PKiPfP15HIP_vector_typeIfLj2EEffffjfiS5_IjLj3EEiiiiiiiiiiiliiliiiiil.uses_vcc, 1
	.set _ZL15flash_attn_tileILi128ELi128ELi2ELi8ELb0EEvPKcS1_S1_S1_S1_PKiPfP15HIP_vector_typeIfLj2EEffffjfiS5_IjLj3EEiiiiiiiiiiiliiliiiiil.uses_flat_scratch, 0
	.set _ZL15flash_attn_tileILi128ELi128ELi2ELi8ELb0EEvPKcS1_S1_S1_S1_PKiPfP15HIP_vector_typeIfLj2EEffffjfiS5_IjLj3EEiiiiiiiiiiiliiliiiiil.has_dyn_sized_stack, 0
	.set _ZL15flash_attn_tileILi128ELi128ELi2ELi8ELb0EEvPKcS1_S1_S1_S1_PKiPfP15HIP_vector_typeIfLj2EEffffjfiS5_IjLj3EEiiiiiiiiiiiliiliiiiil.has_recursion, 0
	.set _ZL15flash_attn_tileILi128ELi128ELi2ELi8ELb0EEvPKcS1_S1_S1_S1_PKiPfP15HIP_vector_typeIfLj2EEffffjfiS5_IjLj3EEiiiiiiiiiiiliiliiiiil.has_indirect_call, 0
	.section	.AMDGPU.csdata,"",@progbits
; Kernel info:
; codeLenInByte = 11016
; TotalNumSgprs: 52
; NumVgprs: 128
; ScratchSize: 24
; MemoryBound: 0
; FloatMode: 240
; IeeeMode: 1
; LDSByteSize: 23552 bytes/workgroup (compile time only)
; SGPRBlocks: 12
; VGPRBlocks: 31
; NumSGPRsForWavesPerEU: 102
; NumVGPRsForWavesPerEU: 128
; Occupancy: 2
; WaveLimiterHint : 1
; COMPUTE_PGM_RSRC2:SCRATCH_EN: 1
; COMPUTE_PGM_RSRC2:USER_SGPR: 6
; COMPUTE_PGM_RSRC2:TRAP_HANDLER: 0
; COMPUTE_PGM_RSRC2:TGID_X_EN: 1
; COMPUTE_PGM_RSRC2:TGID_Y_EN: 1
; COMPUTE_PGM_RSRC2:TGID_Z_EN: 1
; COMPUTE_PGM_RSRC2:TIDIG_COMP_CNT: 1
	.section	.text._ZL25flash_attn_mask_to_KV_maxILi2EEvPK7__half2Piiii,"axG",@progbits,_ZL25flash_attn_mask_to_KV_maxILi2EEvPK7__half2Piiii,comdat
	.globl	_ZL25flash_attn_mask_to_KV_maxILi2EEvPK7__half2Piiii ; -- Begin function _ZL25flash_attn_mask_to_KV_maxILi2EEvPK7__half2Piiii
	.p2align	8
	.type	_ZL25flash_attn_mask_to_KV_maxILi2EEvPK7__half2Piiii,@function
_ZL25flash_attn_mask_to_KV_maxILi2EEvPK7__half2Piiii: ; @_ZL25flash_attn_mask_to_KV_maxILi2EEvPK7__half2Piiii
; %bb.0:
	s_load_dwordx4 s[8:11], s[4:5], 0x0
	v_cmp_gt_u32_e32 vcc, 32, v0
	s_and_saveexec_b64 s[0:1], vcc
; %bb.1:
	v_lshlrev_b32_e32 v1, 2, v0
	v_mov_b32_e32 v2, 1
	ds_write_b32 v1, v2
; %bb.2:
	s_or_b64 exec, exec, s[0:1]
	s_load_dwordx4 s[12:15], s[4:5], 0x10
	s_waitcnt lgkmcnt(0)
	s_load_dword s15, s[4:5], 0x20
	v_and_b32_e32 v1, 31, v0
	v_lshlrev_b32_e32 v4, 2, v1
                                        ; kill: killed $sgpr4_sgpr5
	v_lshrrev_b32_e32 v3, 3, v0
	s_mul_i32 s1, s6, s13
	s_mul_i32 s0, s14, s7
	s_lshl_b32 s1, s1, 1
	s_add_i32 s0, s0, s1
	s_ashr_i32 s1, s0, 31
	s_lshl_b64 s[0:1], s[0:1], 2
	s_add_u32 s14, s8, s0
	s_addc_u32 s16, s9, s1
	v_cmp_eq_u32_e64 s[0:1], 0, v1
	v_mbcnt_lo_u32_b32 v1, -1, 0
	v_mbcnt_hi_u32_b32 v5, -1, v1
	v_and_b32_e32 v1, 0x60, v5
	s_lshl_b32 s12, s12, 8
	s_mov_b64 s[4:5], 0
	v_mov_b32_e32 v2, 0
	s_movk_i32 s17, 0x204
	v_add_u32_e32 v6, 32, v1
	v_xor_b32_e32 v7, 16, v5
	v_xor_b32_e32 v8, 8, v5
	;; [unrolled: 1-line block ×5, first 2 shown]
	s_waitcnt lgkmcnt(0)
	s_barrier
                                        ; implicit-def: $sgpr2_sgpr3
	s_branch .LBB10_5
.LBB10_3:                               ;   in Loop: Header=BB10_5 Depth=1
	s_or_b64 exec, exec, s[8:9]
	s_waitcnt lgkmcnt(0)
	s_barrier
	ds_read_b32 v16, v4
	s_waitcnt lgkmcnt(0)
	s_barrier
	ds_bpermute_b32 v1, v1, v16
	v_cmp_ne_u32_e32 vcc, 0, v16
	s_waitcnt lgkmcnt(0)
	v_cmp_ne_u32_e64 s[2:3], 0, v1
	s_and_b64 s[2:3], vcc, s[2:3]
	v_cndmask_b32_e64 v1, 0, 1, s[2:3]
	ds_bpermute_b32 v1, v12, v1
	s_waitcnt lgkmcnt(0)
	v_cmp_ne_u32_e32 vcc, 0, v1
	s_and_b64 s[2:3], vcc, s[2:3]
	v_cndmask_b32_e64 v1, 0, 1, s[2:3]
	ds_bpermute_b32 v1, v13, v1
	s_waitcnt lgkmcnt(0)
	v_cmp_ne_u32_e32 vcc, 0, v1
	;; [unrolled: 5-line block ×3, first 2 shown]
	s_and_b64 s[2:3], vcc, s[2:3]
	v_cndmask_b32_e64 v1, 0, 1, s[2:3]
	ds_bpermute_b32 v1, v15, v1
	s_xor_b64 s[2:3], s[2:3], -1
	s_waitcnt lgkmcnt(0)
	v_cmp_eq_u32_e32 vcc, 0, v1
	s_or_b64 s[2:3], vcc, s[2:3]
.LBB10_4:                               ;   in Loop: Header=BB10_5 Depth=1
	s_and_b64 s[8:9], exec, s[2:3]
	s_or_b64 s[4:5], s[8:9], s[4:5]
	v_mov_b32_e32 v1, s12
	s_mov_b32 s12, s18
	s_andn2_b64 exec, exec, s[4:5]
	s_cbranch_execz .LBB10_12
.LBB10_5:                               ; =>This Inner Loop Header: Depth=1
	s_add_i32 s18, s12, 0xffffff00
	s_or_b64 s[2:3], s[2:3], exec
	s_cmp_lt_i32 s18, 0
	s_cbranch_scc1 .LBB10_4
; %bb.6:                                ;   in Loop: Header=BB10_5 Depth=1
	s_lshr_b32 s2, s18, 1
	v_add_u32_e32 v1, s2, v0
	v_lshlrev_b64 v[12:13], 2, v[1:2]
	v_mov_b32_e32 v14, s16
	v_add_co_u32_e32 v12, vcc, s14, v12
	v_addc_co_u32_e32 v13, vcc, v14, v13, vcc
	global_load_dword v12, v[12:13], off
	s_waitcnt vmcnt(0)
	v_cmp_class_f16_e64 s[2:3], v12, s17
	v_cmp_class_f16_sdwa s[8:9], v12, s17 src0_sel:WORD_1 src1_sel:DWORD
	s_and_b64 s[8:9], s[2:3], s[8:9]
	v_mov_b32_e32 v12, 0
	s_and_saveexec_b64 s[2:3], s[8:9]
	s_cbranch_execz .LBB10_10
; %bb.7:                                ;   in Loop: Header=BB10_5 Depth=1
	v_add_u32_e32 v12, s13, v1
	v_ashrrev_i32_e32 v13, 31, v12
	v_lshlrev_b64 v[12:13], 2, v[12:13]
	v_mov_b32_e32 v1, s16
	v_add_co_u32_e32 v12, vcc, s14, v12
	v_addc_co_u32_e32 v13, vcc, v1, v13, vcc
	global_load_dword v1, v[12:13], off
	v_mov_b32_e32 v12, 0
	s_waitcnt vmcnt(0)
	v_cmp_class_f16_e64 s[20:21], v1, s17
	s_and_saveexec_b64 s[8:9], s[20:21]
; %bb.8:                                ;   in Loop: Header=BB10_5 Depth=1
	v_cmp_class_f16_sdwa s[20:21], v1, s17 src0_sel:WORD_1 src1_sel:DWORD
	v_cndmask_b32_e64 v12, 0, 1, s[20:21]
; %bb.9:                                ;   in Loop: Header=BB10_5 Depth=1
	s_or_b64 exec, exec, s[8:9]
.LBB10_10:                              ;   in Loop: Header=BB10_5 Depth=1
	s_or_b64 exec, exec, s[2:3]
	v_cmp_lt_i32_e32 vcc, v7, v6
	v_cndmask_b32_e32 v1, v5, v7, vcc
	v_lshlrev_b32_e32 v1, 2, v1
	ds_bpermute_b32 v13, v1, v12
	v_cmp_ne_u32_e32 vcc, 0, v12
	s_waitcnt lgkmcnt(0)
	v_cmp_ne_u32_e64 s[2:3], 0, v13
	s_and_b64 s[2:3], vcc, s[2:3]
	v_cmp_lt_i32_e32 vcc, v8, v6
	v_cndmask_b32_e32 v12, v5, v8, vcc
	v_cndmask_b32_e64 v13, 0, 1, s[2:3]
	v_lshlrev_b32_e32 v12, 2, v12
	ds_bpermute_b32 v13, v12, v13
	s_waitcnt lgkmcnt(0)
	v_cmp_ne_u32_e32 vcc, 0, v13
	s_and_b64 s[2:3], vcc, s[2:3]
	v_cmp_lt_i32_e32 vcc, v9, v6
	v_cndmask_b32_e32 v13, v5, v9, vcc
	v_cndmask_b32_e64 v14, 0, 1, s[2:3]
	v_lshlrev_b32_e32 v13, 2, v13
	ds_bpermute_b32 v14, v13, v14
	s_waitcnt lgkmcnt(0)
	v_cmp_ne_u32_e32 vcc, 0, v14
	;; [unrolled: 8-line block ×3, first 2 shown]
	s_and_b64 s[2:3], vcc, s[2:3]
	v_cmp_lt_i32_e32 vcc, v11, v6
	v_cndmask_b32_e32 v15, v5, v11, vcc
	v_cndmask_b32_e64 v16, 0, 1, s[2:3]
	v_lshlrev_b32_e32 v15, 2, v15
	ds_bpermute_b32 v16, v15, v16
	s_and_saveexec_b64 s[8:9], s[0:1]
	s_cbranch_execz .LBB10_3
; %bb.11:                               ;   in Loop: Header=BB10_5 Depth=1
	s_waitcnt lgkmcnt(0)
	v_cmp_ne_u32_e32 vcc, 0, v16
	s_and_b64 s[2:3], vcc, s[2:3]
	v_cndmask_b32_e64 v16, 0, 1, s[2:3]
	ds_write_b32 v3, v16
	s_branch .LBB10_3
.LBB10_12:
	s_or_b64 exec, exec, s[4:5]
	v_cmp_eq_u32_e32 vcc, 0, v0
	s_and_saveexec_b64 s[0:1], vcc
	s_cbranch_execz .LBB10_14
; %bb.13:
	s_mul_i32 s0, s15, s7
	s_add_i32 s0, s0, s6
	s_ashr_i32 s1, s0, 31
	s_lshl_b64 s[0:1], s[0:1], 2
	s_add_u32 s0, s10, s0
	s_addc_u32 s1, s11, s1
	v_mov_b32_e32 v0, 0
	global_store_dword v0, v1, s[0:1]
.LBB10_14:
	s_endpgm
	.section	.rodata,"a",@progbits
	.p2align	6, 0x0
	.amdhsa_kernel _ZL25flash_attn_mask_to_KV_maxILi2EEvPK7__half2Piiii
		.amdhsa_group_segment_fixed_size 128
		.amdhsa_private_segment_fixed_size 0
		.amdhsa_kernarg_size 288
		.amdhsa_user_sgpr_count 6
		.amdhsa_user_sgpr_private_segment_buffer 1
		.amdhsa_user_sgpr_dispatch_ptr 0
		.amdhsa_user_sgpr_queue_ptr 0
		.amdhsa_user_sgpr_kernarg_segment_ptr 1
		.amdhsa_user_sgpr_dispatch_id 0
		.amdhsa_user_sgpr_flat_scratch_init 0
		.amdhsa_user_sgpr_private_segment_size 0
		.amdhsa_uses_dynamic_stack 0
		.amdhsa_system_sgpr_private_segment_wavefront_offset 0
		.amdhsa_system_sgpr_workgroup_id_x 1
		.amdhsa_system_sgpr_workgroup_id_y 1
		.amdhsa_system_sgpr_workgroup_id_z 0
		.amdhsa_system_sgpr_workgroup_info 0
		.amdhsa_system_vgpr_workitem_id 0
		.amdhsa_next_free_vgpr 17
		.amdhsa_next_free_sgpr 22
		.amdhsa_reserve_vcc 1
		.amdhsa_reserve_flat_scratch 0
		.amdhsa_float_round_mode_32 0
		.amdhsa_float_round_mode_16_64 0
		.amdhsa_float_denorm_mode_32 3
		.amdhsa_float_denorm_mode_16_64 3
		.amdhsa_dx10_clamp 1
		.amdhsa_ieee_mode 1
		.amdhsa_fp16_overflow 0
		.amdhsa_exception_fp_ieee_invalid_op 0
		.amdhsa_exception_fp_denorm_src 0
		.amdhsa_exception_fp_ieee_div_zero 0
		.amdhsa_exception_fp_ieee_overflow 0
		.amdhsa_exception_fp_ieee_underflow 0
		.amdhsa_exception_fp_ieee_inexact 0
		.amdhsa_exception_int_div_zero 0
	.end_amdhsa_kernel
	.section	.text._ZL25flash_attn_mask_to_KV_maxILi2EEvPK7__half2Piiii,"axG",@progbits,_ZL25flash_attn_mask_to_KV_maxILi2EEvPK7__half2Piiii,comdat
.Lfunc_end10:
	.size	_ZL25flash_attn_mask_to_KV_maxILi2EEvPK7__half2Piiii, .Lfunc_end10-_ZL25flash_attn_mask_to_KV_maxILi2EEvPK7__half2Piiii
                                        ; -- End function
	.set _ZL25flash_attn_mask_to_KV_maxILi2EEvPK7__half2Piiii.num_vgpr, 17
	.set _ZL25flash_attn_mask_to_KV_maxILi2EEvPK7__half2Piiii.num_agpr, 0
	.set _ZL25flash_attn_mask_to_KV_maxILi2EEvPK7__half2Piiii.numbered_sgpr, 22
	.set _ZL25flash_attn_mask_to_KV_maxILi2EEvPK7__half2Piiii.num_named_barrier, 0
	.set _ZL25flash_attn_mask_to_KV_maxILi2EEvPK7__half2Piiii.private_seg_size, 0
	.set _ZL25flash_attn_mask_to_KV_maxILi2EEvPK7__half2Piiii.uses_vcc, 1
	.set _ZL25flash_attn_mask_to_KV_maxILi2EEvPK7__half2Piiii.uses_flat_scratch, 0
	.set _ZL25flash_attn_mask_to_KV_maxILi2EEvPK7__half2Piiii.has_dyn_sized_stack, 0
	.set _ZL25flash_attn_mask_to_KV_maxILi2EEvPK7__half2Piiii.has_recursion, 0
	.set _ZL25flash_attn_mask_to_KV_maxILi2EEvPK7__half2Piiii.has_indirect_call, 0
	.section	.AMDGPU.csdata,"",@progbits
; Kernel info:
; codeLenInByte = 836
; TotalNumSgprs: 26
; NumVgprs: 17
; ScratchSize: 0
; MemoryBound: 0
; FloatMode: 240
; IeeeMode: 1
; LDSByteSize: 128 bytes/workgroup (compile time only)
; SGPRBlocks: 3
; VGPRBlocks: 4
; NumSGPRsForWavesPerEU: 26
; NumVGPRsForWavesPerEU: 17
; Occupancy: 10
; WaveLimiterHint : 0
; COMPUTE_PGM_RSRC2:SCRATCH_EN: 0
; COMPUTE_PGM_RSRC2:USER_SGPR: 6
; COMPUTE_PGM_RSRC2:TRAP_HANDLER: 0
; COMPUTE_PGM_RSRC2:TGID_X_EN: 1
; COMPUTE_PGM_RSRC2:TGID_Y_EN: 1
; COMPUTE_PGM_RSRC2:TGID_Z_EN: 0
; COMPUTE_PGM_RSRC2:TIDIG_COMP_CNT: 0
	.section	.text._ZL33flash_attn_stream_k_fixup_uniformILi128ELi2ELi8EEvPfPK15HIP_vector_typeIfLj2EEiiiiiiS1_IjLj3EES5_S5_,"axG",@progbits,_ZL33flash_attn_stream_k_fixup_uniformILi128ELi2ELi8EEvPfPK15HIP_vector_typeIfLj2EEiiiiiiS1_IjLj3EES5_S5_,comdat
	.globl	_ZL33flash_attn_stream_k_fixup_uniformILi128ELi2ELi8EEvPfPK15HIP_vector_typeIfLj2EEiiiiiiS1_IjLj3EES5_S5_ ; -- Begin function _ZL33flash_attn_stream_k_fixup_uniformILi128ELi2ELi8EEvPfPK15HIP_vector_typeIfLj2EEiiiiiiS1_IjLj3EES5_S5_
	.p2align	8
	.type	_ZL33flash_attn_stream_k_fixup_uniformILi128ELi2ELi8EEvPfPK15HIP_vector_typeIfLj2EEiiiiiiS1_IjLj3EES5_S5_,@function
_ZL33flash_attn_stream_k_fixup_uniformILi128ELi2ELi8EEvPfPK15HIP_vector_typeIfLj2EEiiiiiiS1_IjLj3EES5_S5_: ; @_ZL33flash_attn_stream_k_fixup_uniformILi128ELi2ELi8EEvPfPK15HIP_vector_typeIfLj2EEiiiiiiS1_IjLj3EES5_S5_
; %bb.0:
	s_load_dwordx8 s[12:19], s[4:5], 0x1c
	s_load_dwordx2 s[10:11], s[4:5], 0x10
	s_load_dwordx4 s[0:3], s[4:5], 0x3c
	s_waitcnt lgkmcnt(0)
	s_mul_hi_u32 s9, s15, s6
	s_add_i32 s9, s6, s9
	s_lshr_b32 s9, s9, s16
	s_mul_i32 s15, s9, s17
	s_sub_i32 s15, s6, s15
	s_mul_hi_u32 s16, s15, s18
	s_add_i32 s16, s15, s16
	s_lshr_b32 s16, s16, s19
	s_mul_i32 s0, s16, s0
	s_sub_i32 s0, s15, s0
	;; [unrolled: 5-line block ×3, first 2 shown]
	s_lshl_b32 s0, s17, 1
	s_lshl_b32 s15, s1, 3
	s_add_i32 s0, s0, s7
	s_cmp_lt_i32 s0, s10
	s_cselect_b64 s[0:1], -1, 0
	s_add_i32 s2, s15, s8
	s_cmp_lt_i32 s2, s13
	s_cselect_b64 s[2:3], -1, 0
	s_and_b64 s[0:1], s[0:1], s[2:3]
	s_andn2_b64 vcc, exec, s[0:1]
	s_cbranch_vccnz .LBB11_6
; %bb.1:
	s_load_dwordx4 s[0:3], s[4:5], 0x0
	s_mul_i32 s4, s9, s10
	s_add_i32 s4, s4, s7
	s_mul_i32 s4, s4, s11
	s_mul_i32 s16, s16, s13
	s_add_i32 s4, s4, s8
	s_add_i32 s4, s4, s16
	s_mul_i32 s5, s11, s17
	s_add_i32 s4, s4, s15
	s_lshl_b32 s5, s5, 8
	s_lshl_b32 s4, s4, 7
	s_add_i32 s5, s5, s4
	v_or_b32_e32 v1, s5, v0
	v_ashrrev_i32_e32 v2, 31, v1
	v_lshlrev_b64 v[1:2], 2, v[1:2]
	s_waitcnt lgkmcnt(0)
	v_mov_b32_e32 v3, s1
	v_add_co_u32_e32 v1, vcc, s0, v1
	v_addc_co_u32_e32 v2, vcc, v3, v2, vcc
	global_load_dword v8, v[1:2], off
	s_mul_i32 s9, s14, s6
	s_lshl_b32 s4, s7, 3
	s_add_i32 s11, s9, s14
	s_add_i32 s0, s4, s8
	s_lshl_b32 s1, s11, 4
	s_add_i32 s0, s0, s1
	s_add_i32 s0, s0, -16
	s_ashr_i32 s1, s0, 31
	s_lshl_b64 s[0:1], s[0:1], 3
	s_add_u32 s0, s2, s0
	s_addc_u32 s1, s3, s1
	s_load_dword s5, s[0:1], 0x4
	s_add_i32 s10, s11, -2
	s_cmp_lt_i32 s10, s9
	s_cbranch_scc1 .LBB11_4
; %bb.2:
	s_lshl_b32 s16, s12, 6
	s_ashr_i32 s17, s16, 31
	s_lshl_b64 s[16:17], s[16:17], 2
	s_add_u32 s10, s2, s16
	s_addc_u32 s13, s3, s17
	s_add_i32 s6, s6, 1
	s_load_dword s0, s[0:1], 0x0
	s_mul_i32 s1, s14, s6
	s_lshl_b32 s7, s7, 10
	s_lshl_b32 s14, s8, 7
	;; [unrolled: 1-line block ×3, first 2 shown]
	s_add_i32 s7, s14, s7
	s_lshl_b32 s1, s1, 4
	s_add_i32 s7, s7, s6
	s_add_i32 s1, s8, s1
	s_lshl_b32 s6, s12, 4
	s_add_i32 s1, s1, s6
	v_or_b32_e32 v0, s7, v0
	s_add_i32 s1, s1, s4
	s_add_i32 s11, s11, -1
	v_add_u32_e32 v3, 0xfffff000, v0
	s_sub_i32 s4, s1, 32
	s_waitcnt lgkmcnt(0)
	v_mov_b32_e32 v7, s5
	v_mov_b32_e32 v6, s0
	v_mov_b32_e32 v0, s13
	s_mov_b32 s6, 0x3fb8aa3b
	s_mov_b32 s7, 0xc2ce8ed0
	;; [unrolled: 1-line block ×3, first 2 shown]
	v_mov_b32_e32 v5, 0x7f800000
	s_mov_b32 s12, 0xc1a00000
.LBB11_3:                               ; =>This Inner Loop Header: Depth=1
	v_ashrrev_i32_e32 v4, 31, v3
	v_lshlrev_b64 v[9:10], 2, v[3:4]
	s_ashr_i32 s5, s4, 31
	v_add_co_u32_e32 v9, vcc, s10, v9
	v_addc_co_u32_e32 v10, vcc, v0, v10, vcc
	global_load_dword v4, v[9:10], off
	s_lshl_b64 s[0:1], s[4:5], 3
	s_add_u32 s0, s2, s0
	s_addc_u32 s1, s3, s1
	s_load_dwordx2 s[14:15], s[0:1], 0x0
	s_waitcnt vmcnt(1)
	v_mov_b32_e32 v9, v8
	v_max_f32_e32 v8, v6, v6
	v_mov_b32_e32 v10, v7
	s_add_i32 s11, s11, -1
	s_waitcnt lgkmcnt(0)
	v_max_f32_e64 v7, s14, s14
	v_max_f32_e32 v7, v8, v7
	v_sub_f32_e32 v11, s14, v7
	v_sub_f32_e32 v8, v6, v7
	v_mul_f32_e32 v12, 0x3fb8aa3b, v11
	v_mov_b32_e32 v6, v7
	v_mul_f32_e32 v7, 0x3fb8aa3b, v8
	v_fma_f32 v15, v11, s6, -v12
	v_rndne_f32_e32 v16, v12
	v_fma_f32 v13, v8, s6, -v7
	v_rndne_f32_e32 v14, v7
	v_fmac_f32_e32 v15, 0x32a5705f, v11
	v_sub_f32_e32 v12, v12, v16
	v_fmac_f32_e32 v13, 0x32a5705f, v8
	v_sub_f32_e32 v7, v7, v14
	v_add_f32_e32 v12, v12, v15
	v_cvt_i32_f32_e32 v16, v16
	v_add_f32_e32 v7, v7, v13
	v_exp_f32_e32 v12, v12
	v_cvt_i32_f32_e32 v14, v14
	v_exp_f32_e32 v7, v7
	v_cmp_ngt_f32_e32 vcc, s7, v11
	v_ldexp_f32 v12, v12, v16
	v_cmp_ngt_f32_e64 s[0:1], s7, v8
	v_ldexp_f32 v7, v7, v14
	v_cndmask_b32_e32 v12, 0, v12, vcc
	v_cmp_nlt_f32_e32 vcc, s8, v11
	v_cndmask_b32_e64 v7, 0, v7, s[0:1]
	v_cmp_nlt_f32_e64 s[0:1], s8, v8
	v_cndmask_b32_e32 v12, v5, v12, vcc
	v_cmp_le_f32_e32 vcc, s12, v11
	v_cndmask_b32_e64 v7, v5, v7, s[0:1]
	v_cmp_le_f32_e64 s[0:1], s12, v8
	v_cndmask_b32_e32 v8, 0, v12, vcc
	s_add_i32 s4, s4, -16
	v_cndmask_b32_e64 v11, 0, v7, s[0:1]
	v_mul_f32_e32 v7, s15, v8
	v_add_u32_e32 v3, 0xfffff800, v3
	s_cmp_le_i32 s11, s9
	v_fmac_f32_e32 v7, v10, v11
	s_waitcnt vmcnt(0)
	v_mul_f32_e32 v8, v4, v8
	v_fmac_f32_e32 v8, v9, v11
	s_cbranch_scc0 .LBB11_3
	s_branch .LBB11_5
.LBB11_4:
	s_waitcnt lgkmcnt(0)
	v_mov_b32_e32 v7, s5
.LBB11_5:
	s_waitcnt vmcnt(0)
	v_div_scale_f32 v0, s[0:1], v7, v7, v8
	v_div_scale_f32 v3, vcc, v8, v7, v8
	v_rcp_f32_e32 v4, v0
	v_fma_f32 v5, -v0, v4, 1.0
	v_fmac_f32_e32 v4, v5, v4
	v_mul_f32_e32 v5, v3, v4
	v_fma_f32 v6, -v0, v5, v3
	v_fmac_f32_e32 v5, v6, v4
	v_fma_f32 v0, -v0, v5, v3
	v_div_fmas_f32 v0, v0, v4, v5
	v_div_fixup_f32 v0, v0, v7, v8
	global_store_dword v[1:2], v0, off
.LBB11_6:
	s_endpgm
	.section	.rodata,"a",@progbits
	.p2align	6, 0x0
	.amdhsa_kernel _ZL33flash_attn_stream_k_fixup_uniformILi128ELi2ELi8EEvPfPK15HIP_vector_typeIfLj2EEiiiiiiS1_IjLj3EES5_S5_
		.amdhsa_group_segment_fixed_size 0
		.amdhsa_private_segment_fixed_size 0
		.amdhsa_kernarg_size 76
		.amdhsa_user_sgpr_count 6
		.amdhsa_user_sgpr_private_segment_buffer 1
		.amdhsa_user_sgpr_dispatch_ptr 0
		.amdhsa_user_sgpr_queue_ptr 0
		.amdhsa_user_sgpr_kernarg_segment_ptr 1
		.amdhsa_user_sgpr_dispatch_id 0
		.amdhsa_user_sgpr_flat_scratch_init 0
		.amdhsa_user_sgpr_private_segment_size 0
		.amdhsa_uses_dynamic_stack 0
		.amdhsa_system_sgpr_private_segment_wavefront_offset 0
		.amdhsa_system_sgpr_workgroup_id_x 1
		.amdhsa_system_sgpr_workgroup_id_y 1
		.amdhsa_system_sgpr_workgroup_id_z 1
		.amdhsa_system_sgpr_workgroup_info 0
		.amdhsa_system_vgpr_workitem_id 0
		.amdhsa_next_free_vgpr 17
		.amdhsa_next_free_sgpr 20
		.amdhsa_reserve_vcc 1
		.amdhsa_reserve_flat_scratch 0
		.amdhsa_float_round_mode_32 0
		.amdhsa_float_round_mode_16_64 0
		.amdhsa_float_denorm_mode_32 3
		.amdhsa_float_denorm_mode_16_64 3
		.amdhsa_dx10_clamp 1
		.amdhsa_ieee_mode 1
		.amdhsa_fp16_overflow 0
		.amdhsa_exception_fp_ieee_invalid_op 0
		.amdhsa_exception_fp_denorm_src 0
		.amdhsa_exception_fp_ieee_div_zero 0
		.amdhsa_exception_fp_ieee_overflow 0
		.amdhsa_exception_fp_ieee_underflow 0
		.amdhsa_exception_fp_ieee_inexact 0
		.amdhsa_exception_int_div_zero 0
	.end_amdhsa_kernel
	.section	.text._ZL33flash_attn_stream_k_fixup_uniformILi128ELi2ELi8EEvPfPK15HIP_vector_typeIfLj2EEiiiiiiS1_IjLj3EES5_S5_,"axG",@progbits,_ZL33flash_attn_stream_k_fixup_uniformILi128ELi2ELi8EEvPfPK15HIP_vector_typeIfLj2EEiiiiiiS1_IjLj3EES5_S5_,comdat
.Lfunc_end11:
	.size	_ZL33flash_attn_stream_k_fixup_uniformILi128ELi2ELi8EEvPfPK15HIP_vector_typeIfLj2EEiiiiiiS1_IjLj3EES5_S5_, .Lfunc_end11-_ZL33flash_attn_stream_k_fixup_uniformILi128ELi2ELi8EEvPfPK15HIP_vector_typeIfLj2EEiiiiiiS1_IjLj3EES5_S5_
                                        ; -- End function
	.set _ZL33flash_attn_stream_k_fixup_uniformILi128ELi2ELi8EEvPfPK15HIP_vector_typeIfLj2EEiiiiiiS1_IjLj3EES5_S5_.num_vgpr, 17
	.set _ZL33flash_attn_stream_k_fixup_uniformILi128ELi2ELi8EEvPfPK15HIP_vector_typeIfLj2EEiiiiiiS1_IjLj3EES5_S5_.num_agpr, 0
	.set _ZL33flash_attn_stream_k_fixup_uniformILi128ELi2ELi8EEvPfPK15HIP_vector_typeIfLj2EEiiiiiiS1_IjLj3EES5_S5_.numbered_sgpr, 20
	.set _ZL33flash_attn_stream_k_fixup_uniformILi128ELi2ELi8EEvPfPK15HIP_vector_typeIfLj2EEiiiiiiS1_IjLj3EES5_S5_.num_named_barrier, 0
	.set _ZL33flash_attn_stream_k_fixup_uniformILi128ELi2ELi8EEvPfPK15HIP_vector_typeIfLj2EEiiiiiiS1_IjLj3EES5_S5_.private_seg_size, 0
	.set _ZL33flash_attn_stream_k_fixup_uniformILi128ELi2ELi8EEvPfPK15HIP_vector_typeIfLj2EEiiiiiiS1_IjLj3EES5_S5_.uses_vcc, 1
	.set _ZL33flash_attn_stream_k_fixup_uniformILi128ELi2ELi8EEvPfPK15HIP_vector_typeIfLj2EEiiiiiiS1_IjLj3EES5_S5_.uses_flat_scratch, 0
	.set _ZL33flash_attn_stream_k_fixup_uniformILi128ELi2ELi8EEvPfPK15HIP_vector_typeIfLj2EEiiiiiiS1_IjLj3EES5_S5_.has_dyn_sized_stack, 0
	.set _ZL33flash_attn_stream_k_fixup_uniformILi128ELi2ELi8EEvPfPK15HIP_vector_typeIfLj2EEiiiiiiS1_IjLj3EES5_S5_.has_recursion, 0
	.set _ZL33flash_attn_stream_k_fixup_uniformILi128ELi2ELi8EEvPfPK15HIP_vector_typeIfLj2EEiiiiiiS1_IjLj3EES5_S5_.has_indirect_call, 0
	.section	.AMDGPU.csdata,"",@progbits
; Kernel info:
; codeLenInByte = 856
; TotalNumSgprs: 24
; NumVgprs: 17
; ScratchSize: 0
; MemoryBound: 0
; FloatMode: 240
; IeeeMode: 1
; LDSByteSize: 0 bytes/workgroup (compile time only)
; SGPRBlocks: 2
; VGPRBlocks: 4
; NumSGPRsForWavesPerEU: 24
; NumVGPRsForWavesPerEU: 17
; Occupancy: 10
; WaveLimiterHint : 0
; COMPUTE_PGM_RSRC2:SCRATCH_EN: 0
; COMPUTE_PGM_RSRC2:USER_SGPR: 6
; COMPUTE_PGM_RSRC2:TRAP_HANDLER: 0
; COMPUTE_PGM_RSRC2:TGID_X_EN: 1
; COMPUTE_PGM_RSRC2:TGID_Y_EN: 1
; COMPUTE_PGM_RSRC2:TGID_Z_EN: 1
; COMPUTE_PGM_RSRC2:TIDIG_COMP_CNT: 0
	.section	.text._ZL33flash_attn_stream_k_fixup_generalILi128ELi2ELi8EEvPfPK15HIP_vector_typeIfLj2EEiiiiS1_IjLj3EES5_S5_S5_,"axG",@progbits,_ZL33flash_attn_stream_k_fixup_generalILi128ELi2ELi8EEvPfPK15HIP_vector_typeIfLj2EEiiiiS1_IjLj3EES5_S5_S5_,comdat
	.globl	_ZL33flash_attn_stream_k_fixup_generalILi128ELi2ELi8EEvPfPK15HIP_vector_typeIfLj2EEiiiiS1_IjLj3EES5_S5_S5_ ; -- Begin function _ZL33flash_attn_stream_k_fixup_generalILi128ELi2ELi8EEvPfPK15HIP_vector_typeIfLj2EEiiiiS1_IjLj3EES5_S5_S5_
	.p2align	8
	.type	_ZL33flash_attn_stream_k_fixup_generalILi128ELi2ELi8EEvPfPK15HIP_vector_typeIfLj2EEiiiiS1_IjLj3EES5_S5_S5_,@function
_ZL33flash_attn_stream_k_fixup_generalILi128ELi2ELi8EEvPfPK15HIP_vector_typeIfLj2EEiiiiS1_IjLj3EES5_S5_S5_: ; @_ZL33flash_attn_stream_k_fixup_generalILi128ELi2ELi8EEvPfPK15HIP_vector_typeIfLj2EEiiiiS1_IjLj3EES5_S5_S5_
; %bb.0:
	s_load_dwordx4 s[0:3], s[4:5], 0x10
	s_load_dword s22, s[4:5], 0x50
	s_mov_b32 s12, 0
	s_waitcnt lgkmcnt(0)
	s_mul_hi_i32 s13, s3, s6
	s_cmp_lg_u64 s[12:13], 0
	s_mul_i32 s9, s3, s6
	s_cbranch_scc0 .LBB12_20
; %bb.1:
	s_add_u32 s10, s22, 0
	s_addc_u32 s11, 0, 0
	s_xor_b64 s[10:11], s[10:11], 0
	v_cvt_f32_u32_e32 v1, s10
	v_cvt_f32_u32_e32 v2, s11
	s_sub_u32 s12, 0, s10
	s_subb_u32 s18, 0, s11
	v_madmk_f32 v1, v2, 0x4f800000, v1
	v_rcp_f32_e32 v1, v1
	v_mul_f32_e32 v1, 0x5f7ffffc, v1
	v_mul_f32_e32 v2, 0x2f800000, v1
	v_trunc_f32_e32 v2, v2
	v_madmk_f32 v1, v2, 0xcf800000, v1
	v_cvt_u32_f32_e32 v2, v2
	v_cvt_u32_f32_e32 v1, v1
	v_readfirstlane_b32 s19, v2
	v_readfirstlane_b32 s14, v1
	s_mul_i32 s15, s12, s19
	s_mul_hi_u32 s21, s12, s14
	s_mul_i32 s20, s18, s14
	s_add_i32 s15, s21, s15
	s_add_i32 s15, s15, s20
	s_mul_i32 s23, s12, s14
	s_mul_i32 s21, s14, s15
	s_mul_hi_u32 s24, s14, s23
	s_mul_hi_u32 s20, s14, s15
	s_add_u32 s21, s24, s21
	s_addc_u32 s20, 0, s20
	s_mul_hi_u32 s25, s19, s23
	s_mul_i32 s23, s19, s23
	s_add_u32 s21, s21, s23
	s_mul_hi_u32 s24, s19, s15
	s_addc_u32 s20, s20, s25
	s_addc_u32 s21, s24, 0
	s_mul_i32 s15, s19, s15
	s_add_u32 s15, s20, s15
	s_addc_u32 s20, 0, s21
	s_add_u32 s21, s14, s15
	s_cselect_b64 s[14:15], -1, 0
	s_cmp_lg_u64 s[14:15], 0
	s_addc_u32 s19, s19, s20
	s_mul_i32 s14, s12, s19
	s_mul_hi_u32 s15, s12, s21
	s_add_i32 s14, s15, s14
	s_mul_i32 s18, s18, s21
	s_add_i32 s14, s14, s18
	s_mul_i32 s12, s12, s21
	s_mul_hi_u32 s18, s19, s12
	s_mul_i32 s20, s19, s12
	s_mul_i32 s24, s21, s14
	s_mul_hi_u32 s12, s21, s12
	s_mul_hi_u32 s23, s21, s14
	s_add_u32 s12, s12, s24
	s_addc_u32 s23, 0, s23
	s_add_u32 s12, s12, s20
	s_mul_hi_u32 s15, s19, s14
	s_addc_u32 s12, s23, s18
	s_addc_u32 s15, s15, 0
	s_mul_i32 s14, s19, s14
	s_add_u32 s12, s12, s14
	s_addc_u32 s18, 0, s15
	s_add_u32 s20, s21, s12
	s_cselect_b64 s[14:15], -1, 0
	s_cmp_lg_u64 s[14:15], 0
	s_addc_u32 s18, s19, s18
	s_ashr_i32 s14, s13, 31
	s_add_u32 s12, s9, s14
	s_mov_b32 s15, s14
	s_addc_u32 s13, s13, s14
	s_xor_b64 s[12:13], s[12:13], s[14:15]
	s_mul_i32 s21, s12, s18
	s_mul_hi_u32 s23, s12, s20
	s_mul_hi_u32 s19, s12, s18
	s_add_u32 s21, s23, s21
	s_addc_u32 s19, 0, s19
	s_mul_hi_u32 s24, s13, s20
	s_mul_i32 s20, s13, s20
	s_add_u32 s20, s21, s20
	s_mul_hi_u32 s23, s13, s18
	s_addc_u32 s19, s19, s24
	s_addc_u32 s20, s23, 0
	s_mul_i32 s18, s13, s18
	s_add_u32 s23, s19, s18
	s_addc_u32 s24, 0, s20
	s_mul_i32 s18, s10, s24
	s_mul_hi_u32 s19, s10, s23
	s_add_i32 s18, s19, s18
	s_mul_i32 s19, s11, s23
	s_add_i32 s25, s18, s19
	s_sub_i32 s20, s13, s25
	s_mul_i32 s18, s10, s23
	s_sub_u32 s12, s12, s18
	s_cselect_b64 s[18:19], -1, 0
	s_cmp_lg_u64 s[18:19], 0
	s_subb_u32 s26, s20, s11
	s_sub_u32 s27, s12, s10
	s_cselect_b64 s[20:21], -1, 0
	s_cmp_lg_u64 s[20:21], 0
	s_subb_u32 s20, s26, 0
	s_cmp_ge_u32 s20, s11
	s_cselect_b32 s21, -1, 0
	s_cmp_ge_u32 s27, s10
	s_cselect_b32 s26, -1, 0
	s_cmp_eq_u32 s20, s11
	s_cselect_b32 s20, s26, s21
	s_add_u32 s21, s23, 1
	s_addc_u32 s26, s24, 0
	s_add_u32 s27, s23, 2
	s_addc_u32 s28, s24, 0
	s_cmp_lg_u32 s20, 0
	s_cselect_b32 s20, s27, s21
	s_cselect_b32 s21, s28, s26
	s_cmp_lg_u64 s[18:19], 0
	s_subb_u32 s13, s13, s25
	s_cmp_ge_u32 s13, s11
	s_cselect_b32 s18, -1, 0
	s_cmp_ge_u32 s12, s10
	s_cselect_b32 s10, -1, 0
	s_cmp_eq_u32 s13, s11
	s_cselect_b32 s10, s10, s18
	s_cmp_lg_u32 s10, 0
	s_cselect_b32 s11, s21, s24
	s_cselect_b32 s10, s20, s23
	s_xor_b64 s[12:13], s[14:15], 0
	s_xor_b64 s[10:11], s[10:11], s[12:13]
	s_sub_u32 s10, s10, s12
	s_load_dwordx4 s[12:15], s[4:5], 0x44
	s_cbranch_execnz .LBB12_3
.LBB12_2:
	v_cvt_f32_u32_e32 v1, s22
	s_sub_i32 s10, 0, s22
	v_rcp_iflag_f32_e32 v1, v1
	v_mul_f32_e32 v1, 0x4f7ffffe, v1
	v_cvt_u32_f32_e32 v1, v1
	v_readfirstlane_b32 s11, v1
	s_mul_i32 s10, s10, s11
	s_mul_hi_u32 s10, s11, s10
	s_add_i32 s11, s11, s10
	s_mul_hi_u32 s10, s9, s11
	s_waitcnt lgkmcnt(0)
	s_mul_i32 s15, s10, s22
	s_sub_i32 s9, s9, s15
	s_add_i32 s11, s10, 1
	s_sub_i32 s15, s9, s22
	s_cmp_ge_u32 s9, s22
	s_cselect_b32 s10, s11, s10
	s_cselect_b32 s9, s15, s9
	s_add_i32 s11, s10, 1
	s_cmp_ge_u32 s9, s22
	s_cselect_b32 s10, s11, s10
.LBB12_3:
	s_add_i32 s9, s6, 1
	s_mul_hi_i32 s21, s3, s9
	s_mov_b32 s20, 0
	s_cmp_lg_u64 s[20:21], 0
	s_mul_i32 s9, s3, s9
	s_cbranch_scc0 .LBB12_21
; %bb.4:
	s_add_u32 s16, s22, 0
	s_addc_u32 s17, 0, 0
	s_xor_b64 s[18:19], s[16:17], 0
	v_cvt_f32_u32_e32 v1, s18
	v_cvt_f32_u32_e32 v2, s19
	s_sub_u32 s11, 0, s18
	s_waitcnt lgkmcnt(0)
	s_subb_u32 s15, 0, s19
	v_madmk_f32 v1, v2, 0x4f800000, v1
	v_rcp_f32_e32 v1, v1
	v_mul_f32_e32 v1, 0x5f7ffffc, v1
	v_mul_f32_e32 v2, 0x2f800000, v1
	v_trunc_f32_e32 v2, v2
	v_madmk_f32 v1, v2, 0xcf800000, v1
	v_cvt_u32_f32_e32 v2, v2
	v_cvt_u32_f32_e32 v1, v1
	v_readfirstlane_b32 s20, v2
	v_readfirstlane_b32 s23, v1
	s_mul_i32 s24, s11, s20
	s_mul_hi_u32 s26, s11, s23
	s_mul_i32 s25, s15, s23
	s_add_i32 s24, s26, s24
	s_add_i32 s24, s24, s25
	s_mul_i32 s27, s11, s23
	s_mul_i32 s26, s23, s24
	s_mul_hi_u32 s28, s23, s27
	s_mul_hi_u32 s25, s23, s24
	s_add_u32 s26, s28, s26
	s_addc_u32 s25, 0, s25
	s_mul_hi_u32 s29, s20, s27
	s_mul_i32 s27, s20, s27
	s_add_u32 s26, s26, s27
	s_mul_hi_u32 s28, s20, s24
	s_addc_u32 s25, s25, s29
	s_addc_u32 s26, s28, 0
	s_mul_i32 s24, s20, s24
	s_add_u32 s24, s25, s24
	s_addc_u32 s26, 0, s26
	s_add_u32 s23, s23, s24
	s_cselect_b64 s[24:25], -1, 0
	s_cmp_lg_u64 s[24:25], 0
	s_addc_u32 s20, s20, s26
	s_mul_i32 s24, s11, s20
	s_mul_hi_u32 s25, s11, s23
	s_add_i32 s24, s25, s24
	s_mul_i32 s15, s15, s23
	s_add_i32 s24, s24, s15
	s_mul_i32 s11, s11, s23
	s_mul_hi_u32 s25, s20, s11
	s_mul_i32 s26, s20, s11
	s_mul_i32 s28, s23, s24
	s_mul_hi_u32 s11, s23, s11
	s_mul_hi_u32 s27, s23, s24
	s_add_u32 s11, s11, s28
	s_addc_u32 s27, 0, s27
	s_add_u32 s11, s11, s26
	s_mul_hi_u32 s15, s20, s24
	s_addc_u32 s11, s27, s25
	s_addc_u32 s15, s15, 0
	s_mul_i32 s24, s20, s24
	s_add_u32 s11, s11, s24
	s_addc_u32 s15, 0, s15
	s_add_u32 s11, s23, s11
	s_cselect_b64 s[24:25], -1, 0
	s_cmp_lg_u64 s[24:25], 0
	s_addc_u32 s15, s20, s15
	s_ashr_i32 s24, s21, 31
	s_add_u32 s20, s9, s24
	s_mov_b32 s25, s24
	s_addc_u32 s21, s21, s24
	s_xor_b64 s[20:21], s[20:21], s[24:25]
	s_mul_i32 s26, s20, s15
	s_mul_hi_u32 s27, s20, s11
	s_mul_hi_u32 s23, s20, s15
	s_add_u32 s26, s27, s26
	s_addc_u32 s23, 0, s23
	s_mul_hi_u32 s28, s21, s11
	s_mul_i32 s11, s21, s11
	s_add_u32 s11, s26, s11
	s_mul_hi_u32 s27, s21, s15
	s_addc_u32 s11, s23, s28
	s_addc_u32 s23, s27, 0
	s_mul_i32 s15, s21, s15
	s_add_u32 s11, s11, s15
	s_addc_u32 s15, 0, s23
	s_mul_i32 s23, s18, s15
	s_mul_hi_u32 s26, s18, s11
	s_add_i32 s23, s26, s23
	s_mul_i32 s26, s19, s11
	s_add_i32 s23, s23, s26
	s_sub_i32 s28, s21, s23
	s_mul_i32 s26, s18, s11
	s_sub_u32 s20, s20, s26
	s_cselect_b64 s[26:27], -1, 0
	s_cmp_lg_u64 s[26:27], 0
	s_subb_u32 s30, s28, s19
	s_sub_u32 s31, s20, s18
	s_cselect_b64 s[28:29], -1, 0
	s_cmp_lg_u64 s[28:29], 0
	s_subb_u32 s28, s30, 0
	s_cmp_ge_u32 s28, s19
	s_cselect_b32 s29, -1, 0
	s_cmp_ge_u32 s31, s18
	s_cselect_b32 s30, -1, 0
	s_cmp_eq_u32 s28, s19
	s_cselect_b32 s28, s30, s29
	s_add_u32 s29, s11, 1
	s_addc_u32 s30, s15, 0
	s_add_u32 s31, s11, 2
	s_addc_u32 s33, s15, 0
	s_cmp_lg_u32 s28, 0
	s_cselect_b32 s28, s31, s29
	s_cselect_b32 s29, s33, s30
	s_cmp_lg_u64 s[26:27], 0
	s_subb_u32 s21, s21, s23
	s_cmp_ge_u32 s21, s19
	s_cselect_b32 s23, -1, 0
	s_cmp_ge_u32 s20, s18
	s_cselect_b32 s18, -1, 0
	s_cmp_eq_u32 s21, s19
	s_cselect_b32 s18, s18, s23
	s_cmp_lg_u32 s18, 0
	s_cselect_b32 s19, s29, s15
	s_cselect_b32 s18, s28, s11
	s_xor_b64 s[20:21], s[24:25], 0
	s_xor_b64 s[18:19], s[18:19], s[20:21]
	s_sub_u32 s18, s18, s20
	s_cbranch_execnz .LBB12_6
.LBB12_5:
	v_cvt_f32_u32_e32 v1, s22
	s_sub_i32 s11, 0, s22
	v_rcp_iflag_f32_e32 v1, v1
	v_mul_f32_e32 v1, 0x4f7ffffe, v1
	v_cvt_u32_f32_e32 v1, v1
	s_waitcnt lgkmcnt(0)
	v_readfirstlane_b32 s15, v1
	s_mul_i32 s11, s11, s15
	s_mul_hi_u32 s11, s15, s11
	s_add_i32 s15, s15, s11
	s_mul_hi_u32 s11, s9, s15
	s_mul_i32 s16, s11, s22
	s_sub_i32 s9, s9, s16
	s_add_i32 s15, s11, 1
	s_sub_i32 s16, s9, s22
	s_cmp_ge_u32 s9, s22
	s_cselect_b32 s11, s15, s11
	s_cselect_b32 s9, s16, s9
	s_add_i32 s15, s11, 1
	s_cmp_ge_u32 s9, s22
	s_cselect_b32 s18, s15, s11
.LBB12_6:
	s_cmp_eq_u32 s10, s18
	s_waitcnt lgkmcnt(0)
	s_mul_hi_u32 s9, s10, s12
	s_cselect_b64 s[16:17], -1, 0
	s_add_i32 s9, s9, s10
	s_lshr_b32 s11, s9, s13
	s_mul_i32 s9, s11, s14
	s_cmp_eq_u32 s9, s10
	s_mul_hi_u32 s9, s18, s12
	s_cselect_b64 s[20:21], -1, 0
	s_add_i32 s9, s9, s18
	s_lshr_b32 s9, s9, s13
	s_cmp_eq_u32 s11, s9
	s_mul_i32 s9, s9, s14
	s_cselect_b64 s[24:25], -1, 0
	s_cmp_lg_u32 s9, s18
	s_cselect_b64 s[18:19], -1, 0
	s_and_b64 s[18:19], s[24:25], s[18:19]
	s_or_b64 s[16:17], s[16:17], s[20:21]
	s_or_b64 s[16:17], s[16:17], s[18:19]
	s_and_b64 vcc, exec, s[16:17]
	s_cbranch_vccnz .LBB12_23
; %bb.7:
	s_load_dwordx8 s[24:31], s[4:5], 0x20
	s_load_dword s15, s[4:5], 0x40
	s_waitcnt lgkmcnt(0)
	s_mul_hi_u32 s9, s10, s24
	s_add_i32 s9, s9, s10
	s_lshr_b32 s9, s9, s25
	s_mul_i32 s16, s9, s26
	s_sub_i32 s16, s10, s16
	s_mul_hi_u32 s17, s16, s27
	s_add_i32 s17, s16, s17
	s_lshr_b32 s23, s17, s28
	s_mul_i32 s17, s23, s29
	s_sub_i32 s16, s16, s17
	;; [unrolled: 5-line block ×3, first 2 shown]
	s_mul_hi_u32 s16, s15, s12
	s_add_i32 s15, s15, s16
	s_lshr_b32 s25, s15, s13
	s_lshl_b32 s15, s25, 1
	s_lshl_b32 s24, s17, 3
	s_add_i32 s15, s15, s7
	s_cmp_lt_i32 s15, s0
	s_cselect_b64 s[16:17], -1, 0
	s_add_i32 s15, s24, s8
	s_cmp_lt_i32 s15, s2
	s_cselect_b64 s[18:19], -1, 0
	s_and_b64 s[16:17], s[16:17], s[18:19]
	s_andn2_b64 vcc, exec, s[16:17]
	s_cbranch_vccnz .LBB12_23
; %bb.8:
	s_load_dwordx4 s[16:19], s[4:5], 0x0
	s_mov_b32 s4, 0
	s_lshl_b32 s15, s7, 3
	s_lshl_b32 s20, s22, 6
	s_mov_b32 s21, s4
	s_add_i32 s15, s15, s8
	s_lshl_b64 s[20:21], s[20:21], 2
	s_waitcnt lgkmcnt(0)
	s_add_u32 s20, s18, s20
	s_mul_i32 s0, s9, s0
	s_addc_u32 s21, s19, s21
	s_add_i32 s0, s0, s7
	s_mul_i32 s0, s0, s1
	s_mul_i32 s23, s23, s2
	s_add_i32 s0, s0, s8
	s_add_i32 s0, s0, s23
	s_mul_i32 s2, s1, s25
	s_add_i32 s0, s0, s24
	s_lshl_b32 s2, s2, 8
	s_lshl_b32 s0, s0, 7
	s_add_i32 s2, s2, s0
	v_or_b32_e32 v1, s2, v0
	v_ashrrev_i32_e32 v2, 31, v1
	v_lshlrev_b64 v[1:2], 2, v[1:2]
	v_mov_b32_e32 v3, s17
	v_add_co_u32_e32 v1, vcc, s16, v1
	v_addc_co_u32_e32 v2, vcc, v3, v2, vcc
	global_load_dword v3, v[1:2], off
	v_cvt_f32_u32_e32 v4, s22
	s_lshl_b32 s0, s6, 4
	s_add_i32 s0, s15, s0
	s_ashr_i32 s1, s0, 31
	s_lshl_b64 s[0:1], s[0:1], 3
	v_rcp_iflag_f32_e32 v4, v4
	s_add_u32 s0, s18, s0
	s_addc_u32 s1, s19, s1
	s_load_dwordx2 s[0:1], s[0:1], 0x0
	v_mul_f32_e32 v4, 0x4f7ffffe, v4
	v_cvt_u32_f32_e32 v4, v4
	s_add_i32 s24, s6, -1
	v_lshl_or_b32 v0, s15, 7, v0
	s_waitcnt lgkmcnt(0)
	v_mov_b32_e32 v6, s1
	v_mov_b32_e32 v7, s0
	s_mov_b32 s2, 0x3fb8aa3b
	s_mov_b32 s16, 0xc2ce8ed0
	;; [unrolled: 1-line block ×4, first 2 shown]
	v_mov_b32_e32 v5, 0x7f800000
	s_mul_hi_i32 s5, s24, s3
	s_cmp_lg_u64 s[4:5], 0
	s_mul_i32 s8, s24, s3
	s_cbranch_scc0 .LBB12_19
.LBB12_9:
	s_add_u32 s0, s22, 0
	s_addc_u32 s1, 0, 0
	s_xor_b64 s[0:1], s[0:1], 0
	v_cvt_f32_u32_e32 v8, s0
	v_cvt_f32_u32_e32 v9, s1
	s_sub_u32 s9, 0, s0
	s_subb_u32 s25, 0, s1
	v_mac_f32_e32 v8, 0x4f800000, v9
	v_rcp_f32_e32 v8, v8
	v_mul_f32_e32 v8, 0x5f7ffffc, v8
	v_mul_f32_e32 v9, 0x2f800000, v8
	v_trunc_f32_e32 v9, v9
	v_mac_f32_e32 v8, 0xcf800000, v9
	v_cvt_u32_f32_e32 v9, v9
	v_cvt_u32_f32_e32 v8, v8
	v_readfirstlane_b32 s26, v9
	v_readfirstlane_b32 s6, v8
	s_mul_i32 s7, s9, s26
	s_mul_hi_u32 s28, s9, s6
	s_mul_i32 s27, s25, s6
	s_add_i32 s7, s28, s7
	s_mul_i32 s29, s9, s6
	s_add_i32 s7, s7, s27
	s_mul_i32 s28, s6, s7
	s_mul_hi_u32 s30, s6, s29
	s_mul_hi_u32 s27, s6, s7
	s_add_u32 s28, s30, s28
	s_addc_u32 s27, 0, s27
	s_mul_hi_u32 s31, s26, s29
	s_mul_i32 s29, s26, s29
	s_add_u32 s28, s28, s29
	s_mul_hi_u32 s30, s26, s7
	s_addc_u32 s27, s27, s31
	s_addc_u32 s28, s30, 0
	s_mul_i32 s7, s26, s7
	s_add_u32 s7, s27, s7
	s_addc_u32 s27, 0, s28
	s_add_u32 s28, s6, s7
	s_cselect_b64 s[6:7], -1, 0
	s_cmp_lg_u64 s[6:7], 0
	s_addc_u32 s26, s26, s27
	s_mul_i32 s6, s9, s26
	s_mul_hi_u32 s7, s9, s28
	s_add_i32 s6, s7, s6
	s_mul_i32 s25, s25, s28
	s_add_i32 s6, s6, s25
	s_mul_i32 s9, s9, s28
	s_mul_hi_u32 s25, s26, s9
	s_mul_i32 s27, s26, s9
	s_mul_i32 s30, s28, s6
	s_mul_hi_u32 s9, s28, s9
	s_mul_hi_u32 s29, s28, s6
	s_add_u32 s9, s9, s30
	s_addc_u32 s29, 0, s29
	s_add_u32 s9, s9, s27
	s_mul_hi_u32 s7, s26, s6
	s_addc_u32 s9, s29, s25
	s_addc_u32 s7, s7, 0
	s_mul_i32 s6, s26, s6
	s_add_u32 s6, s9, s6
	s_addc_u32 s9, 0, s7
	s_add_u32 s25, s28, s6
	s_cselect_b64 s[6:7], -1, 0
	s_cmp_lg_u64 s[6:7], 0
	s_addc_u32 s9, s26, s9
	s_ashr_i32 s6, s5, 31
	s_add_u32 s26, s8, s6
	s_mov_b32 s7, s6
	s_addc_u32 s27, s5, s6
	s_xor_b64 s[26:27], s[26:27], s[6:7]
	s_mul_i32 s28, s26, s9
	s_mul_hi_u32 s29, s26, s25
	s_mul_hi_u32 s5, s26, s9
	s_add_u32 s28, s29, s28
	s_addc_u32 s5, 0, s5
	s_mul_hi_u32 s30, s27, s25
	s_mul_i32 s25, s27, s25
	s_add_u32 s25, s28, s25
	s_mul_hi_u32 s29, s27, s9
	s_addc_u32 s5, s5, s30
	s_addc_u32 s25, s29, 0
	s_mul_i32 s9, s27, s9
	s_add_u32 s5, s5, s9
	s_addc_u32 s9, 0, s25
	s_mul_i32 s25, s0, s9
	s_mul_hi_u32 s28, s0, s5
	s_add_i32 s25, s28, s25
	s_mul_i32 s28, s1, s5
	s_add_i32 s25, s25, s28
	s_sub_i32 s30, s27, s25
	s_mul_i32 s28, s0, s5
	s_sub_u32 s26, s26, s28
	s_cselect_b64 s[28:29], -1, 0
	s_cmp_lg_u64 s[28:29], 0
	s_subb_u32 s33, s30, s1
	s_sub_u32 s34, s26, s0
	s_cselect_b64 s[30:31], -1, 0
	s_cmp_lg_u64 s[30:31], 0
	s_subb_u32 s30, s33, 0
	s_cmp_ge_u32 s30, s1
	s_cselect_b32 s31, -1, 0
	s_cmp_ge_u32 s34, s0
	s_cselect_b32 s33, -1, 0
	s_cmp_eq_u32 s30, s1
	s_cselect_b32 s30, s33, s31
	s_add_u32 s31, s5, 1
	s_addc_u32 s33, s9, 0
	s_add_u32 s34, s5, 2
	s_addc_u32 s35, s9, 0
	s_cmp_lg_u32 s30, 0
	s_cselect_b32 s30, s34, s31
	s_cselect_b32 s31, s35, s33
	s_cmp_lg_u64 s[28:29], 0
	s_subb_u32 s25, s27, s25
	s_cmp_ge_u32 s25, s1
	s_cselect_b32 s27, -1, 0
	s_cmp_ge_u32 s26, s0
	s_cselect_b32 s0, -1, 0
	s_cmp_eq_u32 s25, s1
	s_cselect_b32 s0, s0, s27
	s_cmp_lg_u32 s0, 0
	s_cselect_b32 s1, s31, s9
	s_cselect_b32 s0, s30, s5
	s_xor_b64 s[6:7], s[6:7], 0
	s_xor_b64 s[0:1], s[0:1], s[6:7]
	s_sub_u32 s6, s0, s6
	s_cbranch_execnz .LBB12_11
.LBB12_10:
	s_sub_i32 s0, 0, s22
	v_readfirstlane_b32 s1, v4
	s_mul_i32 s0, s0, s1
	s_mul_hi_u32 s0, s1, s0
	s_add_i32 s1, s1, s0
	s_mul_hi_u32 s0, s8, s1
	s_mul_i32 s5, s0, s22
	s_sub_i32 s5, s8, s5
	s_add_i32 s1, s0, 1
	s_sub_i32 s6, s5, s22
	s_cmp_ge_u32 s5, s22
	s_cselect_b32 s0, s1, s0
	s_cselect_b32 s5, s6, s5
	s_add_i32 s1, s0, 1
	s_cmp_ge_u32 s5, s22
	s_cselect_b32 s6, s1, s0
.LBB12_11:
	s_cmp_lg_u32 s10, s6
	s_mov_b64 s[8:9], -1
                                        ; implicit-def: $sgpr0_sgpr1
                                        ; implicit-def: $vgpr10
                                        ; implicit-def: $vgpr8
                                        ; implicit-def: $vgpr9
                                        ; implicit-def: $sgpr5
                                        ; implicit-def: $sgpr7
	s_cbranch_scc1 .LBB12_14
; %bb.12:
	s_andn2_b64 vcc, exec, s[8:9]
	s_cbranch_vccz .LBB12_17
.LBB12_13:
	s_andn2_b64 vcc, exec, s[0:1]
	s_cbranch_vccnz .LBB12_18
	s_branch .LBB12_22
.LBB12_14:
	s_add_i32 s0, s24, s22
	s_lshl_b32 s0, s0, 4
	s_add_i32 s0, s0, s15
	s_mov_b32 s1, s4
	s_lshl_b64 s[0:1], s[0:1], 3
	s_add_u32 s8, s18, s0
	s_mul_hi_u32 s0, s6, s12
	s_addc_u32 s9, s19, s1
	s_add_i32 s0, s0, s6
	s_lshr_b32 s5, s0, s13
	s_mul_i32 s0, s5, s14
	s_cmp_eq_u32 s0, s6
	s_cselect_b64 s[0:1], -1, 0
	s_cmp_lt_u32 s5, s11
	s_cselect_b64 s[26:27], -1, 0
	s_or_b64 s[26:27], s[26:27], s[0:1]
	s_mov_b64 s[0:1], -1
	s_and_b64 vcc, exec, s[26:27]
	s_mov_b32 s5, s24
	s_mov_b32 s7, s10
	s_cbranch_vccnz .LBB12_16
; %bb.15:
	s_add_i32 s5, s24, -1
	s_mov_b64 s[0:1], 0
	s_mov_b32 s7, s6
.LBB12_16:
	v_lshl_add_u32 v8, s24, 11, v0
	v_ashrrev_i32_e32 v9, 31, v8
	v_lshlrev_b64 v[8:9], 2, v[8:9]
	v_mov_b32_e32 v10, s21
	v_add_co_u32_e32 v8, vcc, s20, v8
	v_addc_co_u32_e32 v9, vcc, v10, v9, vcc
	global_load_dword v10, v[8:9], off
	s_load_dwordx2 s[8:9], s[8:9], 0x0
	v_max_f32_e32 v8, v7, v7
	s_waitcnt lgkmcnt(0)
	v_max_f32_e64 v9, s8, s8
	v_max_f32_e32 v8, v8, v9
	v_sub_f32_e32 v9, v7, v8
	v_sub_f32_e32 v11, s8, v8
	v_mul_f32_e32 v12, 0x3fb8aa3b, v9
	v_mul_f32_e32 v13, 0x3fb8aa3b, v11
	v_fma_f32 v14, v9, s2, -v12
	v_rndne_f32_e32 v15, v12
	v_fma_f32 v16, v11, s2, -v13
	v_rndne_f32_e32 v17, v13
	v_fmac_f32_e32 v14, 0x32a5705f, v9
	v_sub_f32_e32 v12, v12, v15
	v_fmac_f32_e32 v16, 0x32a5705f, v11
	v_sub_f32_e32 v13, v13, v17
	v_add_f32_e32 v12, v12, v14
	v_cvt_i32_f32_e32 v15, v15
	v_add_f32_e32 v13, v13, v16
	v_exp_f32_e32 v12, v12
	v_cvt_i32_f32_e32 v17, v17
	v_exp_f32_e32 v13, v13
	v_cmp_ngt_f32_e32 vcc, s16, v9
	v_ldexp_f32 v12, v12, v15
	v_cndmask_b32_e32 v12, 0, v12, vcc
	v_ldexp_f32 v13, v13, v17
	v_cmp_ngt_f32_e32 vcc, s16, v11
	v_cndmask_b32_e32 v13, 0, v13, vcc
	v_cmp_nlt_f32_e32 vcc, s17, v9
	v_cndmask_b32_e32 v12, v5, v12, vcc
	v_cmp_nlt_f32_e32 vcc, s17, v11
	v_cndmask_b32_e32 v13, v5, v13, vcc
	v_cmp_le_f32_e32 vcc, s23, v9
	v_cndmask_b32_e32 v12, 0, v12, vcc
	v_cmp_le_f32_e32 vcc, s23, v11
	v_cndmask_b32_e32 v11, 0, v13, vcc
	v_mul_f32_e32 v9, s9, v11
	v_fmac_f32_e32 v9, v6, v12
	s_waitcnt vmcnt(0)
	v_mul_f32_e32 v10, v10, v11
	v_fmac_f32_e32 v10, v3, v12
	s_cbranch_execnz .LBB12_13
.LBB12_17:
	s_add_i32 s5, s24, -1
	s_mov_b32 s7, s10
	v_mov_b32_e32 v9, v6
	v_mov_b32_e32 v8, v7
	s_waitcnt vmcnt(0)
	v_mov_b32_e32 v10, v3
	s_cbranch_execz .LBB12_22
.LBB12_18:
	s_mov_b32 s10, s7
	s_mov_b32 s24, s5
	v_mov_b32_e32 v6, v9
	v_mov_b32_e32 v7, v8
	s_waitcnt vmcnt(0)
	v_mov_b32_e32 v3, v10
	s_mul_hi_i32 s5, s24, s3
	s_cmp_lg_u64 s[4:5], 0
	s_mul_i32 s8, s24, s3
	s_cbranch_scc1 .LBB12_9
.LBB12_19:
                                        ; implicit-def: $sgpr6_sgpr7
	s_branch .LBB12_10
.LBB12_20:
                                        ; implicit-def: $sgpr10_sgpr11
	s_load_dwordx4 s[12:15], s[4:5], 0x44
	s_branch .LBB12_2
.LBB12_21:
                                        ; implicit-def: $sgpr18_sgpr19
	s_branch .LBB12_5
.LBB12_22:
	v_div_scale_f32 v0, s[0:1], v9, v9, v10
	s_waitcnt vmcnt(0)
	v_div_scale_f32 v3, vcc, v10, v9, v10
	v_rcp_f32_e32 v4, v0
	v_fma_f32 v5, -v0, v4, 1.0
	v_fmac_f32_e32 v4, v5, v4
	v_mul_f32_e32 v5, v3, v4
	v_fma_f32 v6, -v0, v5, v3
	v_fmac_f32_e32 v5, v6, v4
	v_fma_f32 v0, -v0, v5, v3
	v_div_fmas_f32 v0, v0, v4, v5
	v_div_fixup_f32 v0, v0, v9, v10
	global_store_dword v[1:2], v0, off
.LBB12_23:
	s_endpgm
	.section	.rodata,"a",@progbits
	.p2align	6, 0x0
	.amdhsa_kernel _ZL33flash_attn_stream_k_fixup_generalILi128ELi2ELi8EEvPfPK15HIP_vector_typeIfLj2EEiiiiS1_IjLj3EES5_S5_S5_
		.amdhsa_group_segment_fixed_size 0
		.amdhsa_private_segment_fixed_size 0
		.amdhsa_kernarg_size 336
		.amdhsa_user_sgpr_count 6
		.amdhsa_user_sgpr_private_segment_buffer 1
		.amdhsa_user_sgpr_dispatch_ptr 0
		.amdhsa_user_sgpr_queue_ptr 0
		.amdhsa_user_sgpr_kernarg_segment_ptr 1
		.amdhsa_user_sgpr_dispatch_id 0
		.amdhsa_user_sgpr_flat_scratch_init 0
		.amdhsa_user_sgpr_private_segment_size 0
		.amdhsa_uses_dynamic_stack 0
		.amdhsa_system_sgpr_private_segment_wavefront_offset 0
		.amdhsa_system_sgpr_workgroup_id_x 1
		.amdhsa_system_sgpr_workgroup_id_y 1
		.amdhsa_system_sgpr_workgroup_id_z 1
		.amdhsa_system_sgpr_workgroup_info 0
		.amdhsa_system_vgpr_workitem_id 0
		.amdhsa_next_free_vgpr 18
		.amdhsa_next_free_sgpr 36
		.amdhsa_reserve_vcc 1
		.amdhsa_reserve_flat_scratch 0
		.amdhsa_float_round_mode_32 0
		.amdhsa_float_round_mode_16_64 0
		.amdhsa_float_denorm_mode_32 3
		.amdhsa_float_denorm_mode_16_64 3
		.amdhsa_dx10_clamp 1
		.amdhsa_ieee_mode 1
		.amdhsa_fp16_overflow 0
		.amdhsa_exception_fp_ieee_invalid_op 0
		.amdhsa_exception_fp_denorm_src 0
		.amdhsa_exception_fp_ieee_div_zero 0
		.amdhsa_exception_fp_ieee_overflow 0
		.amdhsa_exception_fp_ieee_underflow 0
		.amdhsa_exception_fp_ieee_inexact 0
		.amdhsa_exception_int_div_zero 0
	.end_amdhsa_kernel
	.section	.text._ZL33flash_attn_stream_k_fixup_generalILi128ELi2ELi8EEvPfPK15HIP_vector_typeIfLj2EEiiiiS1_IjLj3EES5_S5_S5_,"axG",@progbits,_ZL33flash_attn_stream_k_fixup_generalILi128ELi2ELi8EEvPfPK15HIP_vector_typeIfLj2EEiiiiS1_IjLj3EES5_S5_S5_,comdat
.Lfunc_end12:
	.size	_ZL33flash_attn_stream_k_fixup_generalILi128ELi2ELi8EEvPfPK15HIP_vector_typeIfLj2EEiiiiS1_IjLj3EES5_S5_S5_, .Lfunc_end12-_ZL33flash_attn_stream_k_fixup_generalILi128ELi2ELi8EEvPfPK15HIP_vector_typeIfLj2EEiiiiS1_IjLj3EES5_S5_S5_
                                        ; -- End function
	.set _ZL33flash_attn_stream_k_fixup_generalILi128ELi2ELi8EEvPfPK15HIP_vector_typeIfLj2EEiiiiS1_IjLj3EES5_S5_S5_.num_vgpr, 18
	.set _ZL33flash_attn_stream_k_fixup_generalILi128ELi2ELi8EEvPfPK15HIP_vector_typeIfLj2EEiiiiS1_IjLj3EES5_S5_S5_.num_agpr, 0
	.set _ZL33flash_attn_stream_k_fixup_generalILi128ELi2ELi8EEvPfPK15HIP_vector_typeIfLj2EEiiiiS1_IjLj3EES5_S5_S5_.numbered_sgpr, 36
	.set _ZL33flash_attn_stream_k_fixup_generalILi128ELi2ELi8EEvPfPK15HIP_vector_typeIfLj2EEiiiiS1_IjLj3EES5_S5_S5_.num_named_barrier, 0
	.set _ZL33flash_attn_stream_k_fixup_generalILi128ELi2ELi8EEvPfPK15HIP_vector_typeIfLj2EEiiiiS1_IjLj3EES5_S5_S5_.private_seg_size, 0
	.set _ZL33flash_attn_stream_k_fixup_generalILi128ELi2ELi8EEvPfPK15HIP_vector_typeIfLj2EEiiiiS1_IjLj3EES5_S5_S5_.uses_vcc, 1
	.set _ZL33flash_attn_stream_k_fixup_generalILi128ELi2ELi8EEvPfPK15HIP_vector_typeIfLj2EEiiiiS1_IjLj3EES5_S5_S5_.uses_flat_scratch, 0
	.set _ZL33flash_attn_stream_k_fixup_generalILi128ELi2ELi8EEvPfPK15HIP_vector_typeIfLj2EEiiiiS1_IjLj3EES5_S5_S5_.has_dyn_sized_stack, 0
	.set _ZL33flash_attn_stream_k_fixup_generalILi128ELi2ELi8EEvPfPK15HIP_vector_typeIfLj2EEiiiiS1_IjLj3EES5_S5_S5_.has_recursion, 0
	.set _ZL33flash_attn_stream_k_fixup_generalILi128ELi2ELi8EEvPfPK15HIP_vector_typeIfLj2EEiiiiS1_IjLj3EES5_S5_S5_.has_indirect_call, 0
	.section	.AMDGPU.csdata,"",@progbits
; Kernel info:
; codeLenInByte = 2940
; TotalNumSgprs: 40
; NumVgprs: 18
; ScratchSize: 0
; MemoryBound: 0
; FloatMode: 240
; IeeeMode: 1
; LDSByteSize: 0 bytes/workgroup (compile time only)
; SGPRBlocks: 4
; VGPRBlocks: 4
; NumSGPRsForWavesPerEU: 40
; NumVGPRsForWavesPerEU: 18
; Occupancy: 10
; WaveLimiterHint : 0
; COMPUTE_PGM_RSRC2:SCRATCH_EN: 0
; COMPUTE_PGM_RSRC2:USER_SGPR: 6
; COMPUTE_PGM_RSRC2:TRAP_HANDLER: 0
; COMPUTE_PGM_RSRC2:TGID_X_EN: 1
; COMPUTE_PGM_RSRC2:TGID_Y_EN: 1
; COMPUTE_PGM_RSRC2:TGID_Z_EN: 1
; COMPUTE_PGM_RSRC2:TIDIG_COMP_CNT: 0
	.section	.text._ZL15flash_attn_tileILi128ELi128ELi1ELi8ELb0EEvPKcS1_S1_S1_S1_PKiPfP15HIP_vector_typeIfLj2EEffffjfiS5_IjLj3EEiiiiiiiiiiiliiliiiiil,"axG",@progbits,_ZL15flash_attn_tileILi128ELi128ELi1ELi8ELb0EEvPKcS1_S1_S1_S1_PKiPfP15HIP_vector_typeIfLj2EEffffjfiS5_IjLj3EEiiiiiiiiiiiliiliiiiil,comdat
	.globl	_ZL15flash_attn_tileILi128ELi128ELi1ELi8ELb0EEvPKcS1_S1_S1_S1_PKiPfP15HIP_vector_typeIfLj2EEffffjfiS5_IjLj3EEiiiiiiiiiiiliiliiiiil ; -- Begin function _ZL15flash_attn_tileILi128ELi128ELi1ELi8ELb0EEvPKcS1_S1_S1_S1_PKiPfP15HIP_vector_typeIfLj2EEffffjfiS5_IjLj3EEiiiiiiiiiiiliiliiiiil
	.p2align	8
	.type	_ZL15flash_attn_tileILi128ELi128ELi1ELi8ELb0EEvPKcS1_S1_S1_S1_PKiPfP15HIP_vector_typeIfLj2EEffffjfiS5_IjLj3EEiiiiiiiiiiiliiliiiiil,@function
_ZL15flash_attn_tileILi128ELi128ELi1ELi8ELb0EEvPKcS1_S1_S1_S1_PKiPfP15HIP_vector_typeIfLj2EEffffjfiS5_IjLj3EEiiiiiiiiiiiliiliiiiil: ; @_ZL15flash_attn_tileILi128ELi128ELi1ELi8ELb0EEvPKcS1_S1_S1_S1_PKiPfP15HIP_vector_typeIfLj2EEffffjfiS5_IjLj3EEiiiiiiiiiiiliiliiiiil
; %bb.0:
	s_load_dwordx4 s[0:3], s[4:5], 0x5c
	s_load_dwordx2 s[28:29], s[4:5], 0x80
	s_load_dwordx2 s[34:35], s[4:5], 0xb8
	s_mov_b64 s[30:31], 0
	s_waitcnt lgkmcnt(0)
	s_ashr_i32 s9, s3, 31
	s_lshr_b32 s9, s9, 29
	s_add_i32 s9, s3, s9
	s_ashr_i32 s9, s9, 3
	v_cvt_f32_u32_e32 v2, s9
	s_sub_i32 s10, 0, s9
	v_rcp_iflag_f32_e32 v2, v2
	v_mul_f32_e32 v2, 0x4f7ffffe, v2
	v_cvt_u32_f32_e32 v2, v2
	v_readfirstlane_b32 s11, v2
	s_mul_i32 s10, s10, s11
	s_mul_hi_u32 s10, s11, s10
	s_add_i32 s11, s11, s10
	s_mul_hi_u32 s10, s8, s11
	s_mul_i32 s11, s10, s9
	s_sub_i32 s11, s8, s11
	s_add_i32 s12, s10, 1
	s_sub_i32 s13, s11, s9
	s_cmp_ge_u32 s11, s9
	s_cselect_b32 s10, s12, s10
	s_cselect_b32 s11, s13, s11
	s_add_i32 s12, s10, 1
	s_cmp_ge_u32 s11, s9
	s_cselect_b32 s33, s12, s10
	s_abs_i32 s9, s29
	v_cvt_f32_u32_e32 v2, s9
	s_lshl_b32 s8, s8, 3
	s_mul_i32 s12, s33, s3
	s_xor_b32 s10, s3, s29
	v_rcp_iflag_f32_e32 v2, v2
	s_sub_i32 s13, 0, s9
	s_sub_i32 s29, s8, s12
	s_abs_i32 s11, s3
	v_mul_f32_e32 v2, 0x4f7ffffe, v2
	v_cvt_u32_f32_e32 v2, v2
	s_ashr_i32 s10, s10, 31
	v_readfirstlane_b32 s8, v2
	s_mul_i32 s13, s13, s8
	s_mul_hi_u32 s12, s8, s13
	s_add_i32 s8, s8, s12
	s_mul_hi_u32 s8, s11, s8
	s_mul_i32 s12, s8, s9
	s_sub_i32 s11, s11, s12
	s_add_i32 s13, s8, 1
	s_sub_i32 s12, s11, s9
	s_cmp_ge_u32 s11, s9
	s_cselect_b32 s8, s13, s8
	s_cselect_b32 s11, s12, s11
	s_add_i32 s12, s8, 1
	s_cmp_ge_u32 s11, s9
	s_cselect_b32 s8, s12, s8
	s_xor_b32 s8, s8, s10
	s_sub_i32 s37, s8, s10
	s_abs_i32 s36, s37
	v_cvt_f32_u32_e32 v2, s36
	s_load_dwordx16 s[8:23], s[4:5], 0x0
	v_rcp_iflag_f32_e32 v2, v2
	s_waitcnt lgkmcnt(0)
	s_cmp_eq_u64 s[14:15], 0
	v_mul_f32_e32 v2, 0x4f7ffffe, v2
	v_cvt_u32_f32_e32 v2, v2
	v_readfirstlane_b32 s38, v2
	s_cbranch_scc1 .LBB13_2
; %bb.1:
	s_abs_i32 s26, s34
	v_cvt_f32_u32_e32 v2, s26
	s_sub_i32 s31, 0, s26
	s_abs_i32 s30, s33
	s_ashr_i32 s27, s33, 31
	v_rcp_iflag_f32_e32 v2, v2
	s_load_dwordx2 s[24:25], s[4:5], 0xc8
	v_mul_f32_e32 v2, 0x4f7ffffe, v2
	v_cvt_u32_f32_e32 v2, v2
	v_readfirstlane_b32 s34, v2
	s_mul_i32 s31, s31, s34
	s_mul_hi_u32 s31, s34, s31
	s_add_i32 s34, s34, s31
	s_mul_hi_u32 s31, s30, s34
	s_mul_i32 s31, s31, s26
	s_sub_i32 s30, s30, s31
	s_sub_i32 s31, s30, s26
	s_cmp_ge_u32 s30, s26
	s_cselect_b32 s30, s31, s30
	s_sub_i32 s31, s30, s26
	s_cmp_ge_u32 s30, s26
	s_cselect_b32 s26, s31, s30
	s_xor_b32 s26, s26, s27
	s_sub_i32 s26, s26, s27
	s_ashr_i32 s27, s26, 31
	s_waitcnt lgkmcnt(0)
	s_mul_hi_u32 s30, s24, s26
	s_mul_i32 s27, s24, s27
	s_mul_i32 s25, s25, s26
	s_add_i32 s27, s30, s27
	s_add_i32 s27, s27, s25
	s_mul_i32 s24, s24, s26
	s_add_u32 s30, s14, s24
	s_addc_u32 s31, s15, s27
.LBB13_2:
	v_lshrrev_b32_e32 v2, 3, v1
	s_load_dwordx4 s[24:27], s[4:5], 0x70
	v_add_u32_e32 v24, s6, v2
	v_mul_hi_u32 v2, s0, v24
	v_and_b32_e32 v23, 7, v1
	v_lshlrev_b32_e32 v26, 3, v0
	s_waitcnt lgkmcnt(0)
	s_mul_i32 s14, s33, s26
	v_add_u32_e32 v2, v24, v2
	s_ashr_i32 s26, s14, 31
	v_lshrrev_b32_e32 v2, s1, v2
	s_mul_i32 s15, s29, s25
	s_add_u32 s8, s8, s14
	v_mul_lo_u32 v2, v2, s2
	s_addc_u32 s9, s9, s26
	s_ashr_i32 s14, s15, 31
	s_add_u32 s26, s8, s15
	s_addc_u32 s27, s9, s14
	s_ashr_i32 s9, s25, 31
	s_mov_b32 s8, s25
	s_ashr_i32 s25, s24, 31
	s_lshr_b64 s[14:15], s[8:9], 2
	v_sub_u32_e32 v2, v24, v2
	s_lshr_b64 s[0:1], s[24:25], 2
	v_mad_u64_u32 v[3:4], s[14:15], s14, v23, 0
	v_mad_u64_u32 v[5:6], s[0:1], s0, v2, 0
	s_lshr_b32 s0, s9, 2
	v_mad_u64_u32 v[7:8], s[0:1], s0, v23, v[4:5]
	v_mov_b32_e32 v4, v6
	s_lshr_b32 s0, s25, 2
	v_mad_u64_u32 v[8:9], s[0:1], s0, v2, v[4:5]
	v_mov_b32_e32 v4, v7
	v_lshlrev_b64 v[3:4], 2, v[3:4]
	v_mov_b32_e32 v6, v8
	v_mov_b32_e32 v7, s27
	v_add_co_u32_e32 v8, vcc, s26, v3
	v_addc_co_u32_e32 v7, vcc, v7, v4, vcc
	v_lshlrev_b64 v[3:4], 2, v[5:6]
	v_lshlrev_b32_e32 v5, 4, v0
	v_add_co_u32_e32 v3, vcc, v8, v3
	v_addc_co_u32_e32 v4, vcc, v7, v4, vcc
	v_add_co_u32_e32 v3, vcc, v3, v5
	v_addc_co_u32_e32 v4, vcc, 0, v4, vcc
	global_load_dwordx4 v[3:6], v[3:4], off
	s_load_dword s0, s[4:5], 0x40
	v_mov_b32_e32 v7, 0x4400
	v_lshl_add_u32 v27, v1, 8, v7
	v_add_u32_e32 v7, v27, v26
	s_cmp_eq_u64 s[18:19], 0
	s_waitcnt vmcnt(0) lgkmcnt(0)
	v_fma_mixlo_f16 v3, s0, v3, 0
	v_fma_mixlo_f16 v4, s0, v4, 0
	;; [unrolled: 1-line block ×4, first 2 shown]
	v_lshlrev_b32_e32 v4, 16, v4
	v_and_b32_e32 v3, 0xffff, v3
	v_lshlrev_b32_e32 v6, 16, v6
	v_and_b32_e32 v5, 0xffff, v5
	v_or_b32_e32 v3, v4, v3
	v_or3_b32 v4, v6, v5, 0
	v_or3_b32 v3, 0, 0, v3
	ds_write_b64 v7, v[3:4]
	s_waitcnt lgkmcnt(0)
	s_barrier
	s_cbranch_scc1 .LBB13_4
; %bb.3:
	s_load_dword s0, s[4:5], 0xd0
	s_mov_b32 s1, 0
	s_waitcnt lgkmcnt(0)
	s_mul_i32 s0, s0, s33
	s_add_i32 s0, s0, s6
	s_lshl_b64 s[0:1], s[0:1], 2
	s_add_u32 s0, s18, s0
	s_addc_u32 s1, s19, s1
	s_load_dword s28, s[0:1], 0x0
.LBB13_4:
	s_lshl_b32 s6, s7, 6
	s_waitcnt lgkmcnt(0)
	s_cmp_lt_i32 s6, s28
	v_mbcnt_lo_u32_b32 v3, -1, 0
	s_cbranch_scc1 .LBB13_7
; %bb.5:
	v_mbcnt_hi_u32_b32 v28, -1, v3
	v_and_b32_e32 v4, 0x60, v28
	v_add_u32_e32 v29, 32, v4
	v_xor_b32_e32 v34, 16, v28
	v_xor_b32_e32 v33, 8, v28
	;; [unrolled: 1-line block ×5, first 2 shown]
	v_lshlrev_b32_e32 v25, 2, v0
	s_cbranch_execz .LBB13_8
; %bb.6:
	v_mov_b32_e32 v58, 0
	v_mov_b32_e32 v41, 0
	;; [unrolled: 1-line block ×4, first 2 shown]
	s_branch .LBB13_10
.LBB13_7:
                                        ; implicit-def: $vgpr28
                                        ; implicit-def: $vgpr29
                                        ; implicit-def: $vgpr34
                                        ; implicit-def: $vgpr33
                                        ; implicit-def: $vgpr32
                                        ; implicit-def: $vgpr30
                                        ; implicit-def: $vgpr31
	v_lshlrev_b32_e32 v25, 2, v0
.LBB13_8:
	s_sub_i32 s0, 0, s36
	s_mul_i32 s0, s0, s38
	s_mul_hi_u32 s0, s38, s0
	s_add_i32 s38, s38, s0
	s_load_dwordx2 s[0:1], s[4:5], 0x8c
	s_load_dwordx4 s[24:27], s[4:5], 0x98
	s_abs_i32 s18, s29
	s_mul_hi_u32 s19, s18, s38
	s_ashr_i32 s34, s29, 31
	s_waitcnt lgkmcnt(0)
	s_ashr_i32 s9, s0, 2
	s_ashr_i32 s0, s33, 31
	;; [unrolled: 1-line block ×4, first 2 shown]
	s_mul_hi_u32 s35, s24, s33
	s_mul_i32 s38, s24, s0
	s_add_i32 s35, s35, s38
	s_mul_i32 s25, s25, s33
	s_ashr_i32 s37, s37, 31
	s_add_i32 s35, s35, s25
	s_mul_i32 s24, s24, s33
	s_add_u32 s10, s10, s24
	s_mul_i32 s25, s19, s36
	s_addc_u32 s11, s11, s35
	s_sub_i32 s18, s18, s25
	s_xor_b32 s24, s34, s37
	s_add_i32 s25, s19, 1
	s_sub_i32 s34, s18, s36
	s_cmp_ge_u32 s18, s36
	s_cselect_b32 s19, s25, s19
	s_cselect_b32 s18, s34, s18
	s_add_i32 s25, s19, 1
	s_cmp_ge_u32 s18, s36
	s_load_dwordx2 s[14:15], s[4:5], 0xa8
	s_cselect_b32 s18, s25, s19
	s_xor_b32 s18, s18, s24
	s_sub_i32 s18, s18, s24
	s_mul_i32 s1, s18, s1
	s_ashr_i32 s19, s1, 31
	s_add_u32 s10, s10, s1
	s_waitcnt lgkmcnt(0)
	s_mul_hi_u32 s1, s14, s33
	s_mul_i32 s0, s14, s0
	s_addc_u32 s11, s11, s19
	s_add_i32 s0, s1, s0
	s_mul_i32 s1, s15, s33
	s_add_i32 s0, s0, s1
	s_mul_i32 s1, s14, s33
	v_lshrrev_b32_e32 v4, 4, v0
	s_add_u32 s1, s12, s1
	s_mul_i32 s18, s18, s27
	v_lshl_add_u32 v4, v1, 1, v4
	s_addc_u32 s0, s13, s0
	s_ashr_i32 s13, s18, 31
	v_mul_lo_u32 v7, s9, v4
	s_add_u32 s12, s1, s18
	v_and_b32_e32 v17, 60, v25
	s_addc_u32 s13, s0, s13
	v_lshlrev_b32_e32 v16, 2, v17
	s_movk_i32 s0, 0x110
	v_mad_u32_u24 v35, v4, s0, v16
	s_lshl_b32 s0, s9, 4
	v_add_u32_e32 v9, s0, v7
	v_mul_lo_u32 v15, s8, v4
	v_add_u32_e32 v11, s0, v9
	v_add_u32_e32 v13, s0, v11
	v_mad_u64_u32 v[5:6], s[0:1], v2, s26, v[0:1]
	v_mov_b32_e32 v2, 0x4c00
	s_lshl_b32 s0, s8, 4
	v_lshl_add_u32 v40, v1, 7, v2
	v_add_u32_e32 v1, s0, v15
	v_add_u32_e32 v18, s0, v1
	;; [unrolled: 1-line block ×3, first 2 shown]
	v_ashrrev_i32_e32 v8, 31, v7
	v_ashrrev_i32_e32 v10, 31, v9
	v_ashrrev_i32_e32 v12, 31, v11
	v_ashrrev_i32_e32 v14, 31, v13
	v_lshl_or_b32 v43, v4, 8, v16
	v_ashrrev_i32_e32 v16, 31, v15
	v_ashrrev_i32_e32 v2, 31, v1
	;; [unrolled: 1-line block ×4, first 2 shown]
	v_mbcnt_hi_u32_b32 v28, -1, v3
	s_add_u32 s0, s4, 0xd0
	v_lshlrev_b64 v[6:7], 2, v[7:8]
	v_lshlrev_b32_e32 v47, 2, v17
	v_lshlrev_b64 v[8:9], 2, v[9:10]
	v_lshlrev_b64 v[10:11], 2, v[11:12]
	;; [unrolled: 1-line block ×3, first 2 shown]
	v_and_b32_e32 v3, 0x60, v28
	v_lshlrev_b64 v[14:15], 2, v[15:16]
	v_lshlrev_b64 v[16:17], 2, v[1:2]
	;; [unrolled: 1-line block ×4, first 2 shown]
	v_mov_b32_e32 v57, 0
	v_add_u32_e32 v36, 0x1100, v35
	v_add_u32_e32 v37, 0x2200, v35
	;; [unrolled: 1-line block ×3, first 2 shown]
	v_mul_u32_u24_e32 v39, 0x110, v0
	v_lshl_add_u32 v42, v0, 1, v40
	v_add_u32_e32 v44, 0x1000, v43
	v_add_u32_e32 v45, 0x2000, v43
	;; [unrolled: 1-line block ×3, first 2 shown]
	s_addc_u32 s1, s5, 0
	v_mov_b32_e32 v22, 0xfeffffff
	v_add_u32_e32 v29, 32, v3
	v_xor_b32_e32 v34, 16, v28
	v_xor_b32_e32 v33, 8, v28
	;; [unrolled: 1-line block ×5, first 2 shown]
	v_mov_b32_e32 v48, s31
	s_mov_b32 s14, 0x3fb8aa3b
	s_mov_b32 s15, 0xc2ce8ed0
	;; [unrolled: 1-line block ×3, first 2 shown]
	v_mov_b32_e32 v49, 0x7f800000
	s_mov_b32 s19, 0x10001
	v_add_u32_e32 v50, 0x800, v26
	v_add_u32_e32 v51, 0x1000, v26
	v_add_u32_e32 v52, 0x1800, v26
	v_add_u32_e32 v53, 0x2000, v26
	v_add_u32_e32 v54, 0x2800, v26
	v_add_u32_e32 v55, 0x3000, v26
	v_add_u32_e32 v56, 0x3800, v26
	v_mov_b32_e32 v58, 0
	v_mov_b32_e32 v41, 0
.LBB13_9:                               ; =>This Inner Loop Header: Depth=1
	s_mul_hi_i32 s25, s6, s9
	s_mul_i32 s24, s6, s9
	s_lshl_b64 s[24:25], s[24:25], 2
	s_add_u32 s24, s10, s24
	s_addc_u32 s25, s11, s25
	v_add_co_u32_e32 v2, vcc, s24, v6
	v_mov_b32_e32 v3, s25
	v_addc_co_u32_e32 v3, vcc, v3, v7, vcc
	v_add_co_u32_e32 v2, vcc, v2, v47
	v_addc_co_u32_e32 v3, vcc, 0, v3, vcc
	global_load_dwordx4 v[59:62], v[2:3], off
	v_add_co_u32_e32 v2, vcc, s24, v8
	v_mov_b32_e32 v3, s25
	v_addc_co_u32_e32 v3, vcc, v3, v9, vcc
	v_add_co_u32_e32 v2, vcc, v2, v47
	v_addc_co_u32_e32 v3, vcc, 0, v3, vcc
	v_mov_b32_e32 v1, v22
	s_waitcnt vmcnt(0)
	ds_write_b128 v35, v[59:62]
	global_load_dwordx4 v[59:62], v[2:3], off
	v_add_co_u32_e32 v2, vcc, s24, v10
	v_mov_b32_e32 v3, s25
	v_addc_co_u32_e32 v3, vcc, v3, v11, vcc
	v_add_co_u32_e32 v2, vcc, v2, v47
	v_addc_co_u32_e32 v3, vcc, 0, v3, vcc
	s_waitcnt vmcnt(0)
	ds_write_b128 v36, v[59:62]
	global_load_dwordx4 v[59:62], v[2:3], off
	v_add_co_u32_e32 v2, vcc, s24, v12
	v_mov_b32_e32 v3, s25
	v_addc_co_u32_e32 v3, vcc, v3, v13, vcc
	v_add_co_u32_e32 v2, vcc, v2, v47
	v_addc_co_u32_e32 v3, vcc, 0, v3, vcc
	v_cmp_lt_i32_e32 vcc, v34, v29
	v_cndmask_b32_e32 v4, v28, v34, vcc
	v_cmp_lt_i32_e32 vcc, v33, v29
	v_cndmask_b32_e32 v22, v28, v33, vcc
	v_cmp_lt_i32_e32 vcc, v32, v29
	v_lshlrev_b32_e32 v4, 2, v4
	v_lshlrev_b32_e32 v22, 2, v22
	s_mul_hi_i32 s25, s6, s8
	s_mul_i32 s24, s6, s8
	s_lshl_b64 s[24:25], s[24:25], 2
	s_add_u32 s24, s12, s24
	s_addc_u32 s25, s13, s25
	s_waitcnt vmcnt(0)
	ds_write_b128 v37, v[59:62]
	global_load_dwordx4 v[59:62], v[2:3], off
	v_mov_b32_e32 v2, 0
	v_mov_b32_e32 v3, 0
	s_waitcnt vmcnt(0)
	ds_write_b128 v38, v[59:62]
	s_waitcnt lgkmcnt(0)
	s_barrier
	ds_read_b128 v[59:62], v39
	ds_read_b128 v[63:66], v39 offset:8704
	ds_read_b128 v[67:70], v27
	s_waitcnt lgkmcnt(0)
	;;#ASMSTART
	v_dot2_f32_f16 v2, v59, v67, v2
	;;#ASMEND
	;;#ASMSTART
	v_dot2_f32_f16 v2, v60, v68, v2
	;;#ASMEND
	;;#ASMSTART
	v_dot2_f32_f16 v2, v61, v69, v2
	;;#ASMEND
	;;#ASMSTART
	v_dot2_f32_f16 v2, v62, v70, v2
	;;#ASMEND
	;;#ASMSTART
	v_dot2_f32_f16 v3, v63, v67, v3
	;;#ASMEND
	;;#ASMSTART
	v_dot2_f32_f16 v3, v64, v68, v3
	;;#ASMEND
	;;#ASMSTART
	v_dot2_f32_f16 v3, v65, v69, v3
	;;#ASMEND
	;;#ASMSTART
	v_dot2_f32_f16 v3, v66, v70, v3
	;;#ASMEND
	ds_read_b128 v[59:62], v39 offset:16
	ds_read_b128 v[63:66], v39 offset:8720
	ds_read_b128 v[67:70], v27 offset:16
	s_waitcnt lgkmcnt(0)
	;;#ASMSTART
	v_dot2_f32_f16 v2, v59, v67, v2
	;;#ASMEND
	;;#ASMSTART
	v_dot2_f32_f16 v2, v60, v68, v2
	;;#ASMEND
	;;#ASMSTART
	v_dot2_f32_f16 v2, v61, v69, v2
	;;#ASMEND
	;;#ASMSTART
	v_dot2_f32_f16 v2, v62, v70, v2
	;;#ASMEND
	;;#ASMSTART
	v_dot2_f32_f16 v3, v63, v67, v3
	;;#ASMEND
	;;#ASMSTART
	v_dot2_f32_f16 v3, v64, v68, v3
	;;#ASMEND
	;;#ASMSTART
	v_dot2_f32_f16 v3, v65, v69, v3
	;;#ASMEND
	;;#ASMSTART
	v_dot2_f32_f16 v3, v66, v70, v3
	;;#ASMEND
	ds_read_b128 v[59:62], v39 offset:32
	ds_read_b128 v[63:66], v39 offset:8736
	ds_read_b128 v[67:70], v27 offset:32
	;; [unrolled: 28-line block ×15, first 2 shown]
	s_waitcnt lgkmcnt(0)
	;;#ASMSTART
	v_dot2_f32_f16 v2, v59, v67, v2
	;;#ASMEND
	v_add_u32_e32 v59, s6, v5
	;;#ASMSTART
	v_dot2_f32_f16 v2, v60, v68, v2
	;;#ASMEND
	v_ashrrev_i32_e32 v60, 31, v59
	;;#ASMSTART
	v_dot2_f32_f16 v2, v61, v69, v2
	;;#ASMEND
	v_cndmask_b32_e32 v61, v28, v32, vcc
	v_cmp_lt_i32_e32 vcc, v30, v29
	v_lshlrev_b64 v[59:60], 1, v[59:60]
	;;#ASMSTART
	v_dot2_f32_f16 v2, v62, v70, v2
	;;#ASMEND
	;;#ASMSTART
	v_dot2_f32_f16 v3, v63, v67, v3
	;;#ASMEND
	v_cndmask_b32_e32 v62, v28, v30, vcc
	v_cmp_lt_i32_e32 vcc, v31, v29
	;;#ASMSTART
	v_dot2_f32_f16 v3, v64, v68, v3
	;;#ASMEND
	v_cndmask_b32_e32 v63, v28, v31, vcc
	v_add_co_u32_e32 v59, vcc, s30, v59
	;;#ASMSTART
	v_dot2_f32_f16 v3, v65, v69, v3
	;;#ASMEND
	v_addc_co_u32_e32 v60, vcc, v48, v60, vcc
	;;#ASMSTART
	v_dot2_f32_f16 v3, v66, v70, v3
	;;#ASMEND
	global_load_ushort v64, v[59:60], off
	s_waitcnt vmcnt(0)
	v_cvt_f32_f16_e32 v64, v64
	global_load_ushort v59, v[59:60], off offset:64
	v_lshlrev_b32_e32 v60, 2, v61
	v_lshlrev_b32_e32 v61, 2, v62
	v_add_f32_e32 v2, v2, v64
	v_add_f32_e32 v64, 0x40051340, v2
	v_lshlrev_b32_e32 v62, 2, v63
	s_waitcnt vmcnt(0)
	s_barrier
	v_cvt_f32_f16_e32 v59, v59
	v_add_f32_e32 v3, v3, v59
	v_add_f32_e32 v59, 0x40051340, v3
	v_max3_f32 v59, v1, v64, v59
	ds_bpermute_b32 v4, v4, v59
	s_waitcnt lgkmcnt(0)
	v_max_f32_e32 v4, v4, v4
	v_max_f32_e32 v4, v59, v4
	ds_bpermute_b32 v22, v22, v4
	s_waitcnt lgkmcnt(0)
	v_max_f32_e32 v22, v22, v22
	v_max_f32_e32 v4, v4, v22
	;; [unrolled: 4-line block ×5, first 2 shown]
	v_sub_f32_e32 v2, v2, v22
	v_mul_f32_e32 v4, 0x3fb8aa3b, v2
	v_fma_f32 v59, v2, s14, -v4
	v_rndne_f32_e32 v60, v4
	v_fmac_f32_e32 v59, 0x32a5705f, v2
	v_sub_f32_e32 v4, v4, v60
	v_add_f32_e32 v4, v4, v59
	v_exp_f32_e32 v4, v4
	v_cvt_i32_f32_e32 v59, v60
	v_sub_f32_e32 v3, v3, v22
	v_cmp_ngt_f32_e32 vcc, s15, v2
	v_sub_f32_e32 v1, v1, v22
	v_ldexp_f32 v4, v4, v59
	v_mul_f32_e32 v59, 0x3fb8aa3b, v3
	v_fma_f32 v60, v3, s14, -v59
	v_rndne_f32_e32 v61, v59
	v_fmac_f32_e32 v60, 0x32a5705f, v3
	v_sub_f32_e32 v59, v59, v61
	v_add_f32_e32 v59, v59, v60
	v_exp_f32_e32 v59, v59
	v_cvt_i32_f32_e32 v60, v61
	v_cndmask_b32_e32 v4, 0, v4, vcc
	v_cmp_nlt_f32_e32 vcc, s18, v2
	v_cndmask_b32_e32 v2, v49, v4, vcc
	v_ldexp_f32 v59, v59, v60
	v_cmp_ngt_f32_e32 vcc, s15, v3
	v_cndmask_b32_e32 v59, 0, v59, vcc
	v_cmp_nlt_f32_e32 vcc, s18, v3
	v_cndmask_b32_e32 v3, v49, v59, vcc
	v_mul_f32_e32 v59, 0x3fb8aa3b, v1
	v_fma_f32 v60, v1, s14, -v59
	v_rndne_f32_e32 v61, v59
	v_fmac_f32_e32 v60, 0x32a5705f, v1
	v_sub_f32_e32 v59, v59, v61
	v_add_f32_e32 v59, v59, v60
	v_exp_f32_e32 v59, v59
	v_cvt_i32_f32_e32 v60, v61
	v_cmp_ngt_f32_e32 vcc, s15, v1
	v_cvt_f16_f32_e32 v4, v2
	v_add_f32_e32 v2, v2, v3
	v_ldexp_f32 v59, v59, v60
	v_cndmask_b32_e32 v59, 0, v59, vcc
	v_cmp_nlt_f32_e32 vcc, s18, v1
	v_cndmask_b32_e32 v1, v49, v59, vcc
	v_mov_b32_e32 v59, v41
	v_mov_b32_e32 v41, v2
	v_fmac_f32_e32 v41, v59, v1
	v_cvt_f16_f32_e32 v1, v1
	v_mov_b32_e32 v2, s25
	v_cvt_f16_f32_e32 v3, v3
	ds_write_b16 v42, v4
	ds_write_b16 v42, v3 offset:64
	v_mul_u32_u24_e32 v59, 0x10001, v1
	v_add_co_u32_e32 v1, vcc, s24, v14
	v_addc_co_u32_e32 v2, vcc, v2, v15, vcc
	v_add_co_u32_e32 v1, vcc, v1, v47
	v_addc_co_u32_e32 v2, vcc, 0, v2, vcc
	v_add_co_u32_e32 v3, vcc, s24, v16
	v_mov_b32_e32 v4, s25
	v_addc_co_u32_e32 v4, vcc, v4, v17, vcc
	v_add_co_u32_e32 v60, vcc, v3, v47
	v_addc_co_u32_e32 v61, vcc, 0, v4, vcc
	v_add_co_u32_e32 v3, vcc, s24, v18
	v_mov_b32_e32 v4, s25
	;; [unrolled: 5-line block ×3, first 2 shown]
	v_addc_co_u32_e32 v4, vcc, v4, v21, vcc
	v_add_co_u32_e32 v64, vcc, v3, v47
	v_addc_co_u32_e32 v65, vcc, 0, v4, vcc
	global_load_dwordx4 v[1:4], v[1:2], off
	s_waitcnt vmcnt(0)
	ds_write_b128 v43, v[1:4]
	global_load_dwordx4 v[1:4], v[60:61], off
	s_waitcnt vmcnt(0)
	ds_write_b128 v44, v[1:4]
	;; [unrolled: 3-line block ×4, first 2 shown]
	s_waitcnt lgkmcnt(0)
	s_barrier
	ds_read2_b64 v[60:63], v26 offset1:32
	ds_read_b128 v[64:67], v40
	ds_read_b128 v[68:71], v40 offset:16
	ds_read_b128 v[72:75], v40 offset:32
	;; [unrolled: 1-line block ×3, first 2 shown]
	s_waitcnt lgkmcnt(3)
	v_mul_u32_u24_sdwa v76, v64, s19 dst_sel:DWORD dst_unused:UNUSED_PAD src0_sel:WORD_0 src1_sel:DWORD
	v_pk_mul_f16 v60, v60, v76
	v_pk_fma_f16 v57, v57, v59, v60
	v_pk_mul_f16 v60, v61, v76
	v_pk_fma_f16 v58, v58, v59, v60
	v_mul_u32_u24_sdwa v59, v64, s19 dst_sel:DWORD dst_unused:UNUSED_PAD src0_sel:WORD_1 src1_sel:DWORD
	v_pk_fma_f16 v61, v62, v59, v57
	v_pk_fma_f16 v62, v63, v59, v58
	ds_read2_b64 v[57:60], v26 offset0:64 offset1:96
	v_mul_u32_u24_sdwa v63, v65, s19 dst_sel:DWORD dst_unused:UNUSED_PAD src0_sel:WORD_0 src1_sel:DWORD
	s_waitcnt lgkmcnt(0)
	v_pk_fma_f16 v57, v57, v63, v61
	v_pk_fma_f16 v58, v58, v63, v62
	v_mul_u32_u24_sdwa v61, v65, s19 dst_sel:DWORD dst_unused:UNUSED_PAD src0_sel:WORD_1 src1_sel:DWORD
	v_pk_fma_f16 v62, v59, v61, v57
	v_pk_fma_f16 v61, v60, v61, v58
	ds_read2_b64 v[57:60], v26 offset0:128 offset1:160
	v_mul_u32_u24_sdwa v63, v66, s19 dst_sel:DWORD dst_unused:UNUSED_PAD src0_sel:WORD_0 src1_sel:DWORD
	s_waitcnt lgkmcnt(0)
	v_pk_fma_f16 v57, v57, v63, v62
	;; [unrolled: 8-line block ×3, first 2 shown]
	v_pk_fma_f16 v58, v58, v63, v61
	v_mul_u32_u24_sdwa v61, v67, s19 dst_sel:DWORD dst_unused:UNUSED_PAD src0_sel:WORD_1 src1_sel:DWORD
	v_pk_fma_f16 v62, v59, v61, v57
	v_pk_fma_f16 v61, v60, v61, v58
	ds_read2_b64 v[57:60], v50 offset1:32
	v_mul_u32_u24_sdwa v63, v68, s19 dst_sel:DWORD dst_unused:UNUSED_PAD src0_sel:WORD_0 src1_sel:DWORD
	s_waitcnt lgkmcnt(0)
	v_pk_fma_f16 v57, v57, v63, v62
	v_pk_fma_f16 v58, v58, v63, v61
	v_mul_u32_u24_sdwa v61, v68, s19 dst_sel:DWORD dst_unused:UNUSED_PAD src0_sel:WORD_1 src1_sel:DWORD
	v_pk_fma_f16 v62, v59, v61, v57
	v_pk_fma_f16 v61, v60, v61, v58
	ds_read2_b64 v[57:60], v50 offset0:64 offset1:96
	v_mul_u32_u24_sdwa v63, v69, s19 dst_sel:DWORD dst_unused:UNUSED_PAD src0_sel:WORD_0 src1_sel:DWORD
	s_waitcnt lgkmcnt(0)
	v_pk_fma_f16 v57, v57, v63, v62
	v_pk_fma_f16 v58, v58, v63, v61
	v_mul_u32_u24_sdwa v61, v69, s19 dst_sel:DWORD dst_unused:UNUSED_PAD src0_sel:WORD_1 src1_sel:DWORD
	v_pk_fma_f16 v62, v59, v61, v57
	v_pk_fma_f16 v61, v60, v61, v58
	ds_read2_b64 v[57:60], v50 offset0:128 offset1:160
	;; [unrolled: 8-line block ×3, first 2 shown]
	v_mul_u32_u24_sdwa v63, v71, s19 dst_sel:DWORD dst_unused:UNUSED_PAD src0_sel:WORD_0 src1_sel:DWORD
	s_waitcnt lgkmcnt(0)
	v_pk_fma_f16 v57, v57, v63, v62
	v_pk_fma_f16 v58, v58, v63, v61
	v_mul_u32_u24_sdwa v61, v71, s19 dst_sel:DWORD dst_unused:UNUSED_PAD src0_sel:WORD_1 src1_sel:DWORD
	v_pk_fma_f16 v62, v59, v61, v57
	v_pk_fma_f16 v61, v60, v61, v58
	ds_read2_b64 v[57:60], v51 offset1:32
	v_mul_u32_u24_sdwa v63, v72, s19 dst_sel:DWORD dst_unused:UNUSED_PAD src0_sel:WORD_0 src1_sel:DWORD
	s_waitcnt lgkmcnt(0)
	v_pk_fma_f16 v57, v57, v63, v62
	v_pk_fma_f16 v58, v58, v63, v61
	v_mul_u32_u24_sdwa v61, v72, s19 dst_sel:DWORD dst_unused:UNUSED_PAD src0_sel:WORD_1 src1_sel:DWORD
	v_pk_fma_f16 v62, v59, v61, v57
	v_pk_fma_f16 v61, v60, v61, v58
	ds_read2_b64 v[57:60], v51 offset0:64 offset1:96
	v_mul_u32_u24_sdwa v63, v73, s19 dst_sel:DWORD dst_unused:UNUSED_PAD src0_sel:WORD_0 src1_sel:DWORD
	s_waitcnt lgkmcnt(0)
	v_pk_fma_f16 v57, v57, v63, v62
	v_pk_fma_f16 v58, v58, v63, v61
	v_mul_u32_u24_sdwa v61, v73, s19 dst_sel:DWORD dst_unused:UNUSED_PAD src0_sel:WORD_1 src1_sel:DWORD
	v_pk_fma_f16 v62, v59, v61, v57
	v_pk_fma_f16 v61, v60, v61, v58
	ds_read2_b64 v[57:60], v51 offset0:128 offset1:160
	;; [unrolled: 8-line block ×3, first 2 shown]
	v_mul_u32_u24_sdwa v63, v75, s19 dst_sel:DWORD dst_unused:UNUSED_PAD src0_sel:WORD_0 src1_sel:DWORD
	s_waitcnt lgkmcnt(0)
	v_pk_fma_f16 v57, v57, v63, v62
	v_pk_fma_f16 v58, v58, v63, v61
	v_mul_u32_u24_sdwa v61, v75, s19 dst_sel:DWORD dst_unused:UNUSED_PAD src0_sel:WORD_1 src1_sel:DWORD
	v_pk_fma_f16 v62, v59, v61, v57
	v_pk_fma_f16 v61, v60, v61, v58
	ds_read2_b64 v[57:60], v52 offset1:32
	v_mul_u32_u24_sdwa v63, v1, s19 dst_sel:DWORD dst_unused:UNUSED_PAD src0_sel:WORD_0 src1_sel:DWORD
	v_mul_u32_u24_sdwa v1, v1, s19 dst_sel:DWORD dst_unused:UNUSED_PAD src0_sel:WORD_1 src1_sel:DWORD
	s_waitcnt lgkmcnt(0)
	v_pk_fma_f16 v57, v57, v63, v62
	v_pk_fma_f16 v58, v58, v63, v61
	;; [unrolled: 1-line block ×4, first 2 shown]
	ds_read2_b64 v[57:60], v52 offset0:64 offset1:96
	v_mul_u32_u24_sdwa v62, v2, s19 dst_sel:DWORD dst_unused:UNUSED_PAD src0_sel:WORD_0 src1_sel:DWORD
	v_mul_u32_u24_sdwa v2, v2, s19 dst_sel:DWORD dst_unused:UNUSED_PAD src0_sel:WORD_1 src1_sel:DWORD
	s_waitcnt lgkmcnt(0)
	v_pk_fma_f16 v57, v57, v62, v61
	v_pk_fma_f16 v1, v58, v62, v1
	;; [unrolled: 1-line block ×4, first 2 shown]
	ds_read2_b64 v[57:60], v52 offset0:128 offset1:160
	v_mul_u32_u24_sdwa v2, v3, s19 dst_sel:DWORD dst_unused:UNUSED_PAD src0_sel:WORD_0 src1_sel:DWORD
	s_waitcnt lgkmcnt(0)
	v_pk_fma_f16 v57, v57, v2, v61
	v_pk_fma_f16 v1, v58, v2, v1
	v_mul_u32_u24_sdwa v2, v3, s19 dst_sel:DWORD dst_unused:UNUSED_PAD src0_sel:WORD_1 src1_sel:DWORD
	v_pk_fma_f16 v3, v59, v2, v57
	v_pk_fma_f16 v1, v60, v2, v1
	ds_read2_b64 v[57:60], v52 offset0:192 offset1:224
	v_mul_u32_u24_sdwa v2, v4, s19 dst_sel:DWORD dst_unused:UNUSED_PAD src0_sel:WORD_0 src1_sel:DWORD
	s_waitcnt lgkmcnt(0)
	v_pk_fma_f16 v3, v57, v2, v3
	v_pk_fma_f16 v1, v58, v2, v1
	v_mul_u32_u24_sdwa v2, v4, s19 dst_sel:DWORD dst_unused:UNUSED_PAD src0_sel:WORD_1 src1_sel:DWORD
	v_pk_fma_f16 v61, v59, v2, v3
	v_pk_fma_f16 v62, v60, v2, v1
	ds_read2_b64 v[1:4], v53 offset1:32
	ds_read_b128 v[57:60], v40 offset:64
	s_waitcnt lgkmcnt(0)
	v_mul_u32_u24_sdwa v63, v57, s19 dst_sel:DWORD dst_unused:UNUSED_PAD src0_sel:WORD_0 src1_sel:DWORD
	v_pk_fma_f16 v1, v1, v63, v61
	v_pk_fma_f16 v2, v2, v63, v62
	v_mul_u32_u24_sdwa v57, v57, s19 dst_sel:DWORD dst_unused:UNUSED_PAD src0_sel:WORD_1 src1_sel:DWORD
	v_pk_fma_f16 v61, v3, v57, v1
	v_pk_fma_f16 v57, v4, v57, v2
	ds_read2_b64 v[1:4], v53 offset0:64 offset1:96
	v_mul_u32_u24_sdwa v62, v58, s19 dst_sel:DWORD dst_unused:UNUSED_PAD src0_sel:WORD_0 src1_sel:DWORD
	s_waitcnt lgkmcnt(0)
	v_pk_fma_f16 v1, v1, v62, v61
	v_pk_fma_f16 v2, v2, v62, v57
	v_mul_u32_u24_sdwa v57, v58, s19 dst_sel:DWORD dst_unused:UNUSED_PAD src0_sel:WORD_1 src1_sel:DWORD
	v_pk_fma_f16 v58, v3, v57, v1
	v_pk_fma_f16 v57, v4, v57, v2
	ds_read2_b64 v[1:4], v53 offset0:128 offset1:160
	v_mul_u32_u24_sdwa v61, v59, s19 dst_sel:DWORD dst_unused:UNUSED_PAD src0_sel:WORD_0 src1_sel:DWORD
	s_waitcnt lgkmcnt(0)
	v_pk_fma_f16 v1, v1, v61, v58
	v_pk_fma_f16 v2, v2, v61, v57
	v_mul_u32_u24_sdwa v57, v59, s19 dst_sel:DWORD dst_unused:UNUSED_PAD src0_sel:WORD_1 src1_sel:DWORD
	v_pk_fma_f16 v58, v3, v57, v1
	v_pk_fma_f16 v57, v4, v57, v2
	ds_read2_b64 v[1:4], v53 offset0:192 offset1:224
	v_mul_u32_u24_sdwa v59, v60, s19 dst_sel:DWORD dst_unused:UNUSED_PAD src0_sel:WORD_0 src1_sel:DWORD
	s_waitcnt lgkmcnt(0)
	v_pk_fma_f16 v1, v1, v59, v58
	v_pk_fma_f16 v2, v2, v59, v57
	v_mul_u32_u24_sdwa v57, v60, s19 dst_sel:DWORD dst_unused:UNUSED_PAD src0_sel:WORD_1 src1_sel:DWORD
	v_pk_fma_f16 v61, v3, v57, v1
	v_pk_fma_f16 v62, v4, v57, v2
	ds_read2_b64 v[1:4], v54 offset1:32
	ds_read_b128 v[57:60], v40 offset:80
	s_waitcnt lgkmcnt(0)
	v_mul_u32_u24_sdwa v63, v57, s19 dst_sel:DWORD dst_unused:UNUSED_PAD src0_sel:WORD_0 src1_sel:DWORD
	v_pk_fma_f16 v1, v1, v63, v61
	v_pk_fma_f16 v2, v2, v63, v62
	v_mul_u32_u24_sdwa v57, v57, s19 dst_sel:DWORD dst_unused:UNUSED_PAD src0_sel:WORD_1 src1_sel:DWORD
	v_pk_fma_f16 v61, v3, v57, v1
	v_pk_fma_f16 v57, v4, v57, v2
	ds_read2_b64 v[1:4], v54 offset0:64 offset1:96
	v_mul_u32_u24_sdwa v62, v58, s19 dst_sel:DWORD dst_unused:UNUSED_PAD src0_sel:WORD_0 src1_sel:DWORD
	s_waitcnt lgkmcnt(0)
	v_pk_fma_f16 v1, v1, v62, v61
	v_pk_fma_f16 v2, v2, v62, v57
	v_mul_u32_u24_sdwa v57, v58, s19 dst_sel:DWORD dst_unused:UNUSED_PAD src0_sel:WORD_1 src1_sel:DWORD
	v_pk_fma_f16 v58, v3, v57, v1
	v_pk_fma_f16 v57, v4, v57, v2
	;; [unrolled: 33-line block ×4, first 2 shown]
	ds_read2_b64 v[1:4], v56 offset0:128 offset1:160
	v_mul_u32_u24_sdwa v61, v59, s19 dst_sel:DWORD dst_unused:UNUSED_PAD src0_sel:WORD_0 src1_sel:DWORD
	s_waitcnt lgkmcnt(0)
	v_pk_fma_f16 v1, v1, v61, v58
	v_pk_fma_f16 v2, v2, v61, v57
	v_mul_u32_u24_sdwa v57, v59, s19 dst_sel:DWORD dst_unused:UNUSED_PAD src0_sel:WORD_1 src1_sel:DWORD
	v_pk_fma_f16 v58, v3, v57, v1
	v_pk_fma_f16 v57, v4, v57, v2
	ds_read2_b64 v[1:4], v56 offset0:192 offset1:224
	s_waitcnt lgkmcnt(0)
	s_barrier
	s_load_dword s24, s[0:1], 0x4
	v_mul_u32_u24_sdwa v59, v60, s19 dst_sel:DWORD dst_unused:UNUSED_PAD src0_sel:WORD_0 src1_sel:DWORD
	v_pk_fma_f16 v1, v1, v59, v58
	v_pk_fma_f16 v2, v2, v59, v57
	v_mul_u32_u24_sdwa v58, v60, s19 dst_sel:DWORD dst_unused:UNUSED_PAD src0_sel:WORD_1 src1_sel:DWORD
	s_waitcnt lgkmcnt(0)
	s_lshl_b32 s24, s24, 6
	s_add_i32 s6, s24, s6
	v_pk_fma_f16 v57, v3, v58, v1
	v_pk_fma_f16 v58, v4, v58, v2
	s_cmp_ge_i32 s6, s28
	s_cbranch_scc0 .LBB13_9
.LBB13_10:
	v_cmp_lt_i32_e32 vcc, v34, v29
	v_cndmask_b32_e32 v1, v28, v34, vcc
	v_lshlrev_b32_e32 v1, 2, v1
	ds_bpermute_b32 v1, v1, v41
	v_cmp_lt_i32_e32 vcc, v33, v29
	v_cndmask_b32_e32 v2, v28, v33, vcc
	v_lshlrev_b32_e32 v2, 2, v2
	v_cmp_lt_i32_e32 vcc, v32, v29
	s_waitcnt lgkmcnt(0)
	v_add_f32_e32 v1, v41, v1
	ds_bpermute_b32 v2, v2, v1
	v_cndmask_b32_e32 v3, v28, v32, vcc
	v_lshlrev_b32_e32 v3, 2, v3
	v_cmp_lt_i32_e32 vcc, v30, v29
	s_cmp_lg_u64 s[16:17], 0
	s_waitcnt lgkmcnt(0)
	v_add_f32_e32 v1, v1, v2
	ds_bpermute_b32 v2, v3, v1
	v_cndmask_b32_e32 v3, v28, v30, vcc
	v_lshlrev_b32_e32 v3, 2, v3
	v_cmp_lt_i32_e32 vcc, v31, v29
	v_cndmask_b32_e32 v4, v28, v31, vcc
	s_waitcnt lgkmcnt(0)
	v_add_f32_e32 v2, v1, v2
	ds_bpermute_b32 v3, v3, v2
	v_lshlrev_b32_e32 v4, 2, v4
	s_cselect_b64 s[0:1], -1, 0
	s_cmp_eq_u32 s7, 0
	s_cselect_b64 s[8:9], -1, 0
	s_waitcnt lgkmcnt(0)
	v_add_f32_e32 v2, v2, v3
	ds_bpermute_b32 v3, v4, v2
	s_and_b64 s[0:1], s[8:9], s[0:1]
	v_add_u32_e32 v1, s29, v23
	s_and_b64 vcc, exec, s[0:1]
	s_waitcnt lgkmcnt(0)
	v_add_f32_e32 v23, v2, v3
	s_cbranch_vccz .LBB13_12
; %bb.11:
	v_ashrrev_i32_e32 v2, 31, v1
	v_lshlrev_b64 v[2:3], 2, v[1:2]
	v_mov_b32_e32 v4, s17
	v_add_co_u32_e32 v2, vcc, s16, v2
	v_addc_co_u32_e32 v3, vcc, v4, v3, vcc
	global_load_dword v2, v[2:3], off
	v_max_f32_e32 v3, v22, v22
	s_mov_b32 s0, 0x3fb8aa3b
	s_mov_b32 s1, 0xc2ce8ed0
	s_waitcnt vmcnt(0)
	v_max_f32_e32 v4, v2, v2
	v_max_f32_e32 v3, v3, v4
	v_sub_f32_e32 v4, v22, v3
	v_sub_f32_e32 v2, v2, v3
	v_mul_f32_e32 v5, 0x3fb8aa3b, v4
	v_mul_f32_e32 v6, 0x3fb8aa3b, v2
	v_fma_f32 v7, v4, s0, -v5
	v_rndne_f32_e32 v8, v5
	v_fma_f32 v9, v2, s0, -v6
	v_rndne_f32_e32 v10, v6
	v_fmac_f32_e32 v7, 0x32a5705f, v4
	v_sub_f32_e32 v5, v5, v8
	v_fmac_f32_e32 v9, 0x32a5705f, v2
	v_sub_f32_e32 v6, v6, v10
	v_add_f32_e32 v5, v5, v7
	v_cvt_i32_f32_e32 v8, v8
	v_add_f32_e32 v6, v6, v9
	v_exp_f32_e32 v5, v5
	v_cvt_i32_f32_e32 v10, v10
	v_exp_f32_e32 v6, v6
	v_cmp_ngt_f32_e32 vcc, s1, v4
	v_ldexp_f32 v5, v5, v8
	s_mov_b32 s0, 0x42b17218
	v_ldexp_f32 v6, v6, v10
	v_cndmask_b32_e32 v5, 0, v5, vcc
	v_cmp_ngt_f32_e32 vcc, s1, v2
	v_mov_b32_e32 v7, 0x7f800000
	v_cndmask_b32_e32 v6, 0, v6, vcc
	v_cmp_nlt_f32_e32 vcc, s0, v4
	v_cndmask_b32_e32 v4, v7, v5, vcc
	v_cvt_f16_f32_e32 v5, v4
	v_cmp_nlt_f32_e32 vcc, s0, v2
	v_cndmask_b32_e32 v2, v7, v6, vcc
	v_fmac_f32_e32 v2, v23, v4
	v_mov_b32_e32 v23, v2
	v_mul_u32_u24_e32 v2, 0x10001, v5
	v_pk_mul_f16 v57, v57, v2
	v_pk_mul_f16 v58, v58, v2
	v_mov_b32_e32 v22, v3
.LBB13_12:
	v_div_scale_f32 v3, s[0:1], v23, v23, 1.0
	v_div_scale_f32 v4, vcc, 1.0, v23, 1.0
	s_mul_i32 s33, s33, s2
	s_load_dword s4, s[4:5], 0xd4
	v_mov_b32_e32 v2, 0
	v_cmp_eq_u32_e64 s[0:1], 0, v0
	v_add_u32_e32 v0, s33, v24
	v_mad_u64_u32 v[0:1], s[2:3], v0, s3, v[1:2]
	v_cvt_f32_f16_e32 v8, v58
	v_cvt_f32_f16_sdwa v9, v58 dst_sel:DWORD dst_unused:UNUSED_PAD src0_sel:WORD_1
	s_waitcnt lgkmcnt(0)
	v_mul_lo_u32 v0, s4, v0
	s_cmp_lg_u32 s4, 1
	s_cselect_b64 s[2:3], -1, 0
	v_rcp_f32_e32 v5, v3
	v_add_u32_e32 v0, s7, v0
	v_lshl_add_u32 v1, v0, 7, v25
	v_lshlrev_b64 v[1:2], 2, v[1:2]
	v_fma_f32 v6, -v3, v5, 1.0
	v_fmac_f32_e32 v5, v6, v5
	v_mul_f32_e32 v6, v4, v5
	v_fma_f32 v7, -v3, v6, v4
	v_fmac_f32_e32 v6, v7, v5
	v_fma_f32 v3, -v3, v6, v4
	v_div_fmas_f32 v3, v3, v5, v6
	v_cvt_f32_f16_e32 v4, v57
	v_cvt_f32_f16_sdwa v7, v57 dst_sel:DWORD dst_unused:UNUSED_PAD src0_sel:WORD_1
	v_add_co_u32_e32 v5, vcc, s20, v1
	v_mov_b32_e32 v6, s21
	v_addc_co_u32_e32 v6, vcc, v6, v2, vcc
	s_and_b64 s[0:1], s[0:1], s[2:3]
	v_div_fixup_f32 v1, v3, v23, 1.0
	v_cndmask_b32_e64 v10, v1, 1.0, s[2:3]
	v_mul_f32_e32 v1, v10, v4
	v_mul_f32_e32 v2, v10, v7
	;; [unrolled: 1-line block ×4, first 2 shown]
	global_store_dwordx4 v[5:6], v[1:4], off
	s_and_saveexec_b64 s[2:3], s[0:1]
	s_cbranch_execz .LBB13_14
; %bb.13:
	v_ashrrev_i32_e32 v1, 31, v0
	v_lshlrev_b64 v[0:1], 3, v[0:1]
	v_mov_b32_e32 v2, s23
	v_add_co_u32_e32 v0, vcc, s22, v0
	v_addc_co_u32_e32 v1, vcc, v2, v1, vcc
	global_store_dwordx2 v[0:1], v[22:23], off
.LBB13_14:
	s_endpgm
	.section	.rodata,"a",@progbits
	.p2align	6, 0x0
	.amdhsa_kernel _ZL15flash_attn_tileILi128ELi128ELi1ELi8ELb0EEvPKcS1_S1_S1_S1_PKiPfP15HIP_vector_typeIfLj2EEffffjfiS5_IjLj3EEiiiiiiiiiiiliiliiiiil
		.amdhsa_group_segment_fixed_size 20480
		.amdhsa_private_segment_fixed_size 0
		.amdhsa_kernarg_size 464
		.amdhsa_user_sgpr_count 6
		.amdhsa_user_sgpr_private_segment_buffer 1
		.amdhsa_user_sgpr_dispatch_ptr 0
		.amdhsa_user_sgpr_queue_ptr 0
		.amdhsa_user_sgpr_kernarg_segment_ptr 1
		.amdhsa_user_sgpr_dispatch_id 0
		.amdhsa_user_sgpr_flat_scratch_init 0
		.amdhsa_user_sgpr_private_segment_size 0
		.amdhsa_uses_dynamic_stack 0
		.amdhsa_system_sgpr_private_segment_wavefront_offset 0
		.amdhsa_system_sgpr_workgroup_id_x 1
		.amdhsa_system_sgpr_workgroup_id_y 1
		.amdhsa_system_sgpr_workgroup_id_z 1
		.amdhsa_system_sgpr_workgroup_info 0
		.amdhsa_system_vgpr_workitem_id 1
		.amdhsa_next_free_vgpr 77
		.amdhsa_next_free_sgpr 98
		.amdhsa_reserve_vcc 1
		.amdhsa_reserve_flat_scratch 0
		.amdhsa_float_round_mode_32 0
		.amdhsa_float_round_mode_16_64 0
		.amdhsa_float_denorm_mode_32 3
		.amdhsa_float_denorm_mode_16_64 3
		.amdhsa_dx10_clamp 1
		.amdhsa_ieee_mode 1
		.amdhsa_fp16_overflow 0
		.amdhsa_exception_fp_ieee_invalid_op 0
		.amdhsa_exception_fp_denorm_src 0
		.amdhsa_exception_fp_ieee_div_zero 0
		.amdhsa_exception_fp_ieee_overflow 0
		.amdhsa_exception_fp_ieee_underflow 0
		.amdhsa_exception_fp_ieee_inexact 0
		.amdhsa_exception_int_div_zero 0
	.end_amdhsa_kernel
	.section	.text._ZL15flash_attn_tileILi128ELi128ELi1ELi8ELb0EEvPKcS1_S1_S1_S1_PKiPfP15HIP_vector_typeIfLj2EEffffjfiS5_IjLj3EEiiiiiiiiiiiliiliiiiil,"axG",@progbits,_ZL15flash_attn_tileILi128ELi128ELi1ELi8ELb0EEvPKcS1_S1_S1_S1_PKiPfP15HIP_vector_typeIfLj2EEffffjfiS5_IjLj3EEiiiiiiiiiiiliiliiiiil,comdat
.Lfunc_end13:
	.size	_ZL15flash_attn_tileILi128ELi128ELi1ELi8ELb0EEvPKcS1_S1_S1_S1_PKiPfP15HIP_vector_typeIfLj2EEffffjfiS5_IjLj3EEiiiiiiiiiiiliiliiiiil, .Lfunc_end13-_ZL15flash_attn_tileILi128ELi128ELi1ELi8ELb0EEvPKcS1_S1_S1_S1_PKiPfP15HIP_vector_typeIfLj2EEffffjfiS5_IjLj3EEiiiiiiiiiiiliiliiiiil
                                        ; -- End function
	.set _ZL15flash_attn_tileILi128ELi128ELi1ELi8ELb0EEvPKcS1_S1_S1_S1_PKiPfP15HIP_vector_typeIfLj2EEffffjfiS5_IjLj3EEiiiiiiiiiiiliiliiiiil.num_vgpr, 77
	.set _ZL15flash_attn_tileILi128ELi128ELi1ELi8ELb0EEvPKcS1_S1_S1_S1_PKiPfP15HIP_vector_typeIfLj2EEffffjfiS5_IjLj3EEiiiiiiiiiiiliiliiiiil.num_agpr, 0
	.set _ZL15flash_attn_tileILi128ELi128ELi1ELi8ELb0EEvPKcS1_S1_S1_S1_PKiPfP15HIP_vector_typeIfLj2EEffffjfiS5_IjLj3EEiiiiiiiiiiiliiliiiiil.numbered_sgpr, 39
	.set _ZL15flash_attn_tileILi128ELi128ELi1ELi8ELb0EEvPKcS1_S1_S1_S1_PKiPfP15HIP_vector_typeIfLj2EEffffjfiS5_IjLj3EEiiiiiiiiiiiliiliiiiil.num_named_barrier, 0
	.set _ZL15flash_attn_tileILi128ELi128ELi1ELi8ELb0EEvPKcS1_S1_S1_S1_PKiPfP15HIP_vector_typeIfLj2EEffffjfiS5_IjLj3EEiiiiiiiiiiiliiliiiiil.private_seg_size, 0
	.set _ZL15flash_attn_tileILi128ELi128ELi1ELi8ELb0EEvPKcS1_S1_S1_S1_PKiPfP15HIP_vector_typeIfLj2EEffffjfiS5_IjLj3EEiiiiiiiiiiiliiliiiiil.uses_vcc, 1
	.set _ZL15flash_attn_tileILi128ELi128ELi1ELi8ELb0EEvPKcS1_S1_S1_S1_PKiPfP15HIP_vector_typeIfLj2EEffffjfiS5_IjLj3EEiiiiiiiiiiiliiliiiiil.uses_flat_scratch, 0
	.set _ZL15flash_attn_tileILi128ELi128ELi1ELi8ELb0EEvPKcS1_S1_S1_S1_PKiPfP15HIP_vector_typeIfLj2EEffffjfiS5_IjLj3EEiiiiiiiiiiiliiliiiiil.has_dyn_sized_stack, 0
	.set _ZL15flash_attn_tileILi128ELi128ELi1ELi8ELb0EEvPKcS1_S1_S1_S1_PKiPfP15HIP_vector_typeIfLj2EEffffjfiS5_IjLj3EEiiiiiiiiiiiliiliiiiil.has_recursion, 0
	.set _ZL15flash_attn_tileILi128ELi128ELi1ELi8ELb0EEvPKcS1_S1_S1_S1_PKiPfP15HIP_vector_typeIfLj2EEffffjfiS5_IjLj3EEiiiiiiiiiiiliiliiiiil.has_indirect_call, 0
	.section	.AMDGPU.csdata,"",@progbits
; Kernel info:
; codeLenInByte = 6724
; TotalNumSgprs: 43
; NumVgprs: 77
; ScratchSize: 0
; MemoryBound: 0
; FloatMode: 240
; IeeeMode: 1
; LDSByteSize: 20480 bytes/workgroup (compile time only)
; SGPRBlocks: 12
; VGPRBlocks: 19
; NumSGPRsForWavesPerEU: 102
; NumVGPRsForWavesPerEU: 77
; Occupancy: 3
; WaveLimiterHint : 1
; COMPUTE_PGM_RSRC2:SCRATCH_EN: 0
; COMPUTE_PGM_RSRC2:USER_SGPR: 6
; COMPUTE_PGM_RSRC2:TRAP_HANDLER: 0
; COMPUTE_PGM_RSRC2:TGID_X_EN: 1
; COMPUTE_PGM_RSRC2:TGID_Y_EN: 1
; COMPUTE_PGM_RSRC2:TGID_Z_EN: 1
; COMPUTE_PGM_RSRC2:TIDIG_COMP_CNT: 1
	.section	.text._ZL25flash_attn_mask_to_KV_maxILi1EEvPK7__half2Piiii,"axG",@progbits,_ZL25flash_attn_mask_to_KV_maxILi1EEvPK7__half2Piiii,comdat
	.globl	_ZL25flash_attn_mask_to_KV_maxILi1EEvPK7__half2Piiii ; -- Begin function _ZL25flash_attn_mask_to_KV_maxILi1EEvPK7__half2Piiii
	.p2align	8
	.type	_ZL25flash_attn_mask_to_KV_maxILi1EEvPK7__half2Piiii,@function
_ZL25flash_attn_mask_to_KV_maxILi1EEvPK7__half2Piiii: ; @_ZL25flash_attn_mask_to_KV_maxILi1EEvPK7__half2Piiii
; %bb.0:
	s_load_dwordx4 s[8:11], s[4:5], 0x0
	v_cmp_gt_u32_e32 vcc, 32, v0
	s_and_saveexec_b64 s[0:1], vcc
; %bb.1:
	v_lshlrev_b32_e32 v1, 2, v0
	v_mov_b32_e32 v2, 1
	ds_write_b32 v1, v2
; %bb.2:
	s_or_b64 exec, exec, s[0:1]
	s_load_dwordx4 s[0:3], s[4:5], 0x10
	s_load_dword s12, s[4:5], 0x20
	v_and_b32_e32 v1, 31, v0
	v_lshlrev_b32_e32 v4, 2, v1
	v_lshrrev_b32_e32 v3, 3, v0
	s_waitcnt lgkmcnt(0)
	s_mul_i32 s2, s2, s7
	s_mul_i32 s1, s1, s6
	s_add_i32 s2, s2, s1
	s_ashr_i32 s3, s2, 31
	s_lshl_b64 s[2:3], s[2:3], 2
	s_add_u32 s13, s8, s2
	s_addc_u32 s14, s9, s3
	s_lshl_b32 s15, s0, 8
	v_cmp_eq_u32_e64 s[0:1], 0, v1
	v_mbcnt_lo_u32_b32 v1, -1, 0
	v_mbcnt_hi_u32_b32 v5, -1, v1
	v_and_b32_e32 v1, 0x60, v5
	s_mov_b64 s[4:5], 0
	v_mov_b32_e32 v2, 0
	s_movk_i32 s16, 0x204
	v_add_u32_e32 v6, 32, v1
	v_xor_b32_e32 v7, 16, v5
	v_xor_b32_e32 v8, 8, v5
	;; [unrolled: 1-line block ×5, first 2 shown]
	s_barrier
                                        ; implicit-def: $sgpr2_sgpr3
	s_branch .LBB14_5
.LBB14_3:                               ;   in Loop: Header=BB14_5 Depth=1
	s_or_b64 exec, exec, s[8:9]
	s_waitcnt lgkmcnt(0)
	s_barrier
	ds_read_b32 v16, v4
	s_waitcnt lgkmcnt(0)
	s_barrier
	ds_bpermute_b32 v1, v1, v16
	v_cmp_ne_u32_e32 vcc, 0, v16
	s_waitcnt lgkmcnt(0)
	v_cmp_ne_u32_e64 s[2:3], 0, v1
	s_and_b64 s[2:3], vcc, s[2:3]
	v_cndmask_b32_e64 v1, 0, 1, s[2:3]
	ds_bpermute_b32 v1, v12, v1
	s_waitcnt lgkmcnt(0)
	v_cmp_ne_u32_e32 vcc, 0, v1
	s_and_b64 s[2:3], vcc, s[2:3]
	v_cndmask_b32_e64 v1, 0, 1, s[2:3]
	ds_bpermute_b32 v1, v13, v1
	s_waitcnt lgkmcnt(0)
	v_cmp_ne_u32_e32 vcc, 0, v1
	;; [unrolled: 5-line block ×3, first 2 shown]
	s_and_b64 s[2:3], vcc, s[2:3]
	v_cndmask_b32_e64 v1, 0, 1, s[2:3]
	ds_bpermute_b32 v1, v15, v1
	s_xor_b64 s[2:3], s[2:3], -1
	s_waitcnt lgkmcnt(0)
	v_cmp_eq_u32_e32 vcc, 0, v1
	s_or_b64 s[2:3], vcc, s[2:3]
.LBB14_4:                               ;   in Loop: Header=BB14_5 Depth=1
	s_and_b64 s[8:9], exec, s[2:3]
	s_or_b64 s[4:5], s[8:9], s[4:5]
	v_mov_b32_e32 v1, s15
	s_mov_b32 s15, s17
	s_andn2_b64 exec, exec, s[4:5]
	s_cbranch_execz .LBB14_10
.LBB14_5:                               ; =>This Inner Loop Header: Depth=1
	s_add_i32 s17, s15, 0xffffff00
	s_or_b64 s[2:3], s[2:3], exec
	s_cmp_lt_i32 s17, 0
	s_cbranch_scc1 .LBB14_4
; %bb.6:                                ;   in Loop: Header=BB14_5 Depth=1
	s_lshr_b32 s2, s17, 1
	v_add_u32_e32 v1, s2, v0
	v_lshlrev_b64 v[12:13], 2, v[1:2]
	v_mov_b32_e32 v1, s14
	v_add_co_u32_e32 v12, vcc, s13, v12
	v_addc_co_u32_e32 v13, vcc, v1, v13, vcc
	global_load_dword v1, v[12:13], off
	v_mov_b32_e32 v12, 0
	s_waitcnt vmcnt(0)
	v_cmp_class_f16_e64 s[8:9], v1, s16
	s_and_saveexec_b64 s[2:3], s[8:9]
; %bb.7:                                ;   in Loop: Header=BB14_5 Depth=1
	v_cmp_class_f16_sdwa s[8:9], v1, s16 src0_sel:WORD_1 src1_sel:DWORD
	v_cndmask_b32_e64 v12, 0, 1, s[8:9]
; %bb.8:                                ;   in Loop: Header=BB14_5 Depth=1
	s_or_b64 exec, exec, s[2:3]
	v_cmp_lt_i32_e32 vcc, v7, v6
	v_cndmask_b32_e32 v1, v5, v7, vcc
	v_lshlrev_b32_e32 v1, 2, v1
	ds_bpermute_b32 v13, v1, v12
	v_cmp_ne_u32_e32 vcc, 0, v12
	s_waitcnt lgkmcnt(0)
	v_cmp_ne_u32_e64 s[2:3], 0, v13
	s_and_b64 s[2:3], vcc, s[2:3]
	v_cmp_lt_i32_e32 vcc, v8, v6
	v_cndmask_b32_e32 v12, v5, v8, vcc
	v_cndmask_b32_e64 v13, 0, 1, s[2:3]
	v_lshlrev_b32_e32 v12, 2, v12
	ds_bpermute_b32 v13, v12, v13
	s_waitcnt lgkmcnt(0)
	v_cmp_ne_u32_e32 vcc, 0, v13
	s_and_b64 s[2:3], vcc, s[2:3]
	v_cmp_lt_i32_e32 vcc, v9, v6
	v_cndmask_b32_e32 v13, v5, v9, vcc
	v_cndmask_b32_e64 v14, 0, 1, s[2:3]
	v_lshlrev_b32_e32 v13, 2, v13
	ds_bpermute_b32 v14, v13, v14
	s_waitcnt lgkmcnt(0)
	v_cmp_ne_u32_e32 vcc, 0, v14
	;; [unrolled: 8-line block ×3, first 2 shown]
	s_and_b64 s[2:3], vcc, s[2:3]
	v_cmp_lt_i32_e32 vcc, v11, v6
	v_cndmask_b32_e32 v15, v5, v11, vcc
	v_cndmask_b32_e64 v16, 0, 1, s[2:3]
	v_lshlrev_b32_e32 v15, 2, v15
	ds_bpermute_b32 v16, v15, v16
	s_and_saveexec_b64 s[8:9], s[0:1]
	s_cbranch_execz .LBB14_3
; %bb.9:                                ;   in Loop: Header=BB14_5 Depth=1
	s_waitcnt lgkmcnt(0)
	v_cmp_ne_u32_e32 vcc, 0, v16
	s_and_b64 s[2:3], vcc, s[2:3]
	v_cndmask_b32_e64 v16, 0, 1, s[2:3]
	ds_write_b32 v3, v16
	s_branch .LBB14_3
.LBB14_10:
	s_or_b64 exec, exec, s[4:5]
	v_cmp_eq_u32_e32 vcc, 0, v0
	s_and_saveexec_b64 s[0:1], vcc
	s_cbranch_execz .LBB14_12
; %bb.11:
	s_mul_i32 s0, s12, s7
	s_add_i32 s0, s0, s6
	s_ashr_i32 s1, s0, 31
	s_lshl_b64 s[0:1], s[0:1], 2
	s_add_u32 s0, s10, s0
	s_addc_u32 s1, s11, s1
	v_mov_b32_e32 v0, 0
	global_store_dword v0, v1, s[0:1]
.LBB14_12:
	s_endpgm
	.section	.rodata,"a",@progbits
	.p2align	6, 0x0
	.amdhsa_kernel _ZL25flash_attn_mask_to_KV_maxILi1EEvPK7__half2Piiii
		.amdhsa_group_segment_fixed_size 128
		.amdhsa_private_segment_fixed_size 0
		.amdhsa_kernarg_size 288
		.amdhsa_user_sgpr_count 6
		.amdhsa_user_sgpr_private_segment_buffer 1
		.amdhsa_user_sgpr_dispatch_ptr 0
		.amdhsa_user_sgpr_queue_ptr 0
		.amdhsa_user_sgpr_kernarg_segment_ptr 1
		.amdhsa_user_sgpr_dispatch_id 0
		.amdhsa_user_sgpr_flat_scratch_init 0
		.amdhsa_user_sgpr_private_segment_size 0
		.amdhsa_uses_dynamic_stack 0
		.amdhsa_system_sgpr_private_segment_wavefront_offset 0
		.amdhsa_system_sgpr_workgroup_id_x 1
		.amdhsa_system_sgpr_workgroup_id_y 1
		.amdhsa_system_sgpr_workgroup_id_z 0
		.amdhsa_system_sgpr_workgroup_info 0
		.amdhsa_system_vgpr_workitem_id 0
		.amdhsa_next_free_vgpr 17
		.amdhsa_next_free_sgpr 18
		.amdhsa_reserve_vcc 1
		.amdhsa_reserve_flat_scratch 0
		.amdhsa_float_round_mode_32 0
		.amdhsa_float_round_mode_16_64 0
		.amdhsa_float_denorm_mode_32 3
		.amdhsa_float_denorm_mode_16_64 3
		.amdhsa_dx10_clamp 1
		.amdhsa_ieee_mode 1
		.amdhsa_fp16_overflow 0
		.amdhsa_exception_fp_ieee_invalid_op 0
		.amdhsa_exception_fp_denorm_src 0
		.amdhsa_exception_fp_ieee_div_zero 0
		.amdhsa_exception_fp_ieee_overflow 0
		.amdhsa_exception_fp_ieee_underflow 0
		.amdhsa_exception_fp_ieee_inexact 0
		.amdhsa_exception_int_div_zero 0
	.end_amdhsa_kernel
	.section	.text._ZL25flash_attn_mask_to_KV_maxILi1EEvPK7__half2Piiii,"axG",@progbits,_ZL25flash_attn_mask_to_KV_maxILi1EEvPK7__half2Piiii,comdat
.Lfunc_end14:
	.size	_ZL25flash_attn_mask_to_KV_maxILi1EEvPK7__half2Piiii, .Lfunc_end14-_ZL25flash_attn_mask_to_KV_maxILi1EEvPK7__half2Piiii
                                        ; -- End function
	.set _ZL25flash_attn_mask_to_KV_maxILi1EEvPK7__half2Piiii.num_vgpr, 17
	.set _ZL25flash_attn_mask_to_KV_maxILi1EEvPK7__half2Piiii.num_agpr, 0
	.set _ZL25flash_attn_mask_to_KV_maxILi1EEvPK7__half2Piiii.numbered_sgpr, 18
	.set _ZL25flash_attn_mask_to_KV_maxILi1EEvPK7__half2Piiii.num_named_barrier, 0
	.set _ZL25flash_attn_mask_to_KV_maxILi1EEvPK7__half2Piiii.private_seg_size, 0
	.set _ZL25flash_attn_mask_to_KV_maxILi1EEvPK7__half2Piiii.uses_vcc, 1
	.set _ZL25flash_attn_mask_to_KV_maxILi1EEvPK7__half2Piiii.uses_flat_scratch, 0
	.set _ZL25flash_attn_mask_to_KV_maxILi1EEvPK7__half2Piiii.has_dyn_sized_stack, 0
	.set _ZL25flash_attn_mask_to_KV_maxILi1EEvPK7__half2Piiii.has_recursion, 0
	.set _ZL25flash_attn_mask_to_KV_maxILi1EEvPK7__half2Piiii.has_indirect_call, 0
	.section	.AMDGPU.csdata,"",@progbits
; Kernel info:
; codeLenInByte = 752
; TotalNumSgprs: 22
; NumVgprs: 17
; ScratchSize: 0
; MemoryBound: 0
; FloatMode: 240
; IeeeMode: 1
; LDSByteSize: 128 bytes/workgroup (compile time only)
; SGPRBlocks: 2
; VGPRBlocks: 4
; NumSGPRsForWavesPerEU: 22
; NumVGPRsForWavesPerEU: 17
; Occupancy: 10
; WaveLimiterHint : 0
; COMPUTE_PGM_RSRC2:SCRATCH_EN: 0
; COMPUTE_PGM_RSRC2:USER_SGPR: 6
; COMPUTE_PGM_RSRC2:TRAP_HANDLER: 0
; COMPUTE_PGM_RSRC2:TGID_X_EN: 1
; COMPUTE_PGM_RSRC2:TGID_Y_EN: 1
; COMPUTE_PGM_RSRC2:TGID_Z_EN: 0
; COMPUTE_PGM_RSRC2:TIDIG_COMP_CNT: 0
	.section	.text._ZL33flash_attn_stream_k_fixup_uniformILi128ELi1ELi8EEvPfPK15HIP_vector_typeIfLj2EEiiiiiiS1_IjLj3EES5_S5_,"axG",@progbits,_ZL33flash_attn_stream_k_fixup_uniformILi128ELi1ELi8EEvPfPK15HIP_vector_typeIfLj2EEiiiiiiS1_IjLj3EES5_S5_,comdat
	.globl	_ZL33flash_attn_stream_k_fixup_uniformILi128ELi1ELi8EEvPfPK15HIP_vector_typeIfLj2EEiiiiiiS1_IjLj3EES5_S5_ ; -- Begin function _ZL33flash_attn_stream_k_fixup_uniformILi128ELi1ELi8EEvPfPK15HIP_vector_typeIfLj2EEiiiiiiS1_IjLj3EES5_S5_
	.p2align	8
	.type	_ZL33flash_attn_stream_k_fixup_uniformILi128ELi1ELi8EEvPfPK15HIP_vector_typeIfLj2EEiiiiiiS1_IjLj3EES5_S5_,@function
_ZL33flash_attn_stream_k_fixup_uniformILi128ELi1ELi8EEvPfPK15HIP_vector_typeIfLj2EEiiiiiiS1_IjLj3EES5_S5_: ; @_ZL33flash_attn_stream_k_fixup_uniformILi128ELi1ELi8EEvPfPK15HIP_vector_typeIfLj2EEiiiiiiS1_IjLj3EES5_S5_
; %bb.0:
	s_load_dwordx8 s[12:19], s[4:5], 0x1c
	s_load_dwordx2 s[10:11], s[4:5], 0x10
	s_load_dwordx4 s[0:3], s[4:5], 0x3c
	s_waitcnt lgkmcnt(0)
	s_mul_hi_u32 s9, s15, s6
	s_add_i32 s9, s6, s9
	s_lshr_b32 s9, s9, s16
	s_mul_i32 s15, s9, s17
	s_sub_i32 s16, s6, s15
	s_mul_hi_u32 s15, s16, s18
	s_add_i32 s15, s16, s15
	s_lshr_b32 s15, s15, s19
	s_mul_i32 s0, s15, s0
	s_sub_i32 s0, s16, s0
	;; [unrolled: 5-line block ×3, first 2 shown]
	s_lshl_b32 s17, s1, 3
	s_add_i32 s16, s16, s7
	s_cmp_lt_i32 s16, s10
	s_cselect_b64 s[0:1], -1, 0
	s_add_i32 s17, s17, s8
	s_cmp_lt_i32 s17, s13
	s_cselect_b64 s[2:3], -1, 0
	s_and_b64 s[0:1], s[0:1], s[2:3]
	s_andn2_b64 vcc, exec, s[0:1]
	s_cbranch_vccnz .LBB15_6
; %bb.1:
	s_mul_i32 s9, s9, s10
	s_load_dwordx4 s[0:3], s[4:5], 0x0
	s_mul_i32 s15, s15, s13
	s_add_i32 s4, s16, s9
	s_mul_i32 s4, s4, s11
	s_add_i32 s5, s17, s15
	s_add_i32 s5, s5, s4
	v_lshl_or_b32 v1, s5, 7, v0
	v_ashrrev_i32_e32 v2, 31, v1
	v_lshlrev_b64 v[1:2], 2, v[1:2]
	s_waitcnt lgkmcnt(0)
	v_mov_b32_e32 v3, s1
	v_add_co_u32_e32 v1, vcc, s0, v1
	v_addc_co_u32_e32 v2, vcc, v3, v2, vcc
	global_load_dword v8, v[1:2], off
	s_mul_i32 s9, s14, s6
	s_add_i32 s4, s9, s14
	s_add_i32 s0, s7, s4
	s_lshl_b32 s0, s0, 3
	s_add_i32 s0, s0, s8
	s_add_i32 s0, s0, -8
	s_ashr_i32 s1, s0, 31
	s_lshl_b64 s[0:1], s[0:1], 3
	s_add_u32 s0, s2, s0
	s_addc_u32 s1, s3, s1
	s_load_dword s5, s[0:1], 0x4
	s_add_i32 s10, s4, -2
	s_cmp_lt_i32 s10, s9
	s_cbranch_scc1 .LBB15_4
; %bb.2:
	s_lshl_b32 s10, s12, 5
	s_ashr_i32 s11, s10, 31
	s_lshl_b64 s[10:11], s[10:11], 2
	s_add_u32 s10, s2, s10
	s_addc_u32 s13, s3, s11
	s_load_dword s0, s[0:1], 0x0
	s_add_i32 s6, s6, 1
	s_lshl_b32 s1, s8, 7
	s_add_i32 s12, s7, s12
	s_mul_i32 s6, s14, s6
	s_lshl_b32 s7, s7, 10
	s_add_i32 s12, s12, s4
	s_lshl_b32 s6, s6, 10
	s_add_i32 s1, s1, s7
	s_add_i32 s11, s4, -1
	s_lshl_b32 s4, s12, 3
	s_add_i32 s1, s1, s6
	s_add_i32 s4, s8, s4
	v_or_b32_e32 v0, s1, v0
	s_add_i32 s4, s4, -16
	v_add_u32_e32 v3, 0xfffff800, v0
	s_waitcnt lgkmcnt(0)
	v_mov_b32_e32 v7, s5
	v_mov_b32_e32 v6, s0
	;; [unrolled: 1-line block ×3, first 2 shown]
	s_mov_b32 s6, 0x3fb8aa3b
	s_mov_b32 s7, 0xc2ce8ed0
	;; [unrolled: 1-line block ×3, first 2 shown]
	v_mov_b32_e32 v5, 0x7f800000
	s_mov_b32 s12, 0xc1a00000
.LBB15_3:                               ; =>This Inner Loop Header: Depth=1
	v_ashrrev_i32_e32 v4, 31, v3
	v_lshlrev_b64 v[9:10], 2, v[3:4]
	s_ashr_i32 s5, s4, 31
	v_add_co_u32_e32 v9, vcc, s10, v9
	v_addc_co_u32_e32 v10, vcc, v0, v10, vcc
	global_load_dword v4, v[9:10], off
	s_lshl_b64 s[0:1], s[4:5], 3
	s_add_u32 s0, s2, s0
	s_addc_u32 s1, s3, s1
	s_load_dwordx2 s[14:15], s[0:1], 0x0
	s_waitcnt vmcnt(1)
	v_mov_b32_e32 v9, v8
	v_max_f32_e32 v8, v6, v6
	v_mov_b32_e32 v10, v7
	s_add_i32 s11, s11, -1
	s_waitcnt lgkmcnt(0)
	v_max_f32_e64 v7, s14, s14
	v_max_f32_e32 v7, v8, v7
	v_sub_f32_e32 v11, s14, v7
	v_sub_f32_e32 v8, v6, v7
	v_mul_f32_e32 v12, 0x3fb8aa3b, v11
	v_mov_b32_e32 v6, v7
	v_mul_f32_e32 v7, 0x3fb8aa3b, v8
	v_fma_f32 v15, v11, s6, -v12
	v_rndne_f32_e32 v16, v12
	v_fma_f32 v13, v8, s6, -v7
	v_rndne_f32_e32 v14, v7
	v_fmac_f32_e32 v15, 0x32a5705f, v11
	v_sub_f32_e32 v12, v12, v16
	v_fmac_f32_e32 v13, 0x32a5705f, v8
	v_sub_f32_e32 v7, v7, v14
	v_add_f32_e32 v12, v12, v15
	v_cvt_i32_f32_e32 v16, v16
	v_add_f32_e32 v7, v7, v13
	v_exp_f32_e32 v12, v12
	v_cvt_i32_f32_e32 v14, v14
	v_exp_f32_e32 v7, v7
	v_cmp_ngt_f32_e32 vcc, s7, v11
	v_ldexp_f32 v12, v12, v16
	v_cmp_ngt_f32_e64 s[0:1], s7, v8
	v_ldexp_f32 v7, v7, v14
	v_cndmask_b32_e32 v12, 0, v12, vcc
	v_cmp_nlt_f32_e32 vcc, s8, v11
	v_cndmask_b32_e64 v7, 0, v7, s[0:1]
	v_cmp_nlt_f32_e64 s[0:1], s8, v8
	v_cndmask_b32_e32 v12, v5, v12, vcc
	v_cmp_le_f32_e32 vcc, s12, v11
	v_cndmask_b32_e64 v7, v5, v7, s[0:1]
	v_cmp_le_f32_e64 s[0:1], s12, v8
	v_cndmask_b32_e32 v8, 0, v12, vcc
	s_add_i32 s4, s4, -8
	v_cndmask_b32_e64 v11, 0, v7, s[0:1]
	v_mul_f32_e32 v7, s15, v8
	v_add_u32_e32 v3, 0xfffffc00, v3
	s_cmp_le_i32 s11, s9
	v_fmac_f32_e32 v7, v10, v11
	s_waitcnt vmcnt(0)
	v_mul_f32_e32 v8, v4, v8
	v_fmac_f32_e32 v8, v9, v11
	s_cbranch_scc0 .LBB15_3
	s_branch .LBB15_5
.LBB15_4:
	s_waitcnt lgkmcnt(0)
	v_mov_b32_e32 v7, s5
.LBB15_5:
	s_waitcnt vmcnt(0)
	v_div_scale_f32 v0, s[0:1], v7, v7, v8
	v_div_scale_f32 v3, vcc, v8, v7, v8
	v_rcp_f32_e32 v4, v0
	v_fma_f32 v5, -v0, v4, 1.0
	v_fmac_f32_e32 v4, v5, v4
	v_mul_f32_e32 v5, v3, v4
	v_fma_f32 v6, -v0, v5, v3
	v_fmac_f32_e32 v5, v6, v4
	v_fma_f32 v0, -v0, v5, v3
	v_div_fmas_f32 v0, v0, v4, v5
	v_div_fixup_f32 v0, v0, v7, v8
	global_store_dword v[1:2], v0, off
.LBB15_6:
	s_endpgm
	.section	.rodata,"a",@progbits
	.p2align	6, 0x0
	.amdhsa_kernel _ZL33flash_attn_stream_k_fixup_uniformILi128ELi1ELi8EEvPfPK15HIP_vector_typeIfLj2EEiiiiiiS1_IjLj3EES5_S5_
		.amdhsa_group_segment_fixed_size 0
		.amdhsa_private_segment_fixed_size 0
		.amdhsa_kernarg_size 76
		.amdhsa_user_sgpr_count 6
		.amdhsa_user_sgpr_private_segment_buffer 1
		.amdhsa_user_sgpr_dispatch_ptr 0
		.amdhsa_user_sgpr_queue_ptr 0
		.amdhsa_user_sgpr_kernarg_segment_ptr 1
		.amdhsa_user_sgpr_dispatch_id 0
		.amdhsa_user_sgpr_flat_scratch_init 0
		.amdhsa_user_sgpr_private_segment_size 0
		.amdhsa_uses_dynamic_stack 0
		.amdhsa_system_sgpr_private_segment_wavefront_offset 0
		.amdhsa_system_sgpr_workgroup_id_x 1
		.amdhsa_system_sgpr_workgroup_id_y 1
		.amdhsa_system_sgpr_workgroup_id_z 1
		.amdhsa_system_sgpr_workgroup_info 0
		.amdhsa_system_vgpr_workitem_id 0
		.amdhsa_next_free_vgpr 17
		.amdhsa_next_free_sgpr 20
		.amdhsa_reserve_vcc 1
		.amdhsa_reserve_flat_scratch 0
		.amdhsa_float_round_mode_32 0
		.amdhsa_float_round_mode_16_64 0
		.amdhsa_float_denorm_mode_32 3
		.amdhsa_float_denorm_mode_16_64 3
		.amdhsa_dx10_clamp 1
		.amdhsa_ieee_mode 1
		.amdhsa_fp16_overflow 0
		.amdhsa_exception_fp_ieee_invalid_op 0
		.amdhsa_exception_fp_denorm_src 0
		.amdhsa_exception_fp_ieee_div_zero 0
		.amdhsa_exception_fp_ieee_overflow 0
		.amdhsa_exception_fp_ieee_underflow 0
		.amdhsa_exception_fp_ieee_inexact 0
		.amdhsa_exception_int_div_zero 0
	.end_amdhsa_kernel
	.section	.text._ZL33flash_attn_stream_k_fixup_uniformILi128ELi1ELi8EEvPfPK15HIP_vector_typeIfLj2EEiiiiiiS1_IjLj3EES5_S5_,"axG",@progbits,_ZL33flash_attn_stream_k_fixup_uniformILi128ELi1ELi8EEvPfPK15HIP_vector_typeIfLj2EEiiiiiiS1_IjLj3EES5_S5_,comdat
.Lfunc_end15:
	.size	_ZL33flash_attn_stream_k_fixup_uniformILi128ELi1ELi8EEvPfPK15HIP_vector_typeIfLj2EEiiiiiiS1_IjLj3EES5_S5_, .Lfunc_end15-_ZL33flash_attn_stream_k_fixup_uniformILi128ELi1ELi8EEvPfPK15HIP_vector_typeIfLj2EEiiiiiiS1_IjLj3EES5_S5_
                                        ; -- End function
	.set _ZL33flash_attn_stream_k_fixup_uniformILi128ELi1ELi8EEvPfPK15HIP_vector_typeIfLj2EEiiiiiiS1_IjLj3EES5_S5_.num_vgpr, 17
	.set _ZL33flash_attn_stream_k_fixup_uniformILi128ELi1ELi8EEvPfPK15HIP_vector_typeIfLj2EEiiiiiiS1_IjLj3EES5_S5_.num_agpr, 0
	.set _ZL33flash_attn_stream_k_fixup_uniformILi128ELi1ELi8EEvPfPK15HIP_vector_typeIfLj2EEiiiiiiS1_IjLj3EES5_S5_.numbered_sgpr, 20
	.set _ZL33flash_attn_stream_k_fixup_uniformILi128ELi1ELi8EEvPfPK15HIP_vector_typeIfLj2EEiiiiiiS1_IjLj3EES5_S5_.num_named_barrier, 0
	.set _ZL33flash_attn_stream_k_fixup_uniformILi128ELi1ELi8EEvPfPK15HIP_vector_typeIfLj2EEiiiiiiS1_IjLj3EES5_S5_.private_seg_size, 0
	.set _ZL33flash_attn_stream_k_fixup_uniformILi128ELi1ELi8EEvPfPK15HIP_vector_typeIfLj2EEiiiiiiS1_IjLj3EES5_S5_.uses_vcc, 1
	.set _ZL33flash_attn_stream_k_fixup_uniformILi128ELi1ELi8EEvPfPK15HIP_vector_typeIfLj2EEiiiiiiS1_IjLj3EES5_S5_.uses_flat_scratch, 0
	.set _ZL33flash_attn_stream_k_fixup_uniformILi128ELi1ELi8EEvPfPK15HIP_vector_typeIfLj2EEiiiiiiS1_IjLj3EES5_S5_.has_dyn_sized_stack, 0
	.set _ZL33flash_attn_stream_k_fixup_uniformILi128ELi1ELi8EEvPfPK15HIP_vector_typeIfLj2EEiiiiiiS1_IjLj3EES5_S5_.has_recursion, 0
	.set _ZL33flash_attn_stream_k_fixup_uniformILi128ELi1ELi8EEvPfPK15HIP_vector_typeIfLj2EEiiiiiiS1_IjLj3EES5_S5_.has_indirect_call, 0
	.section	.AMDGPU.csdata,"",@progbits
; Kernel info:
; codeLenInByte = 828
; TotalNumSgprs: 24
; NumVgprs: 17
; ScratchSize: 0
; MemoryBound: 0
; FloatMode: 240
; IeeeMode: 1
; LDSByteSize: 0 bytes/workgroup (compile time only)
; SGPRBlocks: 2
; VGPRBlocks: 4
; NumSGPRsForWavesPerEU: 24
; NumVGPRsForWavesPerEU: 17
; Occupancy: 10
; WaveLimiterHint : 0
; COMPUTE_PGM_RSRC2:SCRATCH_EN: 0
; COMPUTE_PGM_RSRC2:USER_SGPR: 6
; COMPUTE_PGM_RSRC2:TRAP_HANDLER: 0
; COMPUTE_PGM_RSRC2:TGID_X_EN: 1
; COMPUTE_PGM_RSRC2:TGID_Y_EN: 1
; COMPUTE_PGM_RSRC2:TGID_Z_EN: 1
; COMPUTE_PGM_RSRC2:TIDIG_COMP_CNT: 0
	.section	.text._ZL33flash_attn_stream_k_fixup_generalILi128ELi1ELi8EEvPfPK15HIP_vector_typeIfLj2EEiiiiS1_IjLj3EES5_S5_S5_,"axG",@progbits,_ZL33flash_attn_stream_k_fixup_generalILi128ELi1ELi8EEvPfPK15HIP_vector_typeIfLj2EEiiiiS1_IjLj3EES5_S5_S5_,comdat
	.globl	_ZL33flash_attn_stream_k_fixup_generalILi128ELi1ELi8EEvPfPK15HIP_vector_typeIfLj2EEiiiiS1_IjLj3EES5_S5_S5_ ; -- Begin function _ZL33flash_attn_stream_k_fixup_generalILi128ELi1ELi8EEvPfPK15HIP_vector_typeIfLj2EEiiiiS1_IjLj3EES5_S5_S5_
	.p2align	8
	.type	_ZL33flash_attn_stream_k_fixup_generalILi128ELi1ELi8EEvPfPK15HIP_vector_typeIfLj2EEiiiiS1_IjLj3EES5_S5_S5_,@function
_ZL33flash_attn_stream_k_fixup_generalILi128ELi1ELi8EEvPfPK15HIP_vector_typeIfLj2EEiiiiS1_IjLj3EES5_S5_S5_: ; @_ZL33flash_attn_stream_k_fixup_generalILi128ELi1ELi8EEvPfPK15HIP_vector_typeIfLj2EEiiiiS1_IjLj3EES5_S5_S5_
; %bb.0:
	s_load_dwordx4 s[0:3], s[4:5], 0x10
	s_load_dword s9, s[4:5], 0x50
	s_mov_b32 s12, 0
	s_waitcnt lgkmcnt(0)
	s_mul_hi_i32 s13, s3, s6
	s_cmp_lg_u64 s[12:13], 0
	s_mul_i32 s18, s3, s6
	s_cbranch_scc0 .LBB16_20
; %bb.1:
	s_add_u32 s10, s9, 0
	s_addc_u32 s11, 0, 0
	s_xor_b64 s[10:11], s[10:11], 0
	v_cvt_f32_u32_e32 v1, s10
	v_cvt_f32_u32_e32 v2, s11
	s_sub_u32 s12, 0, s10
	s_subb_u32 s19, 0, s11
	v_madmk_f32 v1, v2, 0x4f800000, v1
	v_rcp_f32_e32 v1, v1
	v_mul_f32_e32 v1, 0x5f7ffffc, v1
	v_mul_f32_e32 v2, 0x2f800000, v1
	v_trunc_f32_e32 v2, v2
	v_madmk_f32 v1, v2, 0xcf800000, v1
	v_cvt_u32_f32_e32 v2, v2
	v_cvt_u32_f32_e32 v1, v1
	v_readfirstlane_b32 s20, v2
	v_readfirstlane_b32 s14, v1
	s_mul_i32 s15, s12, s20
	s_mul_hi_u32 s22, s12, s14
	s_mul_i32 s21, s19, s14
	s_add_i32 s15, s22, s15
	s_add_i32 s15, s15, s21
	s_mul_i32 s23, s12, s14
	s_mul_i32 s22, s14, s15
	s_mul_hi_u32 s24, s14, s23
	s_mul_hi_u32 s21, s14, s15
	s_add_u32 s22, s24, s22
	s_addc_u32 s21, 0, s21
	s_mul_hi_u32 s25, s20, s23
	s_mul_i32 s23, s20, s23
	s_add_u32 s22, s22, s23
	s_mul_hi_u32 s24, s20, s15
	s_addc_u32 s21, s21, s25
	s_addc_u32 s22, s24, 0
	s_mul_i32 s15, s20, s15
	s_add_u32 s15, s21, s15
	s_addc_u32 s21, 0, s22
	s_add_u32 s22, s14, s15
	s_cselect_b64 s[14:15], -1, 0
	s_cmp_lg_u64 s[14:15], 0
	s_addc_u32 s20, s20, s21
	s_mul_i32 s14, s12, s20
	s_mul_hi_u32 s15, s12, s22
	s_add_i32 s14, s15, s14
	s_mul_i32 s19, s19, s22
	s_add_i32 s14, s14, s19
	s_mul_i32 s12, s12, s22
	s_mul_hi_u32 s19, s20, s12
	s_mul_i32 s21, s20, s12
	s_mul_i32 s24, s22, s14
	s_mul_hi_u32 s12, s22, s12
	s_mul_hi_u32 s23, s22, s14
	s_add_u32 s12, s12, s24
	s_addc_u32 s23, 0, s23
	s_add_u32 s12, s12, s21
	s_mul_hi_u32 s15, s20, s14
	s_addc_u32 s12, s23, s19
	s_addc_u32 s15, s15, 0
	s_mul_i32 s14, s20, s14
	s_add_u32 s12, s12, s14
	s_addc_u32 s19, 0, s15
	s_add_u32 s21, s22, s12
	s_cselect_b64 s[14:15], -1, 0
	s_cmp_lg_u64 s[14:15], 0
	s_addc_u32 s19, s20, s19
	s_ashr_i32 s14, s13, 31
	s_add_u32 s12, s18, s14
	s_mov_b32 s15, s14
	s_addc_u32 s13, s13, s14
	s_xor_b64 s[12:13], s[12:13], s[14:15]
	s_mul_i32 s22, s12, s19
	s_mul_hi_u32 s23, s12, s21
	s_mul_hi_u32 s20, s12, s19
	s_add_u32 s22, s23, s22
	s_addc_u32 s20, 0, s20
	s_mul_hi_u32 s24, s13, s21
	s_mul_i32 s21, s13, s21
	s_add_u32 s21, s22, s21
	s_mul_hi_u32 s23, s13, s19
	s_addc_u32 s20, s20, s24
	s_addc_u32 s21, s23, 0
	s_mul_i32 s19, s13, s19
	s_add_u32 s19, s20, s19
	s_addc_u32 s24, 0, s21
	s_mul_i32 s20, s10, s24
	s_mul_hi_u32 s21, s10, s19
	s_add_i32 s20, s21, s20
	s_mul_i32 s21, s11, s19
	s_add_i32 s25, s20, s21
	s_sub_i32 s22, s13, s25
	s_mul_i32 s20, s10, s19
	s_sub_u32 s12, s12, s20
	s_cselect_b64 s[20:21], -1, 0
	s_cmp_lg_u64 s[20:21], 0
	s_subb_u32 s26, s22, s11
	s_sub_u32 s27, s12, s10
	s_cselect_b64 s[22:23], -1, 0
	s_cmp_lg_u64 s[22:23], 0
	s_subb_u32 s22, s26, 0
	s_cmp_ge_u32 s22, s11
	s_cselect_b32 s23, -1, 0
	s_cmp_ge_u32 s27, s10
	s_cselect_b32 s26, -1, 0
	s_cmp_eq_u32 s22, s11
	s_cselect_b32 s22, s26, s23
	s_add_u32 s23, s19, 1
	s_addc_u32 s26, s24, 0
	s_add_u32 s27, s19, 2
	s_addc_u32 s28, s24, 0
	s_cmp_lg_u32 s22, 0
	s_cselect_b32 s22, s27, s23
	s_cselect_b32 s23, s28, s26
	s_cmp_lg_u64 s[20:21], 0
	s_subb_u32 s13, s13, s25
	s_cmp_ge_u32 s13, s11
	s_cselect_b32 s20, -1, 0
	s_cmp_ge_u32 s12, s10
	s_cselect_b32 s10, -1, 0
	s_cmp_eq_u32 s13, s11
	s_cselect_b32 s10, s10, s20
	s_cmp_lg_u32 s10, 0
	s_cselect_b32 s11, s23, s24
	s_cselect_b32 s10, s22, s19
	s_xor_b64 s[12:13], s[14:15], 0
	s_xor_b64 s[10:11], s[10:11], s[12:13]
	s_sub_u32 s10, s10, s12
	s_load_dwordx4 s[12:15], s[4:5], 0x44
	s_cbranch_execnz .LBB16_3
.LBB16_2:
	v_cvt_f32_u32_e32 v1, s9
	s_sub_i32 s10, 0, s9
	v_rcp_iflag_f32_e32 v1, v1
	v_mul_f32_e32 v1, 0x4f7ffffe, v1
	v_cvt_u32_f32_e32 v1, v1
	v_readfirstlane_b32 s11, v1
	s_mul_i32 s10, s10, s11
	s_mul_hi_u32 s10, s11, s10
	s_add_i32 s11, s11, s10
	s_mul_hi_u32 s10, s18, s11
	s_waitcnt lgkmcnt(0)
	s_mul_i32 s15, s10, s9
	s_sub_i32 s15, s18, s15
	s_add_i32 s11, s10, 1
	s_sub_i32 s16, s15, s9
	s_cmp_ge_u32 s15, s9
	s_cselect_b32 s10, s11, s10
	s_cselect_b32 s15, s16, s15
	s_add_i32 s11, s10, 1
	s_cmp_ge_u32 s15, s9
	s_cselect_b32 s10, s11, s10
.LBB16_3:
	s_add_i32 s11, s6, 1
	s_mul_hi_i32 s21, s3, s11
	s_mov_b32 s20, 0
	s_cmp_lg_u64 s[20:21], 0
	s_mul_i32 s11, s3, s11
	s_cbranch_scc0 .LBB16_21
; %bb.4:
	s_add_u32 s16, s9, 0
	s_addc_u32 s17, 0, 0
	s_xor_b64 s[18:19], s[16:17], 0
	v_cvt_f32_u32_e32 v1, s18
	v_cvt_f32_u32_e32 v2, s19
	s_waitcnt lgkmcnt(0)
	s_sub_u32 s15, 0, s18
	s_subb_u32 s20, 0, s19
	v_madmk_f32 v1, v2, 0x4f800000, v1
	v_rcp_f32_e32 v1, v1
	v_mul_f32_e32 v1, 0x5f7ffffc, v1
	v_mul_f32_e32 v2, 0x2f800000, v1
	v_trunc_f32_e32 v2, v2
	v_madmk_f32 v1, v2, 0xcf800000, v1
	v_cvt_u32_f32_e32 v2, v2
	v_cvt_u32_f32_e32 v1, v1
	v_readfirstlane_b32 s24, v2
	v_readfirstlane_b32 s22, v1
	s_mul_i32 s23, s15, s24
	s_mul_hi_u32 s26, s15, s22
	s_mul_i32 s25, s20, s22
	s_add_i32 s23, s26, s23
	s_add_i32 s23, s23, s25
	s_mul_i32 s27, s15, s22
	s_mul_i32 s26, s22, s23
	s_mul_hi_u32 s28, s22, s27
	s_mul_hi_u32 s25, s22, s23
	s_add_u32 s26, s28, s26
	s_addc_u32 s25, 0, s25
	s_mul_hi_u32 s29, s24, s27
	s_mul_i32 s27, s24, s27
	s_add_u32 s26, s26, s27
	s_mul_hi_u32 s28, s24, s23
	s_addc_u32 s25, s25, s29
	s_addc_u32 s26, s28, 0
	s_mul_i32 s23, s24, s23
	s_add_u32 s23, s25, s23
	s_addc_u32 s25, 0, s26
	s_add_u32 s26, s22, s23
	s_cselect_b64 s[22:23], -1, 0
	s_cmp_lg_u64 s[22:23], 0
	s_addc_u32 s24, s24, s25
	s_mul_i32 s22, s15, s24
	s_mul_hi_u32 s23, s15, s26
	s_add_i32 s22, s23, s22
	s_mul_i32 s20, s20, s26
	s_add_i32 s22, s22, s20
	s_mul_i32 s15, s15, s26
	s_mul_hi_u32 s23, s24, s15
	s_mul_i32 s25, s24, s15
	s_mul_i32 s28, s26, s22
	s_mul_hi_u32 s15, s26, s15
	s_mul_hi_u32 s27, s26, s22
	s_add_u32 s15, s15, s28
	s_addc_u32 s27, 0, s27
	s_add_u32 s15, s15, s25
	s_mul_hi_u32 s20, s24, s22
	s_addc_u32 s15, s27, s23
	s_addc_u32 s20, s20, 0
	s_mul_i32 s22, s24, s22
	s_add_u32 s15, s15, s22
	s_addc_u32 s20, 0, s20
	s_add_u32 s15, s26, s15
	s_cselect_b64 s[22:23], -1, 0
	s_cmp_lg_u64 s[22:23], 0
	s_addc_u32 s24, s24, s20
	s_ashr_i32 s22, s21, 31
	s_add_u32 s20, s11, s22
	s_mov_b32 s23, s22
	s_addc_u32 s21, s21, s22
	s_xor_b64 s[20:21], s[20:21], s[22:23]
	s_mul_i32 s26, s20, s24
	s_mul_hi_u32 s27, s20, s15
	s_mul_hi_u32 s25, s20, s24
	s_add_u32 s26, s27, s26
	s_addc_u32 s25, 0, s25
	s_mul_hi_u32 s28, s21, s15
	s_mul_i32 s15, s21, s15
	s_add_u32 s15, s26, s15
	s_mul_hi_u32 s27, s21, s24
	s_addc_u32 s15, s25, s28
	s_addc_u32 s25, s27, 0
	s_mul_i32 s24, s21, s24
	s_add_u32 s15, s15, s24
	s_addc_u32 s28, 0, s25
	s_mul_i32 s24, s18, s28
	s_mul_hi_u32 s25, s18, s15
	s_add_i32 s24, s25, s24
	s_mul_i32 s25, s19, s15
	s_add_i32 s29, s24, s25
	s_sub_i32 s26, s21, s29
	s_mul_i32 s24, s18, s15
	s_sub_u32 s20, s20, s24
	s_cselect_b64 s[24:25], -1, 0
	s_cmp_lg_u64 s[24:25], 0
	s_subb_u32 s30, s26, s19
	s_sub_u32 s31, s20, s18
	s_cselect_b64 s[26:27], -1, 0
	s_cmp_lg_u64 s[26:27], 0
	s_subb_u32 s26, s30, 0
	s_cmp_ge_u32 s26, s19
	s_cselect_b32 s27, -1, 0
	s_cmp_ge_u32 s31, s18
	s_cselect_b32 s30, -1, 0
	s_cmp_eq_u32 s26, s19
	s_cselect_b32 s26, s30, s27
	s_add_u32 s27, s15, 1
	s_addc_u32 s30, s28, 0
	s_add_u32 s31, s15, 2
	s_addc_u32 s33, s28, 0
	s_cmp_lg_u32 s26, 0
	s_cselect_b32 s26, s31, s27
	s_cselect_b32 s27, s33, s30
	s_cmp_lg_u64 s[24:25], 0
	s_subb_u32 s21, s21, s29
	s_cmp_ge_u32 s21, s19
	s_cselect_b32 s24, -1, 0
	s_cmp_ge_u32 s20, s18
	s_cselect_b32 s18, -1, 0
	s_cmp_eq_u32 s21, s19
	s_cselect_b32 s18, s18, s24
	s_cmp_lg_u32 s18, 0
	s_cselect_b32 s19, s27, s28
	s_cselect_b32 s18, s26, s15
	s_xor_b64 s[20:21], s[22:23], 0
	s_xor_b64 s[18:19], s[18:19], s[20:21]
	s_sub_u32 s18, s18, s20
	s_cbranch_execnz .LBB16_6
.LBB16_5:
	v_cvt_f32_u32_e32 v1, s9
	s_waitcnt lgkmcnt(0)
	s_sub_i32 s15, 0, s9
	v_rcp_iflag_f32_e32 v1, v1
	v_mul_f32_e32 v1, 0x4f7ffffe, v1
	v_cvt_u32_f32_e32 v1, v1
	v_readfirstlane_b32 s16, v1
	s_mul_i32 s15, s15, s16
	s_mul_hi_u32 s15, s16, s15
	s_add_i32 s16, s16, s15
	s_mul_hi_u32 s15, s11, s16
	s_mul_i32 s17, s15, s9
	s_sub_i32 s11, s11, s17
	s_add_i32 s16, s15, 1
	s_sub_i32 s17, s11, s9
	s_cmp_ge_u32 s11, s9
	s_cselect_b32 s15, s16, s15
	s_cselect_b32 s11, s17, s11
	s_add_i32 s16, s15, 1
	s_cmp_ge_u32 s11, s9
	s_cselect_b32 s18, s16, s15
.LBB16_6:
	s_cmp_eq_u32 s10, s18
	s_waitcnt lgkmcnt(0)
	s_mul_hi_u32 s11, s10, s12
	s_cselect_b64 s[16:17], -1, 0
	s_add_i32 s11, s11, s10
	s_lshr_b32 s11, s11, s13
	s_mul_i32 s15, s11, s14
	s_cmp_eq_u32 s15, s10
	s_mul_hi_u32 s15, s18, s12
	s_cselect_b64 s[20:21], -1, 0
	s_add_i32 s15, s15, s18
	s_lshr_b32 s15, s15, s13
	s_cmp_eq_u32 s11, s15
	s_mul_i32 s15, s15, s14
	s_cselect_b64 s[22:23], -1, 0
	s_cmp_lg_u32 s15, s18
	s_cselect_b64 s[18:19], -1, 0
	s_and_b64 s[18:19], s[22:23], s[18:19]
	s_or_b64 s[16:17], s[16:17], s[20:21]
	s_or_b64 s[16:17], s[16:17], s[18:19]
	s_and_b64 vcc, exec, s[16:17]
	s_cbranch_vccnz .LBB16_23
; %bb.7:
	s_load_dwordx8 s[20:27], s[4:5], 0x20
	s_load_dword s15, s[4:5], 0x40
	s_waitcnt lgkmcnt(0)
	s_mul_hi_u32 s16, s10, s20
	s_add_i32 s16, s16, s10
	s_lshr_b32 s20, s16, s21
	s_mul_i32 s16, s20, s22
	s_sub_i32 s16, s10, s16
	s_mul_hi_u32 s17, s16, s23
	s_add_i32 s17, s16, s17
	s_lshr_b32 s21, s17, s24
	s_mul_i32 s17, s21, s25
	s_sub_i32 s16, s16, s17
	;; [unrolled: 5-line block ×3, first 2 shown]
	s_mul_hi_u32 s16, s15, s12
	s_add_i32 s15, s15, s16
	s_lshr_b32 s23, s15, s13
	s_lshl_b32 s24, s17, 3
	s_add_i32 s23, s23, s7
	s_cmp_lt_i32 s23, s0
	s_cselect_b64 s[16:17], -1, 0
	s_add_i32 s24, s24, s8
	s_cmp_lt_i32 s24, s2
	s_cselect_b64 s[18:19], -1, 0
	s_and_b64 s[16:17], s[16:17], s[18:19]
	s_andn2_b64 vcc, exec, s[16:17]
	s_cbranch_vccnz .LBB16_23
; %bb.8:
	s_load_dwordx4 s[16:19], s[4:5], 0x0
	s_mov_b32 s4, 0
	s_lshl_b32 s26, s9, 5
	s_mov_b32 s27, s4
	s_lshl_b64 s[26:27], s[26:27], 2
	s_waitcnt lgkmcnt(0)
	s_add_u32 s15, s18, s26
	s_mul_i32 s20, s20, s0
	s_addc_u32 s22, s19, s27
	s_mul_i32 s21, s21, s2
	s_add_i32 s0, s23, s20
	s_mul_i32 s0, s0, s1
	s_add_i32 s1, s24, s21
	s_add_i32 s1, s1, s0
	v_lshl_or_b32 v1, s1, 7, v0
	v_ashrrev_i32_e32 v2, 31, v1
	v_lshlrev_b64 v[1:2], 2, v[1:2]
	v_mov_b32_e32 v3, s17
	v_add_co_u32_e32 v1, vcc, s16, v1
	v_addc_co_u32_e32 v2, vcc, v3, v2, vcc
	global_load_dword v3, v[1:2], off
	s_add_i32 s0, s7, s6
	v_cvt_f32_u32_e32 v4, s9
	s_lshl_b32 s0, s0, 3
	s_add_i32 s0, s0, s8
	s_ashr_i32 s1, s0, 31
	s_lshl_b64 s[0:1], s[0:1], 3
	v_rcp_iflag_f32_e32 v4, v4
	s_add_u32 s0, s18, s0
	s_addc_u32 s1, s19, s1
	s_load_dwordx2 s[0:1], s[0:1], 0x0
	v_mul_f32_e32 v4, 0x4f7ffffe, v4
	v_cvt_u32_f32_e32 v4, v4
	s_add_i32 s25, s6, -1
	v_lshl_or_b32 v0, s8, 7, v0
	s_waitcnt lgkmcnt(0)
	v_mov_b32_e32 v6, s1
	v_mov_b32_e32 v7, s0
	s_mov_b32 s2, 0x3fb8aa3b
	s_mov_b32 s6, 0xc2ce8ed0
	;; [unrolled: 1-line block ×4, first 2 shown]
	v_mov_b32_e32 v5, 0x7f800000
	s_mul_hi_i32 s5, s25, s3
	s_cmp_lg_u64 s[4:5], 0
	s_mul_i32 s20, s25, s3
	s_cbranch_scc0 .LBB16_19
.LBB16_9:
	s_add_u32 s0, s9, 0
	s_addc_u32 s1, 0, 0
	s_xor_b64 s[0:1], s[0:1], 0
	v_cvt_f32_u32_e32 v8, s0
	v_cvt_f32_u32_e32 v9, s1
	s_sub_u32 s21, 0, s0
	s_subb_u32 s26, 0, s1
	v_mac_f32_e32 v8, 0x4f800000, v9
	v_rcp_f32_e32 v8, v8
	v_mul_f32_e32 v8, 0x5f7ffffc, v8
	v_mul_f32_e32 v9, 0x2f800000, v8
	v_trunc_f32_e32 v9, v9
	v_mac_f32_e32 v8, 0xcf800000, v9
	v_cvt_u32_f32_e32 v9, v9
	v_cvt_u32_f32_e32 v8, v8
	v_readfirstlane_b32 s27, v9
	v_readfirstlane_b32 s16, v8
	s_mul_i32 s17, s21, s27
	s_mul_hi_u32 s29, s21, s16
	s_mul_i32 s28, s26, s16
	s_add_i32 s17, s29, s17
	s_mul_i32 s30, s21, s16
	s_add_i32 s17, s17, s28
	s_mul_i32 s29, s16, s17
	s_mul_hi_u32 s31, s16, s30
	s_mul_hi_u32 s28, s16, s17
	s_add_u32 s29, s31, s29
	s_addc_u32 s28, 0, s28
	s_mul_hi_u32 s33, s27, s30
	s_mul_i32 s30, s27, s30
	s_add_u32 s29, s29, s30
	s_mul_hi_u32 s31, s27, s17
	s_addc_u32 s28, s28, s33
	s_addc_u32 s29, s31, 0
	s_mul_i32 s17, s27, s17
	s_add_u32 s17, s28, s17
	s_addc_u32 s28, 0, s29
	s_add_u32 s29, s16, s17
	s_cselect_b64 s[16:17], -1, 0
	s_cmp_lg_u64 s[16:17], 0
	s_addc_u32 s27, s27, s28
	s_mul_i32 s16, s21, s27
	s_mul_hi_u32 s17, s21, s29
	s_add_i32 s16, s17, s16
	s_mul_i32 s26, s26, s29
	s_add_i32 s16, s16, s26
	s_mul_i32 s21, s21, s29
	s_mul_hi_u32 s26, s27, s21
	s_mul_i32 s28, s27, s21
	s_mul_i32 s31, s29, s16
	s_mul_hi_u32 s21, s29, s21
	s_mul_hi_u32 s30, s29, s16
	s_add_u32 s21, s21, s31
	s_addc_u32 s30, 0, s30
	s_add_u32 s21, s21, s28
	s_mul_hi_u32 s17, s27, s16
	s_addc_u32 s21, s30, s26
	s_addc_u32 s17, s17, 0
	s_mul_i32 s16, s27, s16
	s_add_u32 s16, s21, s16
	s_addc_u32 s21, 0, s17
	s_add_u32 s28, s29, s16
	s_cselect_b64 s[16:17], -1, 0
	s_cmp_lg_u64 s[16:17], 0
	s_addc_u32 s21, s27, s21
	s_ashr_i32 s16, s5, 31
	s_add_u32 s26, s20, s16
	s_mov_b32 s17, s16
	s_addc_u32 s27, s5, s16
	s_xor_b64 s[26:27], s[26:27], s[16:17]
	s_mul_i32 s29, s26, s21
	s_mul_hi_u32 s30, s26, s28
	s_mul_hi_u32 s5, s26, s21
	s_add_u32 s29, s30, s29
	s_addc_u32 s5, 0, s5
	s_mul_hi_u32 s31, s27, s28
	s_mul_i32 s28, s27, s28
	s_add_u32 s28, s29, s28
	s_mul_hi_u32 s30, s27, s21
	s_addc_u32 s5, s5, s31
	s_addc_u32 s28, s30, 0
	s_mul_i32 s21, s27, s21
	s_add_u32 s5, s5, s21
	s_addc_u32 s21, 0, s28
	s_mul_i32 s28, s0, s21
	s_mul_hi_u32 s29, s0, s5
	s_add_i32 s28, s29, s28
	s_mul_i32 s29, s1, s5
	s_add_i32 s33, s28, s29
	s_sub_i32 s30, s27, s33
	s_mul_i32 s28, s0, s5
	s_sub_u32 s26, s26, s28
	s_cselect_b64 s[28:29], -1, 0
	s_cmp_lg_u64 s[28:29], 0
	s_subb_u32 s34, s30, s1
	s_sub_u32 s35, s26, s0
	s_cselect_b64 s[30:31], -1, 0
	s_cmp_lg_u64 s[30:31], 0
	s_subb_u32 s30, s34, 0
	s_cmp_ge_u32 s30, s1
	s_cselect_b32 s31, -1, 0
	s_cmp_ge_u32 s35, s0
	s_cselect_b32 s34, -1, 0
	s_cmp_eq_u32 s30, s1
	s_cselect_b32 s30, s34, s31
	s_add_u32 s31, s5, 1
	s_addc_u32 s34, s21, 0
	s_add_u32 s35, s5, 2
	s_addc_u32 s36, s21, 0
	s_cmp_lg_u32 s30, 0
	s_cselect_b32 s30, s35, s31
	s_cselect_b32 s31, s36, s34
	s_cmp_lg_u64 s[28:29], 0
	s_subb_u32 s27, s27, s33
	s_cmp_ge_u32 s27, s1
	s_cselect_b32 s28, -1, 0
	s_cmp_ge_u32 s26, s0
	s_cselect_b32 s0, -1, 0
	s_cmp_eq_u32 s27, s1
	s_cselect_b32 s0, s0, s28
	s_cmp_lg_u32 s0, 0
	s_cselect_b32 s1, s31, s21
	s_cselect_b32 s0, s30, s5
	s_xor_b64 s[16:17], s[16:17], 0
	s_xor_b64 s[0:1], s[0:1], s[16:17]
	s_sub_u32 s16, s0, s16
	s_cbranch_execnz .LBB16_11
.LBB16_10:
	s_sub_i32 s0, 0, s9
	v_readfirstlane_b32 s1, v4
	s_mul_i32 s0, s0, s1
	s_mul_hi_u32 s0, s1, s0
	s_add_i32 s1, s1, s0
	s_mul_hi_u32 s0, s20, s1
	s_mul_i32 s5, s0, s9
	s_sub_i32 s5, s20, s5
	s_add_i32 s1, s0, 1
	s_sub_i32 s16, s5, s9
	s_cmp_ge_u32 s5, s9
	s_cselect_b32 s0, s1, s0
	s_cselect_b32 s5, s16, s5
	s_add_i32 s1, s0, 1
	s_cmp_ge_u32 s5, s9
	s_cselect_b32 s16, s1, s0
.LBB16_11:
	s_cmp_lg_u32 s10, s16
	s_mov_b64 s[20:21], -1
                                        ; implicit-def: $sgpr0_sgpr1
                                        ; implicit-def: $vgpr10
                                        ; implicit-def: $vgpr8
                                        ; implicit-def: $vgpr9
                                        ; implicit-def: $sgpr5
                                        ; implicit-def: $sgpr17
	s_cbranch_scc1 .LBB16_14
; %bb.12:
	s_andn2_b64 vcc, exec, s[20:21]
	s_cbranch_vccz .LBB16_17
.LBB16_13:
	s_andn2_b64 vcc, exec, s[0:1]
	s_cbranch_vccnz .LBB16_18
	s_branch .LBB16_22
.LBB16_14:
	s_add_i32 s26, s25, s7
	s_add_i32 s0, s26, s9
	s_lshl_b32 s0, s0, 3
	s_add_i32 s0, s0, s8
	s_mov_b32 s1, s4
	s_lshl_b64 s[0:1], s[0:1], 3
	s_add_u32 s20, s18, s0
	s_mul_hi_u32 s0, s16, s12
	s_addc_u32 s21, s19, s1
	s_add_i32 s0, s0, s16
	s_lshr_b32 s5, s0, s13
	s_mul_i32 s0, s5, s14
	s_cmp_eq_u32 s0, s16
	s_cselect_b64 s[0:1], -1, 0
	s_cmp_lt_u32 s5, s11
	s_cselect_b64 s[28:29], -1, 0
	s_or_b64 s[28:29], s[28:29], s[0:1]
	s_mov_b64 s[0:1], -1
	s_and_b64 vcc, exec, s[28:29]
	s_mov_b32 s5, s25
	s_mov_b32 s17, s10
	s_cbranch_vccnz .LBB16_16
; %bb.15:
	s_add_i32 s5, s25, -1
	s_mov_b64 s[0:1], 0
	s_mov_b32 s17, s16
.LBB16_16:
	v_lshl_add_u32 v8, s26, 10, v0
	v_ashrrev_i32_e32 v9, 31, v8
	v_lshlrev_b64 v[8:9], 2, v[8:9]
	v_mov_b32_e32 v10, s22
	v_add_co_u32_e32 v8, vcc, s15, v8
	v_addc_co_u32_e32 v9, vcc, v10, v9, vcc
	global_load_dword v10, v[8:9], off
	s_load_dwordx2 s[20:21], s[20:21], 0x0
	v_max_f32_e32 v8, v7, v7
	s_waitcnt lgkmcnt(0)
	v_max_f32_e64 v9, s20, s20
	v_max_f32_e32 v8, v8, v9
	v_sub_f32_e32 v9, v7, v8
	v_sub_f32_e32 v11, s20, v8
	v_mul_f32_e32 v12, 0x3fb8aa3b, v9
	v_mul_f32_e32 v13, 0x3fb8aa3b, v11
	v_fma_f32 v14, v9, s2, -v12
	v_rndne_f32_e32 v15, v12
	v_fma_f32 v16, v11, s2, -v13
	v_rndne_f32_e32 v17, v13
	v_fmac_f32_e32 v14, 0x32a5705f, v9
	v_sub_f32_e32 v12, v12, v15
	v_fmac_f32_e32 v16, 0x32a5705f, v11
	v_sub_f32_e32 v13, v13, v17
	v_add_f32_e32 v12, v12, v14
	v_cvt_i32_f32_e32 v15, v15
	v_add_f32_e32 v13, v13, v16
	v_exp_f32_e32 v12, v12
	v_cvt_i32_f32_e32 v17, v17
	v_exp_f32_e32 v13, v13
	v_cmp_ngt_f32_e32 vcc, s6, v9
	v_ldexp_f32 v12, v12, v15
	v_cndmask_b32_e32 v12, 0, v12, vcc
	v_ldexp_f32 v13, v13, v17
	v_cmp_ngt_f32_e32 vcc, s6, v11
	v_cndmask_b32_e32 v13, 0, v13, vcc
	v_cmp_nlt_f32_e32 vcc, s23, v9
	v_cndmask_b32_e32 v12, v5, v12, vcc
	v_cmp_nlt_f32_e32 vcc, s23, v11
	v_cndmask_b32_e32 v13, v5, v13, vcc
	v_cmp_le_f32_e32 vcc, s24, v9
	v_cndmask_b32_e32 v12, 0, v12, vcc
	v_cmp_le_f32_e32 vcc, s24, v11
	v_cndmask_b32_e32 v11, 0, v13, vcc
	v_mul_f32_e32 v9, s21, v11
	v_fmac_f32_e32 v9, v6, v12
	s_waitcnt vmcnt(0)
	v_mul_f32_e32 v10, v10, v11
	v_fmac_f32_e32 v10, v3, v12
	s_cbranch_execnz .LBB16_13
.LBB16_17:
	s_add_i32 s5, s25, -1
	s_mov_b32 s17, s10
	v_mov_b32_e32 v9, v6
	v_mov_b32_e32 v8, v7
	s_waitcnt vmcnt(0)
	v_mov_b32_e32 v10, v3
	s_cbranch_execz .LBB16_22
.LBB16_18:
	s_mov_b32 s10, s17
	s_mov_b32 s25, s5
	v_mov_b32_e32 v6, v9
	v_mov_b32_e32 v7, v8
	s_waitcnt vmcnt(0)
	v_mov_b32_e32 v3, v10
	s_mul_hi_i32 s5, s25, s3
	s_cmp_lg_u64 s[4:5], 0
	s_mul_i32 s20, s25, s3
	s_cbranch_scc1 .LBB16_9
.LBB16_19:
                                        ; implicit-def: $sgpr16_sgpr17
	s_branch .LBB16_10
.LBB16_20:
                                        ; implicit-def: $sgpr10_sgpr11
	s_load_dwordx4 s[12:15], s[4:5], 0x44
	s_branch .LBB16_2
.LBB16_21:
                                        ; implicit-def: $sgpr18_sgpr19
	s_branch .LBB16_5
.LBB16_22:
	v_div_scale_f32 v0, s[0:1], v9, v9, v10
	s_waitcnt vmcnt(0)
	v_div_scale_f32 v3, vcc, v10, v9, v10
	v_rcp_f32_e32 v4, v0
	v_fma_f32 v5, -v0, v4, 1.0
	v_fmac_f32_e32 v4, v5, v4
	v_mul_f32_e32 v5, v3, v4
	v_fma_f32 v6, -v0, v5, v3
	v_fmac_f32_e32 v5, v6, v4
	v_fma_f32 v0, -v0, v5, v3
	v_div_fmas_f32 v0, v0, v4, v5
	v_div_fixup_f32 v0, v0, v9, v10
	global_store_dword v[1:2], v0, off
.LBB16_23:
	s_endpgm
	.section	.rodata,"a",@progbits
	.p2align	6, 0x0
	.amdhsa_kernel _ZL33flash_attn_stream_k_fixup_generalILi128ELi1ELi8EEvPfPK15HIP_vector_typeIfLj2EEiiiiS1_IjLj3EES5_S5_S5_
		.amdhsa_group_segment_fixed_size 0
		.amdhsa_private_segment_fixed_size 0
		.amdhsa_kernarg_size 336
		.amdhsa_user_sgpr_count 6
		.amdhsa_user_sgpr_private_segment_buffer 1
		.amdhsa_user_sgpr_dispatch_ptr 0
		.amdhsa_user_sgpr_queue_ptr 0
		.amdhsa_user_sgpr_kernarg_segment_ptr 1
		.amdhsa_user_sgpr_dispatch_id 0
		.amdhsa_user_sgpr_flat_scratch_init 0
		.amdhsa_user_sgpr_private_segment_size 0
		.amdhsa_uses_dynamic_stack 0
		.amdhsa_system_sgpr_private_segment_wavefront_offset 0
		.amdhsa_system_sgpr_workgroup_id_x 1
		.amdhsa_system_sgpr_workgroup_id_y 1
		.amdhsa_system_sgpr_workgroup_id_z 1
		.amdhsa_system_sgpr_workgroup_info 0
		.amdhsa_system_vgpr_workitem_id 0
		.amdhsa_next_free_vgpr 18
		.amdhsa_next_free_sgpr 37
		.amdhsa_reserve_vcc 1
		.amdhsa_reserve_flat_scratch 0
		.amdhsa_float_round_mode_32 0
		.amdhsa_float_round_mode_16_64 0
		.amdhsa_float_denorm_mode_32 3
		.amdhsa_float_denorm_mode_16_64 3
		.amdhsa_dx10_clamp 1
		.amdhsa_ieee_mode 1
		.amdhsa_fp16_overflow 0
		.amdhsa_exception_fp_ieee_invalid_op 0
		.amdhsa_exception_fp_denorm_src 0
		.amdhsa_exception_fp_ieee_div_zero 0
		.amdhsa_exception_fp_ieee_overflow 0
		.amdhsa_exception_fp_ieee_underflow 0
		.amdhsa_exception_fp_ieee_inexact 0
		.amdhsa_exception_int_div_zero 0
	.end_amdhsa_kernel
	.section	.text._ZL33flash_attn_stream_k_fixup_generalILi128ELi1ELi8EEvPfPK15HIP_vector_typeIfLj2EEiiiiS1_IjLj3EES5_S5_S5_,"axG",@progbits,_ZL33flash_attn_stream_k_fixup_generalILi128ELi1ELi8EEvPfPK15HIP_vector_typeIfLj2EEiiiiS1_IjLj3EES5_S5_S5_,comdat
.Lfunc_end16:
	.size	_ZL33flash_attn_stream_k_fixup_generalILi128ELi1ELi8EEvPfPK15HIP_vector_typeIfLj2EEiiiiS1_IjLj3EES5_S5_S5_, .Lfunc_end16-_ZL33flash_attn_stream_k_fixup_generalILi128ELi1ELi8EEvPfPK15HIP_vector_typeIfLj2EEiiiiS1_IjLj3EES5_S5_S5_
                                        ; -- End function
	.set _ZL33flash_attn_stream_k_fixup_generalILi128ELi1ELi8EEvPfPK15HIP_vector_typeIfLj2EEiiiiS1_IjLj3EES5_S5_S5_.num_vgpr, 18
	.set _ZL33flash_attn_stream_k_fixup_generalILi128ELi1ELi8EEvPfPK15HIP_vector_typeIfLj2EEiiiiS1_IjLj3EES5_S5_S5_.num_agpr, 0
	.set _ZL33flash_attn_stream_k_fixup_generalILi128ELi1ELi8EEvPfPK15HIP_vector_typeIfLj2EEiiiiS1_IjLj3EES5_S5_S5_.numbered_sgpr, 37
	.set _ZL33flash_attn_stream_k_fixup_generalILi128ELi1ELi8EEvPfPK15HIP_vector_typeIfLj2EEiiiiS1_IjLj3EES5_S5_S5_.num_named_barrier, 0
	.set _ZL33flash_attn_stream_k_fixup_generalILi128ELi1ELi8EEvPfPK15HIP_vector_typeIfLj2EEiiiiS1_IjLj3EES5_S5_S5_.private_seg_size, 0
	.set _ZL33flash_attn_stream_k_fixup_generalILi128ELi1ELi8EEvPfPK15HIP_vector_typeIfLj2EEiiiiS1_IjLj3EES5_S5_S5_.uses_vcc, 1
	.set _ZL33flash_attn_stream_k_fixup_generalILi128ELi1ELi8EEvPfPK15HIP_vector_typeIfLj2EEiiiiS1_IjLj3EES5_S5_S5_.uses_flat_scratch, 0
	.set _ZL33flash_attn_stream_k_fixup_generalILi128ELi1ELi8EEvPfPK15HIP_vector_typeIfLj2EEiiiiS1_IjLj3EES5_S5_S5_.has_dyn_sized_stack, 0
	.set _ZL33flash_attn_stream_k_fixup_generalILi128ELi1ELi8EEvPfPK15HIP_vector_typeIfLj2EEiiiiS1_IjLj3EES5_S5_S5_.has_recursion, 0
	.set _ZL33flash_attn_stream_k_fixup_generalILi128ELi1ELi8EEvPfPK15HIP_vector_typeIfLj2EEiiiiS1_IjLj3EES5_S5_S5_.has_indirect_call, 0
	.section	.AMDGPU.csdata,"",@progbits
; Kernel info:
; codeLenInByte = 2920
; TotalNumSgprs: 41
; NumVgprs: 18
; ScratchSize: 0
; MemoryBound: 0
; FloatMode: 240
; IeeeMode: 1
; LDSByteSize: 0 bytes/workgroup (compile time only)
; SGPRBlocks: 5
; VGPRBlocks: 4
; NumSGPRsForWavesPerEU: 41
; NumVGPRsForWavesPerEU: 18
; Occupancy: 10
; WaveLimiterHint : 0
; COMPUTE_PGM_RSRC2:SCRATCH_EN: 0
; COMPUTE_PGM_RSRC2:USER_SGPR: 6
; COMPUTE_PGM_RSRC2:TRAP_HANDLER: 0
; COMPUTE_PGM_RSRC2:TGID_X_EN: 1
; COMPUTE_PGM_RSRC2:TGID_Y_EN: 1
; COMPUTE_PGM_RSRC2:TGID_Z_EN: 1
; COMPUTE_PGM_RSRC2:TIDIG_COMP_CNT: 0
	.section	.text._ZL15flash_attn_tileILi128ELi128ELi16ELi4ELb0EEvPKcS1_S1_S1_S1_PKiPfP15HIP_vector_typeIfLj2EEffffjfiS5_IjLj3EEiiiiiiiiiiiliiliiiiil,"axG",@progbits,_ZL15flash_attn_tileILi128ELi128ELi16ELi4ELb0EEvPKcS1_S1_S1_S1_PKiPfP15HIP_vector_typeIfLj2EEffffjfiS5_IjLj3EEiiiiiiiiiiiliiliiiiil,comdat
	.globl	_ZL15flash_attn_tileILi128ELi128ELi16ELi4ELb0EEvPKcS1_S1_S1_S1_PKiPfP15HIP_vector_typeIfLj2EEffffjfiS5_IjLj3EEiiiiiiiiiiiliiliiiiil ; -- Begin function _ZL15flash_attn_tileILi128ELi128ELi16ELi4ELb0EEvPKcS1_S1_S1_S1_PKiPfP15HIP_vector_typeIfLj2EEffffjfiS5_IjLj3EEiiiiiiiiiiiliiliiiiil
	.p2align	8
	.type	_ZL15flash_attn_tileILi128ELi128ELi16ELi4ELb0EEvPKcS1_S1_S1_S1_PKiPfP15HIP_vector_typeIfLj2EEffffjfiS5_IjLj3EEiiiiiiiiiiiliiliiiiil,@function
_ZL15flash_attn_tileILi128ELi128ELi16ELi4ELb0EEvPKcS1_S1_S1_S1_PKiPfP15HIP_vector_typeIfLj2EEffffjfiS5_IjLj3EEiiiiiiiiiiiliiliiiiil: ; @_ZL15flash_attn_tileILi128ELi128ELi16ELi4ELb0EEvPKcS1_S1_S1_S1_PKiPfP15HIP_vector_typeIfLj2EEffffjfiS5_IjLj3EEiiiiiiiiiiiliiliiiiil
; %bb.0:
	s_mov_b64 s[50:51], s[2:3]
	s_mov_b64 s[48:49], s[0:1]
	s_load_dwordx4 s[0:3], s[4:5], 0x5c
	s_load_dwordx2 s[30:31], s[4:5], 0x80
	s_add_u32 s48, s48, s9
	s_addc_u32 s49, s49, 0
	v_mov_b32_e32 v62, v0
	s_waitcnt lgkmcnt(0)
	s_ashr_i32 s9, s3, 31
	s_lshr_b32 s9, s9, 30
	s_add_i32 s9, s3, s9
	s_ashr_i32 s9, s9, 2
	v_cvt_f32_u32_e32 v0, s9
	s_sub_i32 s10, 0, s9
	s_load_dwordx2 s[36:37], s[4:5], 0xb8
	s_mov_b64 s[34:35], 0
	v_rcp_iflag_f32_e32 v0, v0
	v_mul_f32_e32 v0, 0x4f7ffffe, v0
	v_cvt_u32_f32_e32 v0, v0
	v_readfirstlane_b32 s11, v0
	s_mul_i32 s10, s10, s11
	s_mul_hi_u32 s10, s11, s10
	s_add_i32 s11, s11, s10
	s_mul_hi_u32 s10, s8, s11
	s_mul_i32 s11, s10, s9
	s_sub_i32 s11, s8, s11
	s_add_i32 s12, s10, 1
	s_sub_i32 s13, s11, s9
	s_cmp_ge_u32 s11, s9
	s_cselect_b32 s10, s12, s10
	s_cselect_b32 s11, s13, s11
	s_add_i32 s12, s10, 1
	s_cmp_ge_u32 s11, s9
	s_cselect_b32 s33, s12, s10
	s_abs_i32 s9, s31
	v_cvt_f32_u32_e32 v0, s9
	s_lshl_b32 s8, s8, 2
	s_mul_i32 s12, s33, s3
	s_sub_i32 s13, 0, s9
	v_rcp_iflag_f32_e32 v0, v0
	s_sub_i32 s28, s8, s12
	s_abs_i32 s11, s3
	s_xor_b32 s10, s3, s31
	v_mul_f32_e32 v0, 0x4f7ffffe, v0
	v_cvt_u32_f32_e32 v0, v0
	s_ashr_i32 s10, s10, 31
	v_readfirstlane_b32 s8, v0
	s_mul_i32 s13, s13, s8
	s_mul_hi_u32 s12, s8, s13
	s_add_i32 s8, s8, s12
	s_mul_hi_u32 s8, s11, s8
	s_mul_i32 s12, s8, s9
	s_sub_i32 s11, s11, s12
	s_add_i32 s13, s8, 1
	s_sub_i32 s12, s11, s9
	s_cmp_ge_u32 s11, s9
	s_cselect_b32 s8, s13, s8
	s_cselect_b32 s11, s12, s11
	s_add_i32 s12, s8, 1
	s_cmp_ge_u32 s11, s9
	s_cselect_b32 s8, s12, s8
	s_xor_b32 s8, s8, s10
	s_sub_i32 s31, s8, s10
	s_abs_i32 s29, s31
	v_cvt_f32_u32_e32 v0, s29
	s_load_dwordx16 s[8:23], s[4:5], 0x0
	v_rcp_iflag_f32_e32 v0, v0
	s_waitcnt lgkmcnt(0)
	s_cmp_eq_u64 s[14:15], 0
	v_mul_f32_e32 v0, 0x4f7ffffe, v0
	v_cvt_u32_f32_e32 v0, v0
	v_readfirstlane_b32 s38, v0
	s_cbranch_scc1 .LBB17_2
; %bb.1:
	s_abs_i32 s26, s36
	v_cvt_f32_u32_e32 v0, s26
	s_sub_i32 s35, 0, s26
	s_abs_i32 s34, s33
	s_ashr_i32 s27, s33, 31
	v_rcp_iflag_f32_e32 v0, v0
	s_load_dwordx2 s[24:25], s[4:5], 0xc8
	v_mul_f32_e32 v0, 0x4f7ffffe, v0
	v_cvt_u32_f32_e32 v0, v0
	v_readfirstlane_b32 s36, v0
	s_mul_i32 s35, s35, s36
	s_mul_hi_u32 s35, s36, s35
	s_add_i32 s36, s36, s35
	s_mul_hi_u32 s35, s34, s36
	s_mul_i32 s35, s35, s26
	s_sub_i32 s34, s34, s35
	s_sub_i32 s35, s34, s26
	s_cmp_ge_u32 s34, s26
	s_cselect_b32 s34, s35, s34
	s_sub_i32 s35, s34, s26
	s_cmp_ge_u32 s34, s26
	s_cselect_b32 s26, s35, s34
	s_xor_b32 s26, s26, s27
	s_sub_i32 s26, s26, s27
	s_ashr_i32 s27, s26, 31
	s_waitcnt lgkmcnt(0)
	s_mul_hi_u32 s34, s24, s26
	s_mul_i32 s27, s24, s27
	s_mul_i32 s25, s25, s26
	s_add_i32 s27, s34, s27
	s_add_i32 s27, s27, s25
	s_mul_i32 s24, s24, s26
	s_add_u32 s34, s14, s24
	s_addc_u32 s35, s15, s27
.LBB17_2:
	s_lshl_b32 s14, s6, 4
	v_lshlrev_b32_e32 v64, 1, v1
	s_load_dwordx4 s[24:27], s[4:5], 0x70
	v_add_u32_e32 v65, s14, v64
	v_mul_hi_u32 v0, v65, s0
	v_lshlrev_b32_e32 v6, 4, v62
	v_lshlrev_b32_e32 v9, 3, v1
	s_waitcnt lgkmcnt(0)
	s_mul_i32 s15, s33, s26
	v_add_u32_e32 v0, v65, v0
	s_ashr_i32 s27, s15, 31
	v_lshrrev_b32_e32 v0, s1, v0
	s_mul_i32 s26, s28, s25
	s_add_u32 s8, s8, s15
	v_mul_lo_u32 v0, v0, s2
	s_addc_u32 s9, s9, s27
	s_ashr_i32 s15, s26, 31
	s_add_u32 s26, s8, s26
	s_addc_u32 s27, s9, s15
	s_ashr_i32 s41, s24, 31
	s_mov_b32 s40, s24
	s_lshr_b64 s[8:9], s[40:41], 2
	v_sub_u32_e32 v8, v65, v0
	v_mad_u64_u32 v[2:3], s[42:43], s8, v8, 0
	s_lshr_b32 s15, s41, 2
	v_or_b32_e32 v10, 4, v9
	v_mov_b32_e32 v0, v3
	v_mad_u64_u32 v[3:4], s[40:41], s15, v8, v[0:1]
	v_mov_b32_e32 v0, s27
	v_lshrrev_b32_e32 v60, 2, v10
	v_lshlrev_b64 v[11:12], 2, v[2:3]
	v_add_u32_e32 v61, s14, v60
	v_add_co_u32_e32 v2, vcc, s26, v11
	v_addc_co_u32_e32 v0, vcc, v0, v12, vcc
	v_add_co_u32_e32 v2, vcc, v2, v6
	v_addc_co_u32_e32 v3, vcc, 0, v0, vcc
	global_load_dwordx4 v[2:5], v[2:3], off
	v_mul_hi_u32 v0, v61, s0
	s_mov_b32 s40, s25
	s_ashr_i32 s41, s25, 31
	s_and_b32 s36, s25, -4
	v_add_u32_e32 v0, v61, v0
	v_lshrrev_b32_e32 v0, s1, v0
	v_mul_lo_u32 v0, v0, s2
	s_lshr_b64 s[24:25], s[40:41], 2
	s_add_u32 s36, s26, s36
	s_load_dword s9, s[4:5], 0x40
	v_or_b32_e32 v37, 5, v9
	s_mul_i32 s39, s41, 12
	s_mul_hi_u32 s40, s24, 12
	s_mul_i32 s42, s24, 12
	s_addc_u32 s41, s27, s41
	s_lshl_b64 s[24:25], s[24:25], 3
	v_lshrrev_b32_e32 v50, 2, v37
	s_add_u32 s43, s26, s24
	v_sub_u32_e32 v31, v61, v0
	v_add_u32_e32 v58, s14, v50
	v_mov_b32_e32 v13, s41
	s_addc_u32 s44, s27, s25
	v_mad_u64_u32 v[23:24], s[24:25], s8, v31, 0
	v_add_co_u32_e32 v16, vcc, s36, v11
	v_mul_hi_u32 v30, v58, s0
	s_add_i32 s40, s40, s39
	v_addc_co_u32_e32 v13, vcc, v13, v12, vcc
	v_mov_b32_e32 v14, s44
	s_add_u32 s39, s26, s42
	v_add_co_u32_e32 v17, vcc, s43, v11
	s_addc_u32 s40, s27, s40
	v_addc_co_u32_e32 v14, vcc, v14, v12, vcc
	v_mov_b32_e32 v15, s40
	v_mov_b32_e32 v0, v24
	v_add_co_u32_e32 v11, vcc, s39, v11
	v_addc_co_u32_e32 v12, vcc, v15, v12, vcc
	v_add_co_u32_e32 v24, vcc, v16, v6
	v_addc_co_u32_e32 v25, vcc, 0, v13, vcc
	;; [unrolled: 2-line block ×4, first 2 shown]
	global_load_dwordx4 v[11:14], v[24:25], off
	global_load_dwordx4 v[15:18], v[26:27], off
	;; [unrolled: 1-line block ×3, first 2 shown]
	v_or_b32_e32 v40, 6, v9
	v_lshrrev_b32_e32 v53, 2, v40
	v_add_u32_e32 v59, s14, v53
	v_or_b32_e32 v41, 7, v9
	v_lshrrev_b32_e32 v48, 2, v41
	v_add_u32_e32 v49, s14, v48
	v_lshlrev_b32_e32 v7, 3, v62
	v_lshlrev_b32_e32 v54, 11, v1
	v_or_b32_e32 v42, v7, v54
	s_cmp_eq_u64 s[18:19], 0
	s_waitcnt vmcnt(3) lgkmcnt(0)
	v_fma_mixlo_f16 v2, s9, v2, 0
	v_fma_mixlo_f16 v3, s9, v3, 0
	v_lshlrev_b32_e32 v3, 16, v3
	v_and_b32_e32 v2, 0xffff, v2
	v_or_b32_e32 v39, v3, v2
	v_mad_u64_u32 v[2:3], s[24:25], s15, v31, v[0:1]
	v_add_u32_e32 v0, v58, v30
	v_lshrrev_b32_e32 v0, s1, v0
	v_mul_lo_u32 v0, v0, s2
	v_mov_b32_e32 v24, v2
	v_lshlrev_b64 v[2:3], 2, v[23:24]
	v_fma_mixlo_f16 v38, s9, v4, 0
	v_sub_u32_e32 v25, v58, v0
	v_mad_u64_u32 v[23:24], s[24:25], s8, v25, 0
	v_mov_b32_e32 v4, s27
	v_add_co_u32_e32 v26, vcc, s26, v2
	v_mov_b32_e32 v0, v24
	v_addc_co_u32_e32 v4, vcc, v4, v3, vcc
	v_mad_u64_u32 v[2:3], s[24:25], s15, v25, v[0:1]
	v_add_co_u32_e32 v3, vcc, v26, v6
	v_mov_b32_e32 v24, v2
	v_mul_hi_u32 v2, v59, s0
	v_lshlrev_b64 v[23:24], 2, v[23:24]
	v_addc_co_u32_e32 v4, vcc, 0, v4, vcc
	v_add_u32_e32 v2, v59, v2
	v_lshrrev_b32_e32 v2, s1, v2
	v_mul_lo_u32 v2, v2, s2
	v_mov_b32_e32 v0, s41
	v_add_co_u32_e32 v23, vcc, s36, v23
	v_addc_co_u32_e32 v0, vcc, v0, v24, vcc
	v_add_co_u32_e32 v31, vcc, v23, v6
	v_addc_co_u32_e32 v32, vcc, 0, v0, vcc
	global_load_dwordx4 v[23:26], v[3:4], off
	global_load_dwordx4 v[27:30], v[31:32], off
	v_sub_u32_e32 v4, v59, v2
	v_mad_u64_u32 v[2:3], s[24:25], s8, v4, 0
	v_mul_hi_u32 v31, v49, s0
	v_mov_b32_e32 v0, v3
	v_mad_u64_u32 v[3:4], s[24:25], s15, v4, v[0:1]
	v_add_u32_e32 v0, v49, v31
	v_lshrrev_b32_e32 v0, s1, v0
	v_mul_lo_u32 v0, v0, s2
	v_lshlrev_b64 v[2:3], 2, v[2:3]
	v_mov_b32_e32 v4, s44
	v_add_co_u32_e32 v32, vcc, s43, v2
	v_sub_u32_e32 v31, v49, v0
	v_mad_u64_u32 v[35:36], s[24:25], s8, v31, 0
	v_addc_co_u32_e32 v4, vcc, v4, v3, vcc
	v_mov_b32_e32 v0, v36
	v_mad_u64_u32 v[2:3], s[24:25], s15, v31, v[0:1]
	v_add_co_u32_e32 v3, vcc, v32, v6
	v_addc_co_u32_e32 v4, vcc, 0, v4, vcc
	v_mov_b32_e32 v36, v2
	global_load_dwordx4 v[31:34], v[3:4], off
	v_lshlrev_b64 v[2:3], 2, v[35:36]
	v_mov_b32_e32 v4, s40
	v_add_co_u32_e32 v2, vcc, s39, v2
	v_addc_co_u32_e32 v3, vcc, v4, v3, vcc
	v_add_co_u32_e32 v2, vcc, v2, v6
	v_addc_co_u32_e32 v3, vcc, 0, v3, vcc
	v_fma_mixlo_f16 v0, s9, v5, 0
	global_load_dwordx4 v[2:5], v[2:3], off
	v_lshlrev_b32_e32 v0, 16, v0
	v_and_b32_e32 v35, 0xffff, v38
	v_or3_b32 v36, v0, v35, 0
	s_waitcnt vmcnt(6)
	v_fma_mixlo_f16 v0, s9, v11, 0
	v_fma_mixlo_f16 v11, s9, v12, 0
	v_lshlrev_b32_e32 v11, 16, v11
	v_and_b32_e32 v0, 0xffff, v0
	v_or_b32_e32 v0, v11, v0
	v_fma_mixlo_f16 v11, s9, v13, 0
	v_fma_mixlo_f16 v12, s9, v14, 0
	v_lshlrev_b32_e32 v12, 16, v12
	v_and_b32_e32 v11, 0xffff, v11
	v_or3_b32 v35, 0, 0, v39
	v_or3_b32 v12, v12, v11, 0
	;; [unrolled: 1-line block ×3, first 2 shown]
	ds_write2_b64 v42, v[35:36], v[11:12] offset1:32
	s_waitcnt vmcnt(5)
	v_fma_mixlo_f16 v0, s9, v15, 0
	v_fma_mixlo_f16 v11, s9, v16, 0
	v_lshlrev_b32_e32 v11, 16, v11
	v_and_b32_e32 v0, 0xffff, v0
	v_or_b32_e32 v0, v11, v0
	v_fma_mixlo_f16 v11, s9, v17, 0
	v_fma_mixlo_f16 v12, s9, v18, 0
	v_lshlrev_b32_e32 v12, 16, v12
	v_and_b32_e32 v11, 0xffff, v11
	v_or3_b32 v12, v12, v11, 0
	v_or3_b32 v11, 0, 0, v0
	s_waitcnt vmcnt(4)
	v_fma_mixlo_f16 v0, s9, v19, 0
	v_fma_mixlo_f16 v13, s9, v20, 0
	v_lshlrev_b32_e32 v13, 16, v13
	v_and_b32_e32 v0, 0xffff, v0
	v_or_b32_e32 v0, v13, v0
	v_fma_mixlo_f16 v13, s9, v21, 0
	v_fma_mixlo_f16 v14, s9, v22, 0
	v_lshlrev_b32_e32 v14, 16, v14
	v_and_b32_e32 v13, 0xffff, v13
	v_or3_b32 v14, v14, v13, 0
	v_or3_b32 v13, 0, 0, v0
	ds_write2_b64 v42, v[11:12], v[13:14] offset0:64 offset1:96
	s_waitcnt vmcnt(3)
	v_fma_mixlo_f16 v0, s9, v23, 0
	v_fma_mixlo_f16 v11, s9, v24, 0
	v_lshlrev_b32_e32 v11, 16, v11
	v_and_b32_e32 v0, 0xffff, v0
	v_or_b32_e32 v0, v11, v0
	v_fma_mixlo_f16 v11, s9, v25, 0
	v_fma_mixlo_f16 v12, s9, v26, 0
	v_lshl_add_u32 v13, v10, 8, v7
	v_lshlrev_b32_e32 v10, 16, v12
	v_and_b32_e32 v11, 0xffff, v11
	v_or3_b32 v11, v10, v11, 0
	v_or3_b32 v10, 0, 0, v0
	ds_write_b64 v13, v[10:11]
	s_waitcnt vmcnt(2)
	v_fma_mixlo_f16 v0, s9, v27, 0
	v_fma_mixlo_f16 v10, s9, v28, 0
	v_lshlrev_b32_e32 v10, 16, v10
	v_and_b32_e32 v0, 0xffff, v0
	v_or_b32_e32 v0, v10, v0
	v_fma_mixlo_f16 v10, s9, v29, 0
	v_fma_mixlo_f16 v11, s9, v30, 0
	v_lshlrev_b32_e32 v11, 16, v11
	v_and_b32_e32 v10, 0xffff, v10
	v_lshl_add_u32 v12, v37, 8, v7
	v_or3_b32 v11, v11, v10, 0
	v_or3_b32 v10, 0, 0, v0
	ds_write_b64 v12, v[10:11]
	v_lshl_add_u32 v12, v40, 8, v7
	s_waitcnt vmcnt(1)
	v_fma_mixlo_f16 v0, s9, v31, 0
	v_fma_mixlo_f16 v10, s9, v32, 0
	v_lshlrev_b32_e32 v10, 16, v10
	v_and_b32_e32 v0, 0xffff, v0
	v_or_b32_e32 v0, v10, v0
	v_fma_mixlo_f16 v10, s9, v33, 0
	v_fma_mixlo_f16 v11, s9, v34, 0
	v_lshlrev_b32_e32 v11, 16, v11
	v_and_b32_e32 v10, 0xffff, v10
	v_or3_b32 v11, v11, v10, 0
	v_or3_b32 v10, 0, 0, v0
	ds_write_b64 v12, v[10:11]
	s_waitcnt vmcnt(0)
	v_fma_mixlo_f16 v0, s9, v2, 0
	v_fma_mixlo_f16 v2, s9, v3, 0
	v_lshlrev_b32_e32 v2, 16, v2
	v_and_b32_e32 v0, 0xffff, v0
	v_or_b32_e32 v0, v2, v0
	v_fma_mixlo_f16 v2, s9, v4, 0
	v_fma_mixlo_f16 v3, s9, v5, 0
	v_lshlrev_b32_e32 v3, 16, v3
	v_and_b32_e32 v2, 0xffff, v2
	v_lshl_add_u32 v4, v41, 8, v7
	v_or3_b32 v3, v3, v2, 0
	v_or3_b32 v2, 0, 0, v0
	ds_write_b64 v4, v[2:3]
	s_waitcnt lgkmcnt(0)
	s_barrier
	s_cbranch_scc1 .LBB17_4
; %bb.3:
	s_load_dword s8, s[4:5], 0xd0
	s_mov_b32 s9, 0
	s_waitcnt lgkmcnt(0)
	s_mul_i32 s8, s8, s33
	s_add_i32 s8, s8, s6
	s_lshl_b64 s[8:9], s[8:9], 2
	s_add_u32 s8, s18, s8
	s_addc_u32 s9, s19, s9
	s_load_dword s30, s[8:9], 0x0
.LBB17_4:
	s_lshl_b32 s6, s7, 6
	s_waitcnt lgkmcnt(0)
	s_cmp_lt_i32 s6, s30
	v_mbcnt_lo_u32_b32 v2, -1, 0
	s_cbranch_scc1 .LBB17_7
; %bb.5:
	v_mbcnt_hi_u32_b32 v56, -1, v2
	v_and_b32_e32 v0, 0x60, v56
	v_add_u32_e32 v57, 32, v0
	v_xor_b32_e32 v79, 16, v56
	v_xor_b32_e32 v52, 8, v56
	;; [unrolled: 1-line block ×5, first 2 shown]
	v_lshlrev_b32_e32 v63, 2, v62
	s_cbranch_execz .LBB17_8
; %bb.6:
	v_mov_b32_e32 v92, 0
	v_mov_b32_e32 v55, 0
	;; [unrolled: 1-line block ×32, first 2 shown]
	s_branch .LBB17_11
.LBB17_7:
                                        ; implicit-def: $vgpr56
                                        ; implicit-def: $vgpr57
                                        ; implicit-def: $vgpr79
                                        ; implicit-def: $vgpr52
                                        ; implicit-def: $vgpr77
                                        ; implicit-def: $vgpr78
                                        ; implicit-def: $vgpr76
	v_lshlrev_b32_e32 v63, 2, v62
.LBB17_8:
	s_sub_i32 s8, 0, s29
	s_mul_i32 s8, s8, s38
	buffer_store_dword v65, off, s[48:51], 0 offset:60 ; 4-byte Folded Spill
	buffer_store_dword v61, off, s[48:51], 0 offset:48 ; 4-byte Folded Spill
	;; [unrolled: 1-line block ×9, first 2 shown]
	s_mul_hi_u32 s8, s38, s8
	s_add_i32 s38, s38, s8
	s_load_dwordx2 s[8:9], s[4:5], 0x8c
	s_load_dwordx4 s[24:27], s[4:5], 0x98
	s_abs_i32 s19, s28
	s_mul_hi_u32 s36, s19, s38
	s_ashr_i32 s40, s28, 31
	s_waitcnt lgkmcnt(0)
	s_ashr_i32 s18, s8, 2
	s_ashr_i32 s8, s33, 31
	;; [unrolled: 1-line block ×4, first 2 shown]
	s_mul_hi_u32 s37, s24, s33
	s_mul_i32 s41, s24, s8
	s_add_i32 s37, s37, s41
	s_mul_i32 s25, s25, s33
	s_ashr_i32 s31, s31, 31
	s_add_i32 s37, s37, s25
	s_mul_i32 s24, s24, s33
	s_add_u32 s10, s10, s24
	s_mul_i32 s25, s36, s29
	s_addc_u32 s11, s11, s37
	s_sub_i32 s19, s19, s25
	s_xor_b32 s24, s40, s31
	s_add_i32 s25, s36, 1
	s_sub_i32 s31, s19, s29
	s_cmp_ge_u32 s19, s29
	s_cselect_b32 s25, s25, s36
	s_cselect_b32 s19, s31, s19
	s_add_i32 s31, s25, 1
	s_cmp_ge_u32 s19, s29
	s_cselect_b32 s19, s31, s25
	s_load_dwordx2 s[38:39], s[4:5], 0xa8
	s_xor_b32 s19, s19, s24
	s_sub_i32 s19, s19, s24
	v_lshrrev_b32_e32 v0, 2, v62
	s_mul_i32 s9, s19, s9
	v_add_u32_e32 v0, v0, v9
	s_ashr_i32 s24, s9, 31
	v_mul_lo_u32 v3, s18, v0
	s_add_u32 s9, s10, s9
	s_addc_u32 s10, s11, s24
	s_waitcnt lgkmcnt(0)
	s_mul_hi_u32 s11, s38, s33
	s_mul_i32 s8, s38, s8
	s_add_i32 s8, s11, s8
	s_mul_i32 s11, s39, s33
	v_and_b32_e32 v4, 12, v63
	s_add_i32 s8, s8, s11
	s_mul_i32 s11, s38, s33
	v_mul_u32_u24_e32 v5, 0x50, v0
	v_lshlrev_b32_e32 v0, 2, v4
	v_ashrrev_i32_e32 v4, 31, v3
	s_add_u32 s11, s12, s11
	v_lshlrev_b64 v[3:4], 2, v[3:4]
	s_addc_u32 s8, s13, s8
	s_movk_i32 s13, 0x6000
	v_add3_u32 v53, v5, v0, s13
	v_mov_b32_e32 v5, s10
	v_add_co_u32_e32 v3, vcc, s9, v3
	v_addc_co_u32_e32 v4, vcc, v5, v4, vcc
	v_add3_u32 v5, s14, v64, 1
	v_mul_hi_u32 v9, s0, v5
	v_add_co_u32_e32 v0, vcc, v3, v0
	buffer_store_dword v0, off, s[48:51], 0 ; 4-byte Folded Spill
	v_addc_co_u32_e32 v0, vcc, 0, v4, vcc
	buffer_store_dword v0, off, s[48:51], 0 offset:4 ; 4-byte Folded Spill
	v_add_u32_e32 v0, v5, v9
	v_lshrrev_b32_e32 v0, s1, v0
	v_mul_lo_u32 v0, v0, s2
	s_mul_i32 s19, s19, s27
	s_ashr_i32 s12, s19, 31
	s_add_u32 s11, s11, s19
	v_sub_u32_e32 v0, v5, v0
	v_mul_lo_u32 v0, v0, s26
	s_addc_u32 s8, s8, s12
	s_movk_i32 s12, 0x50
	v_mov_b32_e32 v3, 0x6000
	v_mad_u32_u24 v66, v62, s12, v3
	v_mul_lo_u32 v3, v8, s26
	buffer_store_dword v0, off, s[48:51], 0 offset:12 ; 4-byte Folded Spill
	v_mov_b32_e32 v0, 0x4000
	v_lshl_add_u32 v69, v1, 10, v0
	v_lshrrev_b32_e32 v0, 4, v62
	v_add_u32_e32 v1, v0, v64
	v_mul_lo_u32 v0, s15, v1
	buffer_store_dword v3, off, s[48:51], 0 offset:8 ; 4-byte Folded Spill
	v_and_b32_e32 v3, 60, v63
	v_lshlrev_b32_e32 v3, 2, v3
	v_lshl_or_b32 v1, v1, 8, v3
	v_add_u32_e32 v70, 0x6000, v1
	v_ashrrev_i32_e32 v1, 31, v0
	v_lshlrev_b64 v[0:1], 2, v[0:1]
	v_mov_b32_e32 v4, s8
	v_add_co_u32_e32 v0, vcc, s11, v0
	v_addc_co_u32_e32 v1, vcc, v4, v1, vcc
	v_mbcnt_hi_u32_b32 v56, -1, v2
	v_add_co_u32_e32 v71, vcc, v0, v3
	v_and_b32_e32 v0, 0x60, v56
	v_or_b32_e32 v73, 0x6000, v7
	s_add_u32 s0, s4, 0xd0
	v_add_u32_e32 v57, 32, v0
	v_mov_b32_e32 v0, s35
	v_mov_b32_e32 v13, 0
	v_addc_co_u32_e32 v72, vcc, 0, v1, vcc
	s_addc_u32 s1, s5, 0
	v_mov_b32_e32 v1, 0xfeffffff
	v_mov_b32_e32 v74, 0
	v_xor_b32_e32 v79, 16, v56
	v_xor_b32_e32 v52, 8, v56
	;; [unrolled: 1-line block ×5, first 2 shown]
	buffer_store_dword v0, off, s[48:51], 0 offset:16 ; 4-byte Folded Spill
	s_mov_b32 s10, 0x3fb8aa3b
	s_mov_b32 s11, 0xc2ce8ed0
	s_mov_b32 s12, 0x42b17218
	v_mov_b32_e32 v75, 0x7f800000
	s_mov_b32 s13, 0x10001
	v_add_u32_e32 v0, v69, v6
	v_add_u32_e32 v68, 0x800, v73
	v_mov_b32_e32 v126, 0
	v_mov_b32_e32 v125, 0
	;; [unrolled: 1-line block ×29, first 2 shown]
	buffer_store_dword v64, off, s[48:51], 0 offset:56 ; 4-byte Folded Spill
	buffer_store_dword v63, off, s[48:51], 0 offset:52 ; 4-byte Folded Spill
.LBB17_9:                               ; =>This Inner Loop Header: Depth=1
	v_mov_b32_e32 v108, v1
	buffer_load_dword v1, off, s[48:51], 0  ; 4-byte Folded Reload
	v_mov_b32_e32 v107, v2
	buffer_load_dword v2, off, s[48:51], 0 offset:4 ; 4-byte Folded Reload
	s_mul_hi_i32 s9, s6, s18
	s_mul_i32 s8, s6, s18
	s_lshl_b64 s[8:9], s[8:9], 2
	v_mov_b32_e32 v103, v4
	v_mov_b32_e32 v105, v3
	;; [unrolled: 1-line block ×21, first 2 shown]
	s_waitcnt vmcnt(1)
	v_add_co_u32_e32 v41, vcc, s8, v1
	v_mov_b32_e32 v1, s9
	s_waitcnt vmcnt(0)
	v_addc_co_u32_e32 v42, vcc, v2, v1, vcc
	global_load_dwordx4 v[1:4], v[41:42], off
	s_mul_hi_i32 s9, s6, s15
	s_mul_i32 s8, s6, s15
	s_lshl_b64 s[8:9], s[8:9], 2
	s_waitcnt vmcnt(0)
	ds_write_b128 v53, v[1:4]
	s_waitcnt lgkmcnt(0)
	s_barrier
	ds_read_b128 v[37:40], v66
	ds_read_b128 v[1:4], v66 offset:2560
	ds_read_b128 v[33:36], v54
	ds_read_b128 v[29:32], v54 offset:256
	ds_read_b128 v[25:28], v54 offset:512
	;; [unrolled: 1-line block ×7, first 2 shown]
	s_waitcnt lgkmcnt(7)
	;;#ASMSTART
	v_dot2_f32_f16 v109, v37, v33, v109
	;;#ASMEND
	;;#ASMSTART
	v_dot2_f32_f16 v109, v38, v34, v109
	;;#ASMEND
	;;#ASMSTART
	v_dot2_f32_f16 v109, v39, v35, v109
	;;#ASMEND
	;;#ASMSTART
	v_dot2_f32_f16 v109, v40, v36, v109
	;;#ASMEND
	s_waitcnt lgkmcnt(6)
	;;#ASMSTART
	v_dot2_f32_f16 v110, v37, v29, v110
	;;#ASMEND
	;;#ASMSTART
	v_dot2_f32_f16 v110, v38, v30, v110
	;;#ASMEND
	;;#ASMSTART
	v_dot2_f32_f16 v110, v39, v31, v110
	;;#ASMEND
	;;#ASMSTART
	v_dot2_f32_f16 v110, v40, v32, v110
	;;#ASMEND
	;; [unrolled: 13-line block ×7, first 2 shown]
	s_waitcnt lgkmcnt(0)
	;;#ASMSTART
	v_dot2_f32_f16 v116, v37, v5, v116
	;;#ASMEND
	;;#ASMSTART
	v_dot2_f32_f16 v116, v38, v6, v116
	;;#ASMEND
	;;#ASMSTART
	v_dot2_f32_f16 v116, v39, v7, v116
	;;#ASMEND
	v_mov_b32_e32 v37, 0
	;;#ASMSTART
	v_dot2_f32_f16 v116, v40, v8, v116
	;;#ASMEND
	;;#ASMSTART
	v_dot2_f32_f16 v37, v1, v33, v37
	;;#ASMEND
	;;#ASMSTART
	v_dot2_f32_f16 v37, v2, v34, v37
	;;#ASMEND
	;;#ASMSTART
	v_dot2_f32_f16 v37, v3, v35, v37
	;;#ASMEND
	v_mov_b32_e32 v33, 0
	;;#ASMSTART
	v_dot2_f32_f16 v37, v4, v36, v37
	;;#ASMEND
	;; [unrolled: 13-line block ×8, first 2 shown]
	;;#ASMSTART
	v_dot2_f32_f16 v9, v1, v5, v9
	;;#ASMEND
	;;#ASMSTART
	v_dot2_f32_f16 v9, v2, v6, v9
	;;#ASMEND
	;; [unrolled: 3-line block ×4, first 2 shown]
	ds_read_b128 v[1:4], v66 offset:16
	ds_read_b128 v[5:8], v66 offset:2576
	;; [unrolled: 1-line block ×7, first 2 shown]
	v_mov_b32_e32 v10, v62
	ds_read_b128 v[62:65], v54 offset:1296
	v_mov_b32_e32 v11, v76
	v_mov_b32_e32 v12, v77
	;; [unrolled: 1-line block ×4, first 2 shown]
	ds_read_b128 v[76:79], v54 offset:1552
	ds_read_b128 v[80:83], v54 offset:1808
	s_waitcnt lgkmcnt(7)
	;;#ASMSTART
	v_dot2_f32_f16 v109, v1, v117, v109
	;;#ASMEND
	;;#ASMSTART
	v_dot2_f32_f16 v109, v2, v118, v109
	;;#ASMEND
	;;#ASMSTART
	v_dot2_f32_f16 v109, v3, v119, v109
	;;#ASMEND
	;;#ASMSTART
	v_dot2_f32_f16 v109, v4, v120, v109
	;;#ASMEND
	s_waitcnt lgkmcnt(6)
	;;#ASMSTART
	v_dot2_f32_f16 v110, v1, v121, v110
	;;#ASMEND
	;;#ASMSTART
	v_dot2_f32_f16 v110, v2, v122, v110
	;;#ASMEND
	;;#ASMSTART
	v_dot2_f32_f16 v110, v3, v123, v110
	;;#ASMEND
	;;#ASMSTART
	v_dot2_f32_f16 v110, v4, v124, v110
	;;#ASMEND
	;; [unrolled: 13-line block ×8, first 2 shown]
	;;#ASMSTART
	v_dot2_f32_f16 v37, v5, v117, v37
	;;#ASMEND
	;;#ASMSTART
	v_dot2_f32_f16 v37, v6, v118, v37
	;;#ASMEND
	;;#ASMSTART
	v_dot2_f32_f16 v37, v7, v119, v37
	;;#ASMEND
	;;#ASMSTART
	v_dot2_f32_f16 v37, v8, v120, v37
	;;#ASMEND
	;;#ASMSTART
	v_dot2_f32_f16 v33, v5, v121, v33
	;;#ASMEND
	;;#ASMSTART
	v_dot2_f32_f16 v33, v6, v122, v33
	;;#ASMEND
	;;#ASMSTART
	v_dot2_f32_f16 v33, v7, v123, v33
	;;#ASMEND
	;;#ASMSTART
	v_dot2_f32_f16 v33, v8, v124, v33
	;;#ASMEND
	;;#ASMSTART
	v_dot2_f32_f16 v29, v5, v43, v29
	;;#ASMEND
	;;#ASMSTART
	v_dot2_f32_f16 v29, v6, v44, v29
	;;#ASMEND
	;;#ASMSTART
	v_dot2_f32_f16 v29, v7, v45, v29
	;;#ASMEND
	;;#ASMSTART
	v_dot2_f32_f16 v29, v8, v46, v29
	;;#ASMEND
	;;#ASMSTART
	v_dot2_f32_f16 v25, v5, v47, v25
	;;#ASMEND
	;;#ASMSTART
	v_dot2_f32_f16 v25, v6, v48, v25
	;;#ASMEND
	;;#ASMSTART
	v_dot2_f32_f16 v25, v7, v49, v25
	;;#ASMEND
	;;#ASMSTART
	v_dot2_f32_f16 v25, v8, v50, v25
	;;#ASMEND
	;;#ASMSTART
	v_dot2_f32_f16 v21, v5, v58, v21
	;;#ASMEND
	;;#ASMSTART
	v_dot2_f32_f16 v21, v6, v59, v21
	;;#ASMEND
	;;#ASMSTART
	v_dot2_f32_f16 v21, v7, v60, v21
	;;#ASMEND
	;;#ASMSTART
	v_dot2_f32_f16 v21, v8, v61, v21
	;;#ASMEND
	;;#ASMSTART
	v_dot2_f32_f16 v17, v5, v62, v17
	;;#ASMEND
	;;#ASMSTART
	v_dot2_f32_f16 v17, v6, v63, v17
	;;#ASMEND
	;;#ASMSTART
	v_dot2_f32_f16 v17, v7, v64, v17
	;;#ASMEND
	;;#ASMSTART
	v_dot2_f32_f16 v17, v8, v65, v17
	;;#ASMEND
	;;#ASMSTART
	v_dot2_f32_f16 v13, v5, v76, v13
	;;#ASMEND
	;;#ASMSTART
	v_dot2_f32_f16 v13, v6, v77, v13
	;;#ASMEND
	;;#ASMSTART
	v_dot2_f32_f16 v13, v7, v78, v13
	;;#ASMEND
	;;#ASMSTART
	v_dot2_f32_f16 v13, v8, v79, v13
	;;#ASMEND
	;;#ASMSTART
	v_dot2_f32_f16 v9, v5, v80, v9
	;;#ASMEND
	;;#ASMSTART
	v_dot2_f32_f16 v9, v6, v81, v9
	;;#ASMEND
	;;#ASMSTART
	v_dot2_f32_f16 v9, v7, v82, v9
	;;#ASMEND
	;;#ASMSTART
	v_dot2_f32_f16 v9, v8, v83, v9
	;;#ASMEND
	ds_read_b128 v[1:4], v66 offset:32
	ds_read_b128 v[5:8], v66 offset:2592
	;; [unrolled: 1-line block ×10, first 2 shown]
	s_waitcnt lgkmcnt(7)
	;;#ASMSTART
	v_dot2_f32_f16 v109, v1, v43, v109
	;;#ASMEND
	;;#ASMSTART
	v_dot2_f32_f16 v109, v2, v44, v109
	;;#ASMEND
	;;#ASMSTART
	v_dot2_f32_f16 v109, v3, v45, v109
	;;#ASMEND
	;;#ASMSTART
	v_dot2_f32_f16 v109, v4, v46, v109
	;;#ASMEND
	s_waitcnt lgkmcnt(6)
	;;#ASMSTART
	v_dot2_f32_f16 v110, v1, v47, v110
	;;#ASMEND
	;;#ASMSTART
	v_dot2_f32_f16 v110, v2, v48, v110
	;;#ASMEND
	;;#ASMSTART
	v_dot2_f32_f16 v110, v3, v49, v110
	;;#ASMEND
	;;#ASMSTART
	v_dot2_f32_f16 v110, v4, v50, v110
	;;#ASMEND
	s_waitcnt lgkmcnt(5)
	;;#ASMSTART
	v_dot2_f32_f16 v111, v1, v58, v111
	;;#ASMEND
	;;#ASMSTART
	v_dot2_f32_f16 v111, v2, v59, v111
	;;#ASMEND
	;;#ASMSTART
	v_dot2_f32_f16 v111, v3, v60, v111
	;;#ASMEND
	;;#ASMSTART
	v_dot2_f32_f16 v111, v4, v61, v111
	;;#ASMEND
	s_waitcnt lgkmcnt(4)
	;;#ASMSTART
	v_dot2_f32_f16 v114, v1, v62, v114
	;;#ASMEND
	;;#ASMSTART
	v_dot2_f32_f16 v114, v2, v63, v114
	;;#ASMEND
	;;#ASMSTART
	v_dot2_f32_f16 v114, v3, v64, v114
	;;#ASMEND
	;;#ASMSTART
	v_dot2_f32_f16 v114, v4, v65, v114
	;;#ASMEND
	s_waitcnt lgkmcnt(3)
	;;#ASMSTART
	v_dot2_f32_f16 v112, v1, v76, v112
	;;#ASMEND
	;;#ASMSTART
	v_dot2_f32_f16 v112, v2, v77, v112
	;;#ASMEND
	;;#ASMSTART
	v_dot2_f32_f16 v112, v3, v78, v112
	;;#ASMEND
	;;#ASMSTART
	v_dot2_f32_f16 v112, v4, v79, v112
	;;#ASMEND
	s_waitcnt lgkmcnt(2)
	;;#ASMSTART
	v_dot2_f32_f16 v113, v1, v80, v113
	;;#ASMEND
	;;#ASMSTART
	v_dot2_f32_f16 v113, v2, v81, v113
	;;#ASMEND
	;;#ASMSTART
	v_dot2_f32_f16 v113, v3, v82, v113
	;;#ASMEND
	;;#ASMSTART
	v_dot2_f32_f16 v113, v4, v83, v113
	;;#ASMEND
	s_waitcnt lgkmcnt(1)
	;;#ASMSTART
	v_dot2_f32_f16 v115, v1, v117, v115
	;;#ASMEND
	;;#ASMSTART
	v_dot2_f32_f16 v115, v2, v118, v115
	;;#ASMEND
	;;#ASMSTART
	v_dot2_f32_f16 v115, v3, v119, v115
	;;#ASMEND
	;;#ASMSTART
	v_dot2_f32_f16 v115, v4, v120, v115
	;;#ASMEND
	s_waitcnt lgkmcnt(0)
	;;#ASMSTART
	v_dot2_f32_f16 v116, v1, v121, v116
	;;#ASMEND
	;;#ASMSTART
	v_dot2_f32_f16 v116, v2, v122, v116
	;;#ASMEND
	;;#ASMSTART
	v_dot2_f32_f16 v116, v3, v123, v116
	;;#ASMEND
	;;#ASMSTART
	v_dot2_f32_f16 v116, v4, v124, v116
	;;#ASMEND
	;;#ASMSTART
	v_dot2_f32_f16 v37, v5, v43, v37
	;;#ASMEND
	;;#ASMSTART
	v_dot2_f32_f16 v37, v6, v44, v37
	;;#ASMEND
	;; [unrolled: 3-line block ×32, first 2 shown]
	ds_read_b128 v[1:4], v66 offset:48
	ds_read_b128 v[5:8], v66 offset:2608
	;; [unrolled: 1-line block ×10, first 2 shown]
	s_waitcnt lgkmcnt(7)
	;;#ASMSTART
	v_dot2_f32_f16 v109, v1, v43, v109
	;;#ASMEND
	;;#ASMSTART
	v_dot2_f32_f16 v109, v2, v44, v109
	;;#ASMEND
	;;#ASMSTART
	v_dot2_f32_f16 v109, v3, v45, v109
	;;#ASMEND
	;;#ASMSTART
	v_dot2_f32_f16 v109, v4, v46, v109
	;;#ASMEND
	s_waitcnt lgkmcnt(6)
	;;#ASMSTART
	v_dot2_f32_f16 v110, v1, v47, v110
	;;#ASMEND
	;;#ASMSTART
	v_dot2_f32_f16 v110, v2, v48, v110
	;;#ASMEND
	;;#ASMSTART
	v_dot2_f32_f16 v110, v3, v49, v110
	;;#ASMEND
	;;#ASMSTART
	v_dot2_f32_f16 v110, v4, v50, v110
	;;#ASMEND
	;; [unrolled: 13-line block ×8, first 2 shown]
	;;#ASMSTART
	v_dot2_f32_f16 v37, v5, v43, v37
	;;#ASMEND
	;;#ASMSTART
	v_dot2_f32_f16 v37, v6, v44, v37
	;;#ASMEND
	;; [unrolled: 3-line block ×32, first 2 shown]
	s_barrier
	global_load_dwordx4 v[1:4], v[41:42], off offset:64
	s_waitcnt vmcnt(0)
	ds_write_b128 v53, v[1:4]
	s_waitcnt lgkmcnt(0)
	s_barrier
	ds_read_b128 v[1:4], v66
	ds_read_b128 v[5:8], v66 offset:2560
	ds_read_b128 v[43:46], v54 offset:64
	;; [unrolled: 1-line block ×9, first 2 shown]
	s_waitcnt lgkmcnt(7)
	;;#ASMSTART
	v_dot2_f32_f16 v109, v1, v43, v109
	;;#ASMEND
	;;#ASMSTART
	v_dot2_f32_f16 v109, v2, v44, v109
	;;#ASMEND
	;;#ASMSTART
	v_dot2_f32_f16 v109, v3, v45, v109
	;;#ASMEND
	;;#ASMSTART
	v_dot2_f32_f16 v109, v4, v46, v109
	;;#ASMEND
	s_waitcnt lgkmcnt(6)
	;;#ASMSTART
	v_dot2_f32_f16 v110, v1, v47, v110
	;;#ASMEND
	;;#ASMSTART
	v_dot2_f32_f16 v110, v2, v48, v110
	;;#ASMEND
	;;#ASMSTART
	v_dot2_f32_f16 v110, v3, v49, v110
	;;#ASMEND
	;;#ASMSTART
	v_dot2_f32_f16 v110, v4, v50, v110
	;;#ASMEND
	;; [unrolled: 13-line block ×8, first 2 shown]
	;;#ASMSTART
	v_dot2_f32_f16 v37, v5, v43, v37
	;;#ASMEND
	;;#ASMSTART
	v_dot2_f32_f16 v37, v6, v44, v37
	;;#ASMEND
	;; [unrolled: 3-line block ×32, first 2 shown]
	ds_read_b128 v[1:4], v66 offset:16
	ds_read_b128 v[5:8], v66 offset:2576
	ds_read_b128 v[43:46], v54 offset:80
	ds_read_b128 v[47:50], v54 offset:336
	ds_read_b128 v[58:61], v54 offset:592
	ds_read_b128 v[62:65], v54 offset:848
	ds_read_b128 v[76:79], v54 offset:1104
	ds_read_b128 v[80:83], v54 offset:1360
	ds_read_b128 v[117:120], v54 offset:1616
	ds_read_b128 v[121:124], v54 offset:1872
	s_waitcnt lgkmcnt(7)
	;;#ASMSTART
	v_dot2_f32_f16 v109, v1, v43, v109
	;;#ASMEND
	;;#ASMSTART
	v_dot2_f32_f16 v109, v2, v44, v109
	;;#ASMEND
	;;#ASMSTART
	v_dot2_f32_f16 v109, v3, v45, v109
	;;#ASMEND
	;;#ASMSTART
	v_dot2_f32_f16 v109, v4, v46, v109
	;;#ASMEND
	s_waitcnt lgkmcnt(6)
	;;#ASMSTART
	v_dot2_f32_f16 v110, v1, v47, v110
	;;#ASMEND
	;;#ASMSTART
	v_dot2_f32_f16 v110, v2, v48, v110
	;;#ASMEND
	;;#ASMSTART
	v_dot2_f32_f16 v110, v3, v49, v110
	;;#ASMEND
	;;#ASMSTART
	v_dot2_f32_f16 v110, v4, v50, v110
	;;#ASMEND
	;; [unrolled: 13-line block ×8, first 2 shown]
	;;#ASMSTART
	v_dot2_f32_f16 v37, v5, v43, v37
	;;#ASMEND
	;;#ASMSTART
	v_dot2_f32_f16 v37, v6, v44, v37
	;;#ASMEND
	;; [unrolled: 3-line block ×32, first 2 shown]
	ds_read_b128 v[1:4], v66 offset:32
	ds_read_b128 v[5:8], v66 offset:2592
	;; [unrolled: 1-line block ×10, first 2 shown]
	s_waitcnt lgkmcnt(7)
	;;#ASMSTART
	v_dot2_f32_f16 v109, v1, v43, v109
	;;#ASMEND
	;;#ASMSTART
	v_dot2_f32_f16 v109, v2, v44, v109
	;;#ASMEND
	;;#ASMSTART
	v_dot2_f32_f16 v109, v3, v45, v109
	;;#ASMEND
	;;#ASMSTART
	v_dot2_f32_f16 v109, v4, v46, v109
	;;#ASMEND
	s_waitcnt lgkmcnt(6)
	;;#ASMSTART
	v_dot2_f32_f16 v110, v1, v47, v110
	;;#ASMEND
	;;#ASMSTART
	v_dot2_f32_f16 v110, v2, v48, v110
	;;#ASMEND
	;;#ASMSTART
	v_dot2_f32_f16 v110, v3, v49, v110
	;;#ASMEND
	;;#ASMSTART
	v_dot2_f32_f16 v110, v4, v50, v110
	;;#ASMEND
	;; [unrolled: 13-line block ×8, first 2 shown]
	;;#ASMSTART
	v_dot2_f32_f16 v37, v5, v43, v37
	;;#ASMEND
	;;#ASMSTART
	v_dot2_f32_f16 v37, v6, v44, v37
	;;#ASMEND
	;; [unrolled: 3-line block ×32, first 2 shown]
	ds_read_b128 v[1:4], v66 offset:48
	ds_read_b128 v[5:8], v66 offset:2608
	;; [unrolled: 1-line block ×10, first 2 shown]
	s_waitcnt lgkmcnt(7)
	;;#ASMSTART
	v_dot2_f32_f16 v109, v1, v43, v109
	;;#ASMEND
	;;#ASMSTART
	v_dot2_f32_f16 v109, v2, v44, v109
	;;#ASMEND
	;;#ASMSTART
	v_dot2_f32_f16 v109, v3, v45, v109
	;;#ASMEND
	;;#ASMSTART
	v_dot2_f32_f16 v109, v4, v46, v109
	;;#ASMEND
	s_waitcnt lgkmcnt(6)
	;;#ASMSTART
	v_dot2_f32_f16 v110, v1, v47, v110
	;;#ASMEND
	;;#ASMSTART
	v_dot2_f32_f16 v110, v2, v48, v110
	;;#ASMEND
	;;#ASMSTART
	v_dot2_f32_f16 v110, v3, v49, v110
	;;#ASMEND
	;;#ASMSTART
	v_dot2_f32_f16 v110, v4, v50, v110
	;;#ASMEND
	s_waitcnt lgkmcnt(5)
	;;#ASMSTART
	v_dot2_f32_f16 v111, v1, v58, v111
	;;#ASMEND
	;;#ASMSTART
	v_dot2_f32_f16 v111, v2, v59, v111
	;;#ASMEND
	;;#ASMSTART
	v_dot2_f32_f16 v111, v3, v60, v111
	;;#ASMEND
	;;#ASMSTART
	v_dot2_f32_f16 v111, v4, v61, v111
	;;#ASMEND
	s_waitcnt lgkmcnt(4)
	;;#ASMSTART
	v_dot2_f32_f16 v114, v1, v62, v114
	;;#ASMEND
	;;#ASMSTART
	v_dot2_f32_f16 v114, v2, v63, v114
	;;#ASMEND
	;;#ASMSTART
	v_dot2_f32_f16 v114, v3, v64, v114
	;;#ASMEND
	;;#ASMSTART
	v_dot2_f32_f16 v114, v4, v65, v114
	;;#ASMEND
	s_waitcnt lgkmcnt(3)
	;;#ASMSTART
	v_dot2_f32_f16 v112, v1, v76, v112
	;;#ASMEND
	;;#ASMSTART
	v_dot2_f32_f16 v112, v2, v77, v112
	;;#ASMEND
	;;#ASMSTART
	v_dot2_f32_f16 v112, v3, v78, v112
	;;#ASMEND
	;;#ASMSTART
	v_dot2_f32_f16 v112, v4, v79, v112
	;;#ASMEND
	s_waitcnt lgkmcnt(2)
	;;#ASMSTART
	v_dot2_f32_f16 v113, v1, v80, v113
	;;#ASMEND
	;;#ASMSTART
	v_dot2_f32_f16 v113, v2, v81, v113
	;;#ASMEND
	;;#ASMSTART
	v_dot2_f32_f16 v113, v3, v82, v113
	;;#ASMEND
	;;#ASMSTART
	v_dot2_f32_f16 v113, v4, v83, v113
	;;#ASMEND
	s_waitcnt lgkmcnt(1)
	;;#ASMSTART
	v_dot2_f32_f16 v115, v1, v117, v115
	;;#ASMEND
	;;#ASMSTART
	v_dot2_f32_f16 v115, v2, v118, v115
	;;#ASMEND
	;;#ASMSTART
	v_dot2_f32_f16 v115, v3, v119, v115
	;;#ASMEND
	;;#ASMSTART
	v_dot2_f32_f16 v115, v4, v120, v115
	;;#ASMEND
	s_waitcnt lgkmcnt(0)
	;;#ASMSTART
	v_dot2_f32_f16 v116, v1, v121, v116
	;;#ASMEND
	;;#ASMSTART
	v_dot2_f32_f16 v116, v2, v122, v116
	;;#ASMEND
	;;#ASMSTART
	v_dot2_f32_f16 v116, v3, v123, v116
	;;#ASMEND
	;;#ASMSTART
	v_dot2_f32_f16 v116, v4, v124, v116
	;;#ASMEND
	;;#ASMSTART
	v_dot2_f32_f16 v37, v5, v43, v37
	;;#ASMEND
	;;#ASMSTART
	v_dot2_f32_f16 v37, v6, v44, v37
	;;#ASMEND
	;; [unrolled: 3-line block ×32, first 2 shown]
	s_barrier
	global_load_dwordx4 v[1:4], v[41:42], off offset:128
	s_waitcnt vmcnt(0)
	ds_write_b128 v53, v[1:4]
	s_waitcnt lgkmcnt(0)
	s_barrier
	ds_read_b128 v[1:4], v66
	ds_read_b128 v[5:8], v66 offset:2560
	ds_read_b128 v[43:46], v54 offset:128
	;; [unrolled: 1-line block ×9, first 2 shown]
	s_waitcnt lgkmcnt(7)
	;;#ASMSTART
	v_dot2_f32_f16 v109, v1, v43, v109
	;;#ASMEND
	;;#ASMSTART
	v_dot2_f32_f16 v109, v2, v44, v109
	;;#ASMEND
	;;#ASMSTART
	v_dot2_f32_f16 v109, v3, v45, v109
	;;#ASMEND
	;;#ASMSTART
	v_dot2_f32_f16 v109, v4, v46, v109
	;;#ASMEND
	s_waitcnt lgkmcnt(6)
	;;#ASMSTART
	v_dot2_f32_f16 v110, v1, v47, v110
	;;#ASMEND
	;;#ASMSTART
	v_dot2_f32_f16 v110, v2, v48, v110
	;;#ASMEND
	;;#ASMSTART
	v_dot2_f32_f16 v110, v3, v49, v110
	;;#ASMEND
	;;#ASMSTART
	v_dot2_f32_f16 v110, v4, v50, v110
	;;#ASMEND
	;; [unrolled: 13-line block ×8, first 2 shown]
	;;#ASMSTART
	v_dot2_f32_f16 v37, v5, v43, v37
	;;#ASMEND
	;;#ASMSTART
	v_dot2_f32_f16 v37, v6, v44, v37
	;;#ASMEND
	;; [unrolled: 3-line block ×32, first 2 shown]
	ds_read_b128 v[1:4], v66 offset:16
	ds_read_b128 v[5:8], v66 offset:2576
	;; [unrolled: 1-line block ×10, first 2 shown]
	s_waitcnt lgkmcnt(7)
	;;#ASMSTART
	v_dot2_f32_f16 v109, v1, v43, v109
	;;#ASMEND
	;;#ASMSTART
	v_dot2_f32_f16 v109, v2, v44, v109
	;;#ASMEND
	;;#ASMSTART
	v_dot2_f32_f16 v109, v3, v45, v109
	;;#ASMEND
	;;#ASMSTART
	v_dot2_f32_f16 v109, v4, v46, v109
	;;#ASMEND
	s_waitcnt lgkmcnt(6)
	;;#ASMSTART
	v_dot2_f32_f16 v110, v1, v47, v110
	;;#ASMEND
	;;#ASMSTART
	v_dot2_f32_f16 v110, v2, v48, v110
	;;#ASMEND
	;;#ASMSTART
	v_dot2_f32_f16 v110, v3, v49, v110
	;;#ASMEND
	;;#ASMSTART
	v_dot2_f32_f16 v110, v4, v50, v110
	;;#ASMEND
	;; [unrolled: 13-line block ×8, first 2 shown]
	;;#ASMSTART
	v_dot2_f32_f16 v37, v5, v43, v37
	;;#ASMEND
	;;#ASMSTART
	v_dot2_f32_f16 v37, v6, v44, v37
	;;#ASMEND
	;;#ASMSTART
	v_dot2_f32_f16 v37, v7, v45, v37
	;;#ASMEND
	;;#ASMSTART
	v_dot2_f32_f16 v37, v8, v46, v37
	;;#ASMEND
	;;#ASMSTART
	v_dot2_f32_f16 v33, v5, v47, v33
	;;#ASMEND
	;;#ASMSTART
	v_dot2_f32_f16 v33, v6, v48, v33
	;;#ASMEND
	;;#ASMSTART
	v_dot2_f32_f16 v33, v7, v49, v33
	;;#ASMEND
	;;#ASMSTART
	v_dot2_f32_f16 v33, v8, v50, v33
	;;#ASMEND
	;;#ASMSTART
	v_dot2_f32_f16 v29, v5, v58, v29
	;;#ASMEND
	;;#ASMSTART
	v_dot2_f32_f16 v29, v6, v59, v29
	;;#ASMEND
	;;#ASMSTART
	v_dot2_f32_f16 v29, v7, v60, v29
	;;#ASMEND
	;;#ASMSTART
	v_dot2_f32_f16 v29, v8, v61, v29
	;;#ASMEND
	;;#ASMSTART
	v_dot2_f32_f16 v25, v5, v62, v25
	;;#ASMEND
	;;#ASMSTART
	v_dot2_f32_f16 v25, v6, v63, v25
	;;#ASMEND
	;;#ASMSTART
	v_dot2_f32_f16 v25, v7, v64, v25
	;;#ASMEND
	;;#ASMSTART
	v_dot2_f32_f16 v25, v8, v65, v25
	;;#ASMEND
	;;#ASMSTART
	v_dot2_f32_f16 v21, v5, v76, v21
	;;#ASMEND
	;;#ASMSTART
	v_dot2_f32_f16 v21, v6, v77, v21
	;;#ASMEND
	;;#ASMSTART
	v_dot2_f32_f16 v21, v7, v78, v21
	;;#ASMEND
	;;#ASMSTART
	v_dot2_f32_f16 v21, v8, v79, v21
	;;#ASMEND
	;;#ASMSTART
	v_dot2_f32_f16 v17, v5, v80, v17
	;;#ASMEND
	;;#ASMSTART
	v_dot2_f32_f16 v17, v6, v81, v17
	;;#ASMEND
	;;#ASMSTART
	v_dot2_f32_f16 v17, v7, v82, v17
	;;#ASMEND
	;;#ASMSTART
	v_dot2_f32_f16 v17, v8, v83, v17
	;;#ASMEND
	;;#ASMSTART
	v_dot2_f32_f16 v13, v5, v117, v13
	;;#ASMEND
	;;#ASMSTART
	v_dot2_f32_f16 v13, v6, v118, v13
	;;#ASMEND
	;;#ASMSTART
	v_dot2_f32_f16 v13, v7, v119, v13
	;;#ASMEND
	;;#ASMSTART
	v_dot2_f32_f16 v13, v8, v120, v13
	;;#ASMEND
	;;#ASMSTART
	v_dot2_f32_f16 v9, v5, v121, v9
	;;#ASMEND
	;;#ASMSTART
	v_dot2_f32_f16 v9, v6, v122, v9
	;;#ASMEND
	;;#ASMSTART
	v_dot2_f32_f16 v9, v7, v123, v9
	;;#ASMEND
	;;#ASMSTART
	v_dot2_f32_f16 v9, v8, v124, v9
	;;#ASMEND
	ds_read_b128 v[1:4], v66 offset:32
	ds_read_b128 v[5:8], v66 offset:2592
	;; [unrolled: 1-line block ×10, first 2 shown]
	s_waitcnt lgkmcnt(7)
	;;#ASMSTART
	v_dot2_f32_f16 v109, v1, v43, v109
	;;#ASMEND
	;;#ASMSTART
	v_dot2_f32_f16 v109, v2, v44, v109
	;;#ASMEND
	;;#ASMSTART
	v_dot2_f32_f16 v109, v3, v45, v109
	;;#ASMEND
	;;#ASMSTART
	v_dot2_f32_f16 v109, v4, v46, v109
	;;#ASMEND
	s_waitcnt lgkmcnt(6)
	;;#ASMSTART
	v_dot2_f32_f16 v110, v1, v47, v110
	;;#ASMEND
	;;#ASMSTART
	v_dot2_f32_f16 v110, v2, v48, v110
	;;#ASMEND
	;;#ASMSTART
	v_dot2_f32_f16 v110, v3, v49, v110
	;;#ASMEND
	;;#ASMSTART
	v_dot2_f32_f16 v110, v4, v50, v110
	;;#ASMEND
	;; [unrolled: 13-line block ×8, first 2 shown]
	;;#ASMSTART
	v_dot2_f32_f16 v37, v5, v43, v37
	;;#ASMEND
	;;#ASMSTART
	v_dot2_f32_f16 v37, v6, v44, v37
	;;#ASMEND
	;; [unrolled: 3-line block ×32, first 2 shown]
	ds_read_b128 v[1:4], v66 offset:48
	ds_read_b128 v[5:8], v66 offset:2608
	;; [unrolled: 1-line block ×10, first 2 shown]
	s_waitcnt lgkmcnt(7)
	;;#ASMSTART
	v_dot2_f32_f16 v109, v1, v43, v109
	;;#ASMEND
	;;#ASMSTART
	v_dot2_f32_f16 v109, v2, v44, v109
	;;#ASMEND
	;;#ASMSTART
	v_dot2_f32_f16 v109, v3, v45, v109
	;;#ASMEND
	;;#ASMSTART
	v_dot2_f32_f16 v109, v4, v46, v109
	;;#ASMEND
	s_waitcnt lgkmcnt(6)
	;;#ASMSTART
	v_dot2_f32_f16 v110, v1, v47, v110
	;;#ASMEND
	;;#ASMSTART
	v_dot2_f32_f16 v110, v2, v48, v110
	;;#ASMEND
	;;#ASMSTART
	v_dot2_f32_f16 v110, v3, v49, v110
	;;#ASMEND
	;;#ASMSTART
	v_dot2_f32_f16 v110, v4, v50, v110
	;;#ASMEND
	;; [unrolled: 13-line block ×8, first 2 shown]
	;;#ASMSTART
	v_dot2_f32_f16 v37, v5, v43, v37
	;;#ASMEND
	;;#ASMSTART
	v_dot2_f32_f16 v37, v6, v44, v37
	;;#ASMEND
	;;#ASMSTART
	v_dot2_f32_f16 v37, v7, v45, v37
	;;#ASMEND
	;;#ASMSTART
	v_dot2_f32_f16 v37, v8, v46, v37
	;;#ASMEND
	;;#ASMSTART
	v_dot2_f32_f16 v33, v5, v47, v33
	;;#ASMEND
	;;#ASMSTART
	v_dot2_f32_f16 v33, v6, v48, v33
	;;#ASMEND
	;;#ASMSTART
	v_dot2_f32_f16 v33, v7, v49, v33
	;;#ASMEND
	;;#ASMSTART
	v_dot2_f32_f16 v33, v8, v50, v33
	;;#ASMEND
	;;#ASMSTART
	v_dot2_f32_f16 v29, v5, v58, v29
	;;#ASMEND
	;;#ASMSTART
	v_dot2_f32_f16 v29, v6, v59, v29
	;;#ASMEND
	;;#ASMSTART
	v_dot2_f32_f16 v29, v7, v60, v29
	;;#ASMEND
	;;#ASMSTART
	v_dot2_f32_f16 v29, v8, v61, v29
	;;#ASMEND
	;;#ASMSTART
	v_dot2_f32_f16 v25, v5, v62, v25
	;;#ASMEND
	;;#ASMSTART
	v_dot2_f32_f16 v25, v6, v63, v25
	;;#ASMEND
	;;#ASMSTART
	v_dot2_f32_f16 v25, v7, v64, v25
	;;#ASMEND
	;;#ASMSTART
	v_dot2_f32_f16 v25, v8, v65, v25
	;;#ASMEND
	;;#ASMSTART
	v_dot2_f32_f16 v21, v5, v76, v21
	;;#ASMEND
	;;#ASMSTART
	v_dot2_f32_f16 v21, v6, v77, v21
	;;#ASMEND
	;;#ASMSTART
	v_dot2_f32_f16 v21, v7, v78, v21
	;;#ASMEND
	;;#ASMSTART
	v_dot2_f32_f16 v21, v8, v79, v21
	;;#ASMEND
	;;#ASMSTART
	v_dot2_f32_f16 v17, v5, v80, v17
	;;#ASMEND
	;;#ASMSTART
	v_dot2_f32_f16 v17, v6, v81, v17
	;;#ASMEND
	;;#ASMSTART
	v_dot2_f32_f16 v17, v7, v82, v17
	;;#ASMEND
	;;#ASMSTART
	v_dot2_f32_f16 v17, v8, v83, v17
	;;#ASMEND
	;;#ASMSTART
	v_dot2_f32_f16 v13, v5, v117, v13
	;;#ASMEND
	;;#ASMSTART
	v_dot2_f32_f16 v13, v6, v118, v13
	;;#ASMEND
	;;#ASMSTART
	v_dot2_f32_f16 v13, v7, v119, v13
	;;#ASMEND
	;;#ASMSTART
	v_dot2_f32_f16 v13, v8, v120, v13
	;;#ASMEND
	;;#ASMSTART
	v_dot2_f32_f16 v9, v5, v121, v9
	;;#ASMEND
	;;#ASMSTART
	v_dot2_f32_f16 v9, v6, v122, v9
	;;#ASMEND
	;;#ASMSTART
	v_dot2_f32_f16 v9, v7, v123, v9
	;;#ASMEND
	;;#ASMSTART
	v_dot2_f32_f16 v9, v8, v124, v9
	;;#ASMEND
	s_barrier
	global_load_dwordx4 v[1:4], v[41:42], off offset:192
	s_waitcnt vmcnt(0)
	ds_write_b128 v53, v[1:4]
	s_waitcnt lgkmcnt(0)
	s_barrier
	ds_read_b128 v[1:4], v66
	ds_read_b128 v[5:8], v66 offset:2560
	ds_read_b128 v[38:41], v54 offset:192
	ds_read_b128 v[42:45], v54 offset:448
	ds_read_b128 v[46:49], v54 offset:704
	ds_read_b128 v[58:61], v54 offset:960
	ds_read_b128 v[62:65], v54 offset:1216
	ds_read_b128 v[76:79], v54 offset:1472
	ds_read_b128 v[80:83], v54 offset:1728
	ds_read_b128 v[117:120], v54 offset:1984
	s_waitcnt lgkmcnt(7)
	;;#ASMSTART
	v_dot2_f32_f16 v109, v1, v38, v109
	;;#ASMEND
	;;#ASMSTART
	v_dot2_f32_f16 v109, v2, v39, v109
	;;#ASMEND
	;;#ASMSTART
	v_dot2_f32_f16 v109, v3, v40, v109
	;;#ASMEND
	;;#ASMSTART
	v_dot2_f32_f16 v109, v4, v41, v109
	;;#ASMEND
	s_waitcnt lgkmcnt(6)
	;;#ASMSTART
	v_dot2_f32_f16 v110, v1, v42, v110
	;;#ASMEND
	;;#ASMSTART
	v_dot2_f32_f16 v110, v2, v43, v110
	;;#ASMEND
	;;#ASMSTART
	v_dot2_f32_f16 v110, v3, v44, v110
	;;#ASMEND
	;;#ASMSTART
	v_dot2_f32_f16 v110, v4, v45, v110
	;;#ASMEND
	;; [unrolled: 13-line block ×8, first 2 shown]
	;;#ASMSTART
	v_dot2_f32_f16 v37, v5, v38, v37
	;;#ASMEND
	;;#ASMSTART
	v_dot2_f32_f16 v37, v6, v39, v37
	;;#ASMEND
	;;#ASMSTART
	v_dot2_f32_f16 v37, v7, v40, v37
	;;#ASMEND
	;;#ASMSTART
	v_dot2_f32_f16 v37, v8, v41, v37
	;;#ASMEND
	;;#ASMSTART
	v_dot2_f32_f16 v33, v5, v42, v33
	;;#ASMEND
	;;#ASMSTART
	v_dot2_f32_f16 v33, v6, v43, v33
	;;#ASMEND
	;;#ASMSTART
	v_dot2_f32_f16 v33, v7, v44, v33
	;;#ASMEND
	;;#ASMSTART
	v_dot2_f32_f16 v33, v8, v45, v33
	;;#ASMEND
	;;#ASMSTART
	v_dot2_f32_f16 v29, v5, v46, v29
	;;#ASMEND
	;;#ASMSTART
	v_dot2_f32_f16 v29, v6, v47, v29
	;;#ASMEND
	;;#ASMSTART
	v_dot2_f32_f16 v29, v7, v48, v29
	;;#ASMEND
	;;#ASMSTART
	v_dot2_f32_f16 v29, v8, v49, v29
	;;#ASMEND
	;;#ASMSTART
	v_dot2_f32_f16 v25, v5, v58, v25
	;;#ASMEND
	;;#ASMSTART
	v_dot2_f32_f16 v25, v6, v59, v25
	;;#ASMEND
	;;#ASMSTART
	v_dot2_f32_f16 v25, v7, v60, v25
	;;#ASMEND
	;;#ASMSTART
	v_dot2_f32_f16 v25, v8, v61, v25
	;;#ASMEND
	;;#ASMSTART
	v_dot2_f32_f16 v21, v5, v62, v21
	;;#ASMEND
	;;#ASMSTART
	v_dot2_f32_f16 v21, v6, v63, v21
	;;#ASMEND
	;;#ASMSTART
	v_dot2_f32_f16 v21, v7, v64, v21
	;;#ASMEND
	;;#ASMSTART
	v_dot2_f32_f16 v21, v8, v65, v21
	;;#ASMEND
	;;#ASMSTART
	v_dot2_f32_f16 v17, v5, v76, v17
	;;#ASMEND
	;;#ASMSTART
	v_dot2_f32_f16 v17, v6, v77, v17
	;;#ASMEND
	;;#ASMSTART
	v_dot2_f32_f16 v17, v7, v78, v17
	;;#ASMEND
	;;#ASMSTART
	v_dot2_f32_f16 v17, v8, v79, v17
	;;#ASMEND
	;;#ASMSTART
	v_dot2_f32_f16 v13, v5, v80, v13
	;;#ASMEND
	;;#ASMSTART
	v_dot2_f32_f16 v13, v6, v81, v13
	;;#ASMEND
	;;#ASMSTART
	v_dot2_f32_f16 v13, v7, v82, v13
	;;#ASMEND
	;;#ASMSTART
	v_dot2_f32_f16 v13, v8, v83, v13
	;;#ASMEND
	;;#ASMSTART
	v_dot2_f32_f16 v9, v5, v117, v9
	;;#ASMEND
	;;#ASMSTART
	v_dot2_f32_f16 v9, v6, v118, v9
	;;#ASMEND
	;;#ASMSTART
	v_dot2_f32_f16 v9, v7, v119, v9
	;;#ASMEND
	;;#ASMSTART
	v_dot2_f32_f16 v9, v8, v120, v9
	;;#ASMEND
	ds_read_b128 v[1:4], v66 offset:16
	ds_read_b128 v[5:8], v66 offset:2576
	ds_read_b128 v[38:41], v54 offset:208
	ds_read_b128 v[42:45], v54 offset:464
	ds_read_b128 v[46:49], v54 offset:720
	ds_read_b128 v[58:61], v54 offset:976
	ds_read_b128 v[62:65], v54 offset:1232
	ds_read_b128 v[76:79], v54 offset:1488
	ds_read_b128 v[80:83], v54 offset:1744
	ds_read_b128 v[117:120], v54 offset:2000
	s_waitcnt lgkmcnt(7)
	;;#ASMSTART
	v_dot2_f32_f16 v109, v1, v38, v109
	;;#ASMEND
	;;#ASMSTART
	v_dot2_f32_f16 v109, v2, v39, v109
	;;#ASMEND
	;;#ASMSTART
	v_dot2_f32_f16 v109, v3, v40, v109
	;;#ASMEND
	;;#ASMSTART
	v_dot2_f32_f16 v109, v4, v41, v109
	;;#ASMEND
	s_waitcnt lgkmcnt(6)
	;;#ASMSTART
	v_dot2_f32_f16 v110, v1, v42, v110
	;;#ASMEND
	;;#ASMSTART
	v_dot2_f32_f16 v110, v2, v43, v110
	;;#ASMEND
	;;#ASMSTART
	v_dot2_f32_f16 v110, v3, v44, v110
	;;#ASMEND
	;;#ASMSTART
	v_dot2_f32_f16 v110, v4, v45, v110
	;;#ASMEND
	;; [unrolled: 13-line block ×8, first 2 shown]
	;;#ASMSTART
	v_dot2_f32_f16 v37, v5, v38, v37
	;;#ASMEND
	;;#ASMSTART
	v_dot2_f32_f16 v37, v6, v39, v37
	;;#ASMEND
	;; [unrolled: 3-line block ×32, first 2 shown]
	ds_read_b128 v[1:4], v66 offset:32
	ds_read_b128 v[5:8], v66 offset:2592
	;; [unrolled: 1-line block ×10, first 2 shown]
	s_waitcnt lgkmcnt(7)
	;;#ASMSTART
	v_dot2_f32_f16 v109, v1, v38, v109
	;;#ASMEND
	;;#ASMSTART
	v_dot2_f32_f16 v109, v2, v39, v109
	;;#ASMEND
	;;#ASMSTART
	v_dot2_f32_f16 v109, v3, v40, v109
	;;#ASMEND
	;;#ASMSTART
	v_dot2_f32_f16 v109, v4, v41, v109
	;;#ASMEND
	s_waitcnt lgkmcnt(6)
	;;#ASMSTART
	v_dot2_f32_f16 v110, v1, v42, v110
	;;#ASMEND
	;;#ASMSTART
	v_dot2_f32_f16 v110, v2, v43, v110
	;;#ASMEND
	;;#ASMSTART
	v_dot2_f32_f16 v110, v3, v44, v110
	;;#ASMEND
	;;#ASMSTART
	v_dot2_f32_f16 v110, v4, v45, v110
	;;#ASMEND
	;; [unrolled: 13-line block ×8, first 2 shown]
	;;#ASMSTART
	v_dot2_f32_f16 v37, v5, v38, v37
	;;#ASMEND
	;;#ASMSTART
	v_dot2_f32_f16 v37, v6, v39, v37
	;;#ASMEND
	;; [unrolled: 3-line block ×32, first 2 shown]
	ds_read_b128 v[1:4], v66 offset:48
	ds_read_b128 v[5:8], v66 offset:2608
	;; [unrolled: 1-line block ×10, first 2 shown]
	s_waitcnt lgkmcnt(7)
	;;#ASMSTART
	v_dot2_f32_f16 v109, v1, v38, v109
	;;#ASMEND
	;;#ASMSTART
	v_dot2_f32_f16 v109, v2, v39, v109
	;;#ASMEND
	;;#ASMSTART
	v_dot2_f32_f16 v109, v3, v40, v109
	;;#ASMEND
	;;#ASMSTART
	v_dot2_f32_f16 v109, v4, v41, v109
	;;#ASMEND
	s_waitcnt lgkmcnt(6)
	;;#ASMSTART
	v_dot2_f32_f16 v110, v1, v42, v110
	;;#ASMEND
	;;#ASMSTART
	v_dot2_f32_f16 v110, v2, v43, v110
	;;#ASMEND
	;;#ASMSTART
	v_dot2_f32_f16 v110, v3, v44, v110
	;;#ASMEND
	;;#ASMSTART
	v_dot2_f32_f16 v110, v4, v45, v110
	;;#ASMEND
	;; [unrolled: 13-line block ×8, first 2 shown]
	;;#ASMSTART
	v_dot2_f32_f16 v37, v5, v38, v37
	;;#ASMEND
	;;#ASMSTART
	v_dot2_f32_f16 v37, v6, v39, v37
	;;#ASMEND
	;; [unrolled: 3-line block ×27, first 2 shown]
	v_mov_b32_e32 v79, v15
	;;#ASMSTART
	v_dot2_f32_f16 v13, v8, v83, v13
	;;#ASMEND
	;;#ASMSTART
	v_dot2_f32_f16 v9, v5, v117, v9
	;;#ASMEND
	;;#ASMSTART
	v_dot2_f32_f16 v9, v6, v118, v9
	;;#ASMEND
	v_cmp_lt_i32_e32 vcc, v79, v57
	v_mov_b32_e32 v77, v12
	;;#ASMSTART
	v_dot2_f32_f16 v9, v7, v119, v9
	;;#ASMEND
	v_cndmask_b32_e32 v1, v56, v79, vcc
	v_cmp_lt_i32_e32 vcc, v52, v57
	v_mov_b32_e32 v78, v14
	;;#ASMSTART
	v_dot2_f32_f16 v9, v8, v120, v9
	;;#ASMEND
	v_lshlrev_b32_e32 v8, 2, v1
	v_cndmask_b32_e32 v1, v56, v52, vcc
	v_cmp_lt_i32_e32 vcc, v77, v57
	v_mov_b32_e32 v76, v11
	v_lshlrev_b32_e32 v11, 2, v1
	v_cndmask_b32_e32 v1, v56, v77, vcc
	v_cmp_lt_i32_e32 vcc, v78, v57
	v_lshlrev_b32_e32 v14, 2, v1
	v_cndmask_b32_e32 v1, v56, v78, vcc
	v_cmp_lt_i32_e32 vcc, v76, v57
	v_lshlrev_b32_e32 v15, 2, v1
	v_cndmask_b32_e32 v1, v56, v76, vcc
	v_lshlrev_b32_e32 v20, 2, v1
	buffer_load_dword v1, off, s[48:51], 0 offset:8 ; 4-byte Folded Reload
	v_mov_b32_e32 v62, v10
	buffer_load_dword v10, off, s[48:51], 0 offset:16 ; 4-byte Folded Reload
	v_add_u32_e32 v5, s6, v62
	s_waitcnt vmcnt(1)
	v_add_u32_e32 v1, v5, v1
	v_ashrrev_i32_e32 v2, 31, v1
	v_lshlrev_b64 v[1:2], 1, v[1:2]
	v_add_co_u32_e32 v1, vcc, s34, v1
	s_waitcnt vmcnt(0)
	v_addc_co_u32_e32 v2, vcc, v10, v2, vcc
	global_load_ushort v3, v[1:2], off
	s_waitcnt vmcnt(0)
	v_cvt_f32_f16_e32 v4, v3
	global_load_ushort v1, v[1:2], off offset:64
	v_add_f32_e32 v26, v114, v4
	v_add_f32_e32 v22, v109, v4
	;; [unrolled: 1-line block ×6, first 2 shown]
	s_waitcnt vmcnt(0)
	v_cvt_f32_f16_e32 v6, v1
	v_add_f32_e32 v16, v25, v6
	v_add_f32_e32 v23, v37, v6
	;; [unrolled: 1-line block ×5, first 2 shown]
	v_max3_f32 v4, v103, v4, v6
	ds_bpermute_b32 v6, v8, v4
	v_add_f32_e32 v1, 0x40051340, v23
	v_max3_f32 v1, v108, v3, v1
	ds_bpermute_b32 v2, v8, v1
	v_add_f32_e32 v3, 0x40051340, v27
	s_waitcnt lgkmcnt(1)
	v_max_f32_e32 v6, v6, v6
	v_max_f32_e32 v4, v4, v6
	ds_bpermute_b32 v6, v11, v4
	s_waitcnt lgkmcnt(1)
	v_max_f32_e32 v2, v2, v2
	v_max_f32_e32 v1, v1, v2
	ds_bpermute_b32 v2, v11, v1
	v_add_f32_e32 v7, 0x40051340, v33
	s_waitcnt lgkmcnt(1)
	v_max_f32_e32 v6, v6, v6
	v_max_f32_e32 v4, v4, v6
	ds_bpermute_b32 v6, v14, v4
	s_waitcnt lgkmcnt(1)
	v_max_f32_e32 v2, v2, v2
	v_max_f32_e32 v1, v1, v2
	ds_bpermute_b32 v2, v14, v1
	;; [unrolled: 4-line block ×6, first 2 shown]
	s_waitcnt lgkmcnt(1)
	v_max_f32_e32 v6, v6, v6
	v_max_f32_e32 v4, v4, v6
	buffer_load_dword v6, off, s[48:51], 0 offset:12 ; 4-byte Folded Reload
	s_waitcnt lgkmcnt(0)
	v_max_f32_e32 v2, v2, v2
	v_max_f32_e32 v1, v1, v2
	v_add_f32_e32 v2, 0x40051340, v24
	v_max3_f32 v2, v107, v2, v3
	ds_bpermute_b32 v3, v8, v2
	v_sub_f32_e32 v26, v26, v4
	v_sub_f32_e32 v16, v16, v4
	s_waitcnt lgkmcnt(0)
	v_max_f32_e32 v3, v3, v3
	v_max_f32_e32 v2, v2, v3
	ds_bpermute_b32 v3, v11, v2
	s_waitcnt lgkmcnt(0)
	v_max_f32_e32 v3, v3, v3
	v_max_f32_e32 v2, v2, v3
	ds_bpermute_b32 v3, v14, v2
	;; [unrolled: 4-line block ×4, first 2 shown]
	s_waitcnt lgkmcnt(0)
	v_max_f32_e32 v3, v3, v3
	v_max_f32_e32 v2, v2, v3
	v_add_f32_e32 v3, 0x40051340, v31
	v_max3_f32 v3, v105, v3, v7
	ds_bpermute_b32 v7, v8, v3
	s_waitcnt lgkmcnt(0)
	v_max_f32_e32 v7, v7, v7
	v_max_f32_e32 v3, v3, v7
	ds_bpermute_b32 v7, v11, v3
	s_waitcnt lgkmcnt(0)
	v_max_f32_e32 v7, v7, v7
	v_max_f32_e32 v3, v3, v7
	;; [unrolled: 4-line block ×5, first 2 shown]
	s_waitcnt vmcnt(0)
	v_add_u32_e32 v5, v5, v6
	v_ashrrev_i32_e32 v6, 31, v5
	v_lshlrev_b64 v[5:6], 1, v[5:6]
	v_add_co_u32_e32 v5, vcc, s34, v5
	v_addc_co_u32_e32 v6, vcc, v10, v6, vcc
	global_load_ushort v7, v[5:6], off
	s_waitcnt vmcnt(0)
	v_cvt_f32_f16_e32 v10, v7
	global_load_ushort v5, v[5:6], off offset:64
	s_waitcnt vmcnt(0)
	s_barrier
	v_add_f32_e32 v29, v112, v10
	v_add_f32_e32 v7, 0x40051340, v29
	;; [unrolled: 1-line block ×4, first 2 shown]
	v_cvt_f32_f16_e32 v25, v5
	v_add_f32_e32 v28, v21, v25
	v_add_f32_e32 v5, 0x40051340, v28
	v_max3_f32 v5, v101, v7, v5
	ds_bpermute_b32 v6, v8, v5
	v_add_f32_e32 v18, v17, v25
	v_add_f32_e32 v7, 0x40051340, v18
	;; [unrolled: 1-line block ×4, first 2 shown]
	s_waitcnt lgkmcnt(0)
	v_max_f32_e32 v6, v6, v6
	v_max_f32_e32 v5, v5, v6
	ds_bpermute_b32 v6, v11, v5
	s_waitcnt lgkmcnt(0)
	v_max_f32_e32 v6, v6, v6
	v_max_f32_e32 v5, v5, v6
	ds_bpermute_b32 v6, v14, v5
	;; [unrolled: 4-line block ×4, first 2 shown]
	s_waitcnt lgkmcnt(0)
	v_max_f32_e32 v6, v6, v6
	v_max_f32_e32 v5, v5, v6
	v_add_f32_e32 v6, 0x40051340, v30
	v_max3_f32 v6, v99, v6, v7
	ds_bpermute_b32 v7, v8, v6
	v_sub_f32_e32 v28, v28, v5
	s_waitcnt lgkmcnt(0)
	v_max_f32_e32 v7, v7, v7
	v_max_f32_e32 v6, v6, v7
	ds_bpermute_b32 v7, v11, v6
	s_waitcnt lgkmcnt(0)
	v_max_f32_e32 v7, v7, v7
	v_max_f32_e32 v6, v6, v7
	ds_bpermute_b32 v7, v14, v6
	;; [unrolled: 4-line block ×4, first 2 shown]
	s_waitcnt lgkmcnt(0)
	v_max_f32_e32 v7, v7, v7
	v_max_f32_e32 v6, v6, v7
	v_add_f32_e32 v7, 0x40051340, v32
	v_max3_f32 v7, v97, v7, v12
	ds_bpermute_b32 v12, v8, v7
	v_sub_f32_e32 v30, v30, v6
	v_sub_f32_e32 v18, v18, v6
	s_waitcnt lgkmcnt(0)
	v_max_f32_e32 v12, v12, v12
	v_max_f32_e32 v7, v7, v12
	ds_bpermute_b32 v12, v11, v7
	s_waitcnt lgkmcnt(0)
	v_max_f32_e32 v12, v12, v12
	v_max_f32_e32 v7, v7, v12
	ds_bpermute_b32 v12, v14, v7
	;; [unrolled: 4-line block ×4, first 2 shown]
	s_waitcnt lgkmcnt(0)
	v_max_f32_e32 v12, v12, v12
	v_max_f32_e32 v7, v7, v12
	v_add_f32_e32 v12, v116, v10
	v_add_f32_e32 v10, v9, v25
	;; [unrolled: 1-line block ×4, first 2 shown]
	v_max3_f32 v9, v95, v13, v9
	ds_bpermute_b32 v8, v8, v9
	v_sub_f32_e32 v32, v32, v7
	v_sub_f32_e32 v19, v19, v7
	s_waitcnt lgkmcnt(0)
	v_max_f32_e32 v8, v8, v8
	v_max_f32_e32 v8, v9, v8
	ds_bpermute_b32 v9, v11, v8
	s_waitcnt lgkmcnt(0)
	v_max_f32_e32 v9, v9, v9
	v_max_f32_e32 v8, v8, v9
	ds_bpermute_b32 v9, v14, v8
	v_sub_f32_e32 v14, v108, v1
	s_waitcnt lgkmcnt(0)
	v_max_f32_e32 v9, v9, v9
	v_max_f32_e32 v8, v8, v9
	ds_bpermute_b32 v9, v15, v8
	s_waitcnt lgkmcnt(0)
	v_max_f32_e32 v9, v9, v9
	v_max_f32_e32 v8, v8, v9
	ds_bpermute_b32 v9, v20, v8
	s_waitcnt lgkmcnt(0)
	v_max_f32_e32 v9, v9, v9
	v_max_f32_e32 v8, v8, v9
	v_sub_f32_e32 v9, v22, v1
	v_mul_f32_e32 v11, 0x3fb8aa3b, v9
	v_fma_f32 v13, v9, s10, -v11
	v_rndne_f32_e32 v15, v11
	v_fmac_f32_e32 v13, 0x32a5705f, v9
	v_sub_f32_e32 v11, v11, v15
	v_add_f32_e32 v11, v11, v13
	v_exp_f32_e32 v11, v11
	v_cvt_i32_f32_e32 v13, v15
	v_cmp_ngt_f32_e32 vcc, s11, v9
	v_sub_f32_e32 v12, v12, v8
	v_sub_f32_e32 v10, v10, v8
	v_ldexp_f32 v11, v11, v13
	v_sub_f32_e32 v13, v23, v1
	v_mul_f32_e32 v15, 0x3fb8aa3b, v13
	v_fma_f32 v17, v13, s10, -v15
	v_rndne_f32_e32 v20, v15
	v_fmac_f32_e32 v17, 0x32a5705f, v13
	v_sub_f32_e32 v15, v15, v20
	v_add_f32_e32 v15, v15, v17
	v_exp_f32_e32 v15, v15
	v_cvt_i32_f32_e32 v17, v20
	v_cndmask_b32_e32 v11, 0, v11, vcc
	v_cmp_nlt_f32_e32 vcc, s12, v9
	v_cndmask_b32_e32 v11, v75, v11, vcc
	v_ldexp_f32 v15, v15, v17
	v_cmp_ngt_f32_e32 vcc, s11, v13
	v_cndmask_b32_e32 v15, 0, v15, vcc
	v_cmp_nlt_f32_e32 vcc, s12, v13
	v_cndmask_b32_e32 v15, v75, v15, vcc
	v_cvt_f16_f32_e32 v9, v11
	v_add_f32_e32 v13, v11, v15
	v_cvt_f16_f32_e32 v11, v15
	v_mul_f32_e32 v15, 0x3fb8aa3b, v14
	v_fma_f32 v17, v14, s10, -v15
	v_rndne_f32_e32 v20, v15
	v_fmac_f32_e32 v17, 0x32a5705f, v14
	v_sub_f32_e32 v15, v15, v20
	v_add_f32_e32 v15, v15, v17
	v_exp_f32_e32 v15, v15
	v_cvt_i32_f32_e32 v17, v20
	v_cmp_ngt_f32_e32 vcc, s11, v14
	v_ldexp_f32 v15, v15, v17
	v_cndmask_b32_e32 v15, 0, v15, vcc
	v_cmp_nlt_f32_e32 vcc, s12, v14
	v_cndmask_b32_e32 v14, v75, v15, vcc
	v_fmac_f32_e32 v13, v106, v14
	v_cvt_f16_f32_e32 v14, v14
	v_sub_f32_e32 v15, v107, v2
	v_mul_u32_u24_e32 v14, 0x10001, v14
	v_pk_mul_f16 v21, v92, v14
	v_pk_mul_f16 v20, v93, v14
	v_sub_f32_e32 v14, v24, v2
	v_mul_f32_e32 v17, 0x3fb8aa3b, v14
	v_fma_f32 v22, v14, s10, -v17
	v_rndne_f32_e32 v23, v17
	v_fmac_f32_e32 v22, 0x32a5705f, v14
	v_sub_f32_e32 v17, v17, v23
	v_add_f32_e32 v17, v17, v22
	v_exp_f32_e32 v17, v17
	v_cvt_i32_f32_e32 v22, v23
	v_cmp_ngt_f32_e32 vcc, s11, v14
	v_ldexp_f32 v17, v17, v22
	v_cndmask_b32_e32 v17, 0, v17, vcc
	v_cmp_nlt_f32_e32 vcc, s12, v14
	v_cndmask_b32_e32 v14, v75, v17, vcc
	v_sub_f32_e32 v17, v27, v2
	v_mul_f32_e32 v22, 0x3fb8aa3b, v17
	v_fma_f32 v23, v17, s10, -v22
	v_rndne_f32_e32 v24, v22
	v_fmac_f32_e32 v23, 0x32a5705f, v17
	v_sub_f32_e32 v22, v22, v24
	v_add_f32_e32 v22, v22, v23
	v_exp_f32_e32 v22, v22
	v_cvt_i32_f32_e32 v23, v24
	v_cmp_ngt_f32_e32 vcc, s11, v17
	v_cvt_f16_f32_e32 v36, v14
	v_ldexp_f32 v22, v22, v23
	v_cndmask_b32_e32 v22, 0, v22, vcc
	v_cmp_nlt_f32_e32 vcc, s12, v17
	v_cndmask_b32_e32 v17, v75, v22, vcc
	v_add_f32_e32 v14, v14, v17
	v_cvt_f16_f32_e32 v37, v17
	v_mul_f32_e32 v17, 0x3fb8aa3b, v15
	v_fma_f32 v22, v15, s10, -v17
	v_rndne_f32_e32 v23, v17
	v_fmac_f32_e32 v22, 0x32a5705f, v15
	v_sub_f32_e32 v17, v17, v23
	v_add_f32_e32 v17, v17, v22
	v_exp_f32_e32 v17, v17
	v_cvt_i32_f32_e32 v22, v23
	v_cmp_ngt_f32_e32 vcc, s11, v15
	v_ldexp_f32 v17, v17, v22
	v_cndmask_b32_e32 v17, 0, v17, vcc
	v_cmp_nlt_f32_e32 vcc, s12, v15
	v_cndmask_b32_e32 v15, v75, v17, vcc
	v_fmac_f32_e32 v14, v104, v15
	v_cvt_f16_f32_e32 v15, v15
	v_sub_f32_e32 v17, v105, v3
	v_mul_u32_u24_e32 v15, 0x10001, v15
	v_pk_mul_f16 v23, v90, v15
	v_pk_mul_f16 v22, v91, v15
	v_sub_f32_e32 v15, v31, v3
	v_mul_f32_e32 v24, 0x3fb8aa3b, v15
	v_fma_f32 v25, v15, s10, -v24
	v_rndne_f32_e32 v27, v24
	v_fmac_f32_e32 v25, 0x32a5705f, v15
	v_sub_f32_e32 v24, v24, v27
	v_add_f32_e32 v24, v24, v25
	v_exp_f32_e32 v24, v24
	v_cvt_i32_f32_e32 v25, v27
	v_cmp_ngt_f32_e32 vcc, s11, v15
	v_ldexp_f32 v24, v24, v25
	v_cndmask_b32_e32 v24, 0, v24, vcc
	v_cmp_nlt_f32_e32 vcc, s12, v15
	v_cndmask_b32_e32 v15, v75, v24, vcc
	v_sub_f32_e32 v24, v33, v3
	v_mul_f32_e32 v25, 0x3fb8aa3b, v24
	v_fma_f32 v27, v24, s10, -v25
	v_rndne_f32_e32 v31, v25
	v_fmac_f32_e32 v27, 0x32a5705f, v24
	v_sub_f32_e32 v25, v25, v31
	v_add_f32_e32 v25, v25, v27
	v_exp_f32_e32 v25, v25
	v_cvt_i32_f32_e32 v27, v31
	v_cmp_ngt_f32_e32 vcc, s11, v24
	v_cvt_f16_f32_e32 v38, v15
	v_ldexp_f32 v25, v25, v27
	v_cndmask_b32_e32 v25, 0, v25, vcc
	v_cmp_nlt_f32_e32 vcc, s12, v24
	v_cndmask_b32_e32 v24, v75, v25, vcc
	v_add_f32_e32 v15, v15, v24
	v_cvt_f16_f32_e32 v39, v24
	v_mul_f32_e32 v24, 0x3fb8aa3b, v17
	v_fma_f32 v25, v17, s10, -v24
	v_rndne_f32_e32 v27, v24
	v_fmac_f32_e32 v25, 0x32a5705f, v17
	v_sub_f32_e32 v24, v24, v27
	v_add_f32_e32 v24, v24, v25
	v_cvt_i32_f32_e32 v25, v27
	v_mul_f32_e32 v27, 0x3fb8aa3b, v26
	v_fma_f32 v31, v26, s10, -v27
	v_rndne_f32_e32 v33, v27
	v_exp_f32_e32 v24, v24
	v_fmac_f32_e32 v31, 0x32a5705f, v26
	v_sub_f32_e32 v27, v27, v33
	v_add_f32_e32 v27, v27, v31
	v_exp_f32_e32 v27, v27
	v_cvt_i32_f32_e32 v31, v33
	v_ldexp_f32 v24, v24, v25
	v_cmp_ngt_f32_e32 vcc, s11, v17
	v_cndmask_b32_e32 v24, 0, v24, vcc
	v_cmp_nlt_f32_e32 vcc, s12, v17
	v_cndmask_b32_e32 v17, v75, v24, vcc
	v_ldexp_f32 v27, v27, v31
	v_cmp_ngt_f32_e32 vcc, s11, v26
	v_cndmask_b32_e32 v27, 0, v27, vcc
	v_cmp_nlt_f32_e32 vcc, s12, v26
	v_cndmask_b32_e32 v26, v75, v27, vcc
	v_mul_f32_e32 v27, 0x3fb8aa3b, v16
	v_fma_f32 v31, v16, s10, -v27
	v_rndne_f32_e32 v33, v27
	v_fmac_f32_e32 v31, 0x32a5705f, v16
	v_sub_f32_e32 v27, v27, v33
	v_add_f32_e32 v27, v27, v31
	v_exp_f32_e32 v27, v27
	v_cvt_i32_f32_e32 v31, v33
	v_fmac_f32_e32 v15, v102, v17
	v_cvt_f16_f32_e32 v17, v17
	v_cmp_ngt_f32_e32 vcc, s11, v16
	v_ldexp_f32 v27, v27, v31
	v_cndmask_b32_e32 v27, 0, v27, vcc
	v_mul_u32_u24_e32 v17, 0x10001, v17
	v_cmp_nlt_f32_e32 vcc, s12, v16
	v_pk_mul_f16 v25, v88, v17
	v_pk_mul_f16 v24, v89, v17
	v_sub_f32_e32 v17, v103, v4
	v_cndmask_b32_e32 v27, v75, v27, vcc
	v_cvt_f16_f32_e32 v40, v26
	v_add_f32_e32 v16, v26, v27
	v_mul_f32_e32 v26, 0x3fb8aa3b, v17
	v_cvt_f16_f32_e32 v44, v27
	v_fma_f32 v27, v17, s10, -v26
	v_rndne_f32_e32 v31, v26
	v_fmac_f32_e32 v27, 0x32a5705f, v17
	v_sub_f32_e32 v26, v26, v31
	v_add_f32_e32 v26, v26, v27
	v_exp_f32_e32 v26, v26
	v_cvt_i32_f32_e32 v27, v31
	v_cmp_ngt_f32_e32 vcc, s11, v17
	v_sub_f32_e32 v31, v101, v5
	v_pack_b32_f16 v39, v39, v44
	v_ldexp_f32 v26, v26, v27
	v_cndmask_b32_e32 v26, 0, v26, vcc
	v_cmp_nlt_f32_e32 vcc, s12, v17
	v_cndmask_b32_e32 v17, v75, v26, vcc
	v_fmac_f32_e32 v16, v100, v17
	v_cvt_f16_f32_e32 v17, v17
	v_mul_u32_u24_e32 v17, 0x10001, v17
	v_pk_mul_f16 v27, v86, v17
	v_pk_mul_f16 v26, v87, v17
	v_sub_f32_e32 v17, v29, v5
	v_mul_f32_e32 v29, 0x3fb8aa3b, v17
	v_fma_f32 v33, v17, s10, -v29
	v_rndne_f32_e32 v34, v29
	v_fmac_f32_e32 v33, 0x32a5705f, v17
	v_sub_f32_e32 v29, v29, v34
	v_add_f32_e32 v29, v29, v33
	v_exp_f32_e32 v29, v29
	v_cvt_i32_f32_e32 v33, v34
	v_cmp_ngt_f32_e32 vcc, s11, v17
	v_ldexp_f32 v29, v29, v33
	v_cndmask_b32_e32 v29, 0, v29, vcc
	v_cmp_nlt_f32_e32 vcc, s12, v17
	v_cndmask_b32_e32 v17, v75, v29, vcc
	v_mul_f32_e32 v29, 0x3fb8aa3b, v28
	v_fma_f32 v33, v28, s10, -v29
	v_rndne_f32_e32 v34, v29
	v_fmac_f32_e32 v33, 0x32a5705f, v28
	v_sub_f32_e32 v29, v29, v34
	v_add_f32_e32 v29, v29, v33
	v_exp_f32_e32 v29, v29
	v_cvt_i32_f32_e32 v33, v34
	v_cmp_ngt_f32_e32 vcc, s11, v28
	v_cvt_f16_f32_e32 v41, v17
	v_ldexp_f32 v29, v29, v33
	v_cndmask_b32_e32 v29, 0, v29, vcc
	v_cmp_nlt_f32_e32 vcc, s12, v28
	v_cndmask_b32_e32 v28, v75, v29, vcc
	v_add_f32_e32 v17, v17, v28
	v_cvt_f16_f32_e32 v45, v28
	v_mul_f32_e32 v28, 0x3fb8aa3b, v31
	v_fma_f32 v29, v31, s10, -v28
	v_rndne_f32_e32 v33, v28
	v_fmac_f32_e32 v29, 0x32a5705f, v31
	v_sub_f32_e32 v28, v28, v33
	v_add_f32_e32 v28, v28, v29
	v_cvt_i32_f32_e32 v29, v33
	v_mul_f32_e32 v33, 0x3fb8aa3b, v30
	v_fma_f32 v34, v30, s10, -v33
	v_rndne_f32_e32 v35, v33
	v_exp_f32_e32 v28, v28
	v_fmac_f32_e32 v34, 0x32a5705f, v30
	v_sub_f32_e32 v33, v33, v35
	v_add_f32_e32 v33, v33, v34
	v_exp_f32_e32 v33, v33
	v_cvt_i32_f32_e32 v34, v35
	v_ldexp_f32 v28, v28, v29
	v_cmp_ngt_f32_e32 vcc, s11, v31
	v_cndmask_b32_e32 v28, 0, v28, vcc
	v_cmp_nlt_f32_e32 vcc, s12, v31
	v_cndmask_b32_e32 v28, v75, v28, vcc
	v_ldexp_f32 v33, v33, v34
	v_cmp_ngt_f32_e32 vcc, s11, v30
	v_cndmask_b32_e32 v33, 0, v33, vcc
	v_cmp_nlt_f32_e32 vcc, s12, v30
	v_cndmask_b32_e32 v30, v75, v33, vcc
	v_mul_f32_e32 v33, 0x3fb8aa3b, v18
	v_fma_f32 v34, v18, s10, -v33
	v_rndne_f32_e32 v35, v33
	v_fmac_f32_e32 v34, 0x32a5705f, v18
	v_sub_f32_e32 v33, v33, v35
	v_add_f32_e32 v33, v33, v34
	v_exp_f32_e32 v33, v33
	v_cvt_i32_f32_e32 v34, v35
	v_cmp_ngt_f32_e32 vcc, s11, v18
	v_sub_f32_e32 v31, v99, v6
	v_cvt_f16_f32_e32 v42, v30
	v_ldexp_f32 v33, v33, v34
	v_cndmask_b32_e32 v33, 0, v33, vcc
	v_cmp_nlt_f32_e32 vcc, s12, v18
	v_cndmask_b32_e32 v33, v75, v33, vcc
	v_add_f32_e32 v18, v30, v33
	v_mul_f32_e32 v30, 0x3fb8aa3b, v31
	v_cvt_f16_f32_e32 v46, v33
	v_fma_f32 v33, v31, s10, -v30
	v_rndne_f32_e32 v34, v30
	v_fmac_f32_e32 v33, 0x32a5705f, v31
	v_sub_f32_e32 v30, v30, v34
	v_add_f32_e32 v30, v30, v33
	v_cvt_i32_f32_e32 v33, v34
	v_mul_f32_e32 v34, 0x3fb8aa3b, v32
	v_fma_f32 v35, v32, s10, -v34
	v_rndne_f32_e32 v43, v34
	v_exp_f32_e32 v30, v30
	v_fmac_f32_e32 v35, 0x32a5705f, v32
	v_sub_f32_e32 v34, v34, v43
	v_add_f32_e32 v34, v34, v35
	v_exp_f32_e32 v34, v34
	v_cvt_i32_f32_e32 v35, v43
	v_ldexp_f32 v30, v30, v33
	v_cmp_ngt_f32_e32 vcc, s11, v31
	v_cndmask_b32_e32 v30, 0, v30, vcc
	v_cmp_nlt_f32_e32 vcc, s12, v31
	v_cndmask_b32_e32 v30, v75, v30, vcc
	v_ldexp_f32 v34, v34, v35
	v_cmp_ngt_f32_e32 vcc, s11, v32
	v_cndmask_b32_e32 v34, 0, v34, vcc
	v_cmp_nlt_f32_e32 vcc, s12, v32
	v_cndmask_b32_e32 v32, v75, v34, vcc
	v_mul_f32_e32 v34, 0x3fb8aa3b, v19
	v_fma_f32 v35, v19, s10, -v34
	v_rndne_f32_e32 v47, v34
	v_fmac_f32_e32 v35, 0x32a5705f, v19
	v_sub_f32_e32 v34, v34, v47
	v_add_f32_e32 v34, v34, v35
	v_exp_f32_e32 v34, v34
	v_cvt_i32_f32_e32 v35, v47
	v_cmp_ngt_f32_e32 vcc, s11, v19
	v_sub_f32_e32 v33, v97, v7
	v_cvt_f16_f32_e32 v43, v32
	v_ldexp_f32 v34, v34, v35
	v_cndmask_b32_e32 v34, 0, v34, vcc
	v_cmp_nlt_f32_e32 vcc, s12, v19
	v_cndmask_b32_e32 v34, v75, v34, vcc
	v_add_f32_e32 v19, v32, v34
	v_mul_f32_e32 v32, 0x3fb8aa3b, v33
	v_cvt_f16_f32_e32 v47, v34
	v_fma_f32 v34, v33, s10, -v32
	v_rndne_f32_e32 v35, v32
	v_fmac_f32_e32 v34, 0x32a5705f, v33
	v_sub_f32_e32 v32, v32, v35
	v_add_f32_e32 v32, v32, v34
	v_cvt_i32_f32_e32 v34, v35
	v_mul_f32_e32 v35, 0x3fb8aa3b, v12
	v_fma_f32 v48, v12, s10, -v35
	v_rndne_f32_e32 v49, v35
	v_exp_f32_e32 v32, v32
	v_fmac_f32_e32 v48, 0x32a5705f, v12
	v_sub_f32_e32 v35, v35, v49
	v_add_f32_e32 v35, v35, v48
	v_exp_f32_e32 v35, v35
	v_cvt_i32_f32_e32 v48, v49
	v_ldexp_f32 v32, v32, v34
	v_cmp_ngt_f32_e32 vcc, s11, v33
	v_cndmask_b32_e32 v32, 0, v32, vcc
	v_cmp_nlt_f32_e32 vcc, s12, v33
	v_cndmask_b32_e32 v32, v75, v32, vcc
	v_ldexp_f32 v35, v35, v48
	v_cmp_ngt_f32_e32 vcc, s11, v12
	v_cndmask_b32_e32 v35, 0, v35, vcc
	v_cmp_nlt_f32_e32 vcc, s12, v12
	v_cndmask_b32_e32 v12, v75, v35, vcc
	v_mul_f32_e32 v35, 0x3fb8aa3b, v10
	v_fma_f32 v49, v10, s10, -v35
	v_rndne_f32_e32 v50, v35
	v_fmac_f32_e32 v49, 0x32a5705f, v10
	v_sub_f32_e32 v35, v35, v50
	v_add_f32_e32 v35, v35, v49
	v_exp_f32_e32 v35, v35
	v_cvt_i32_f32_e32 v49, v50
	v_cmp_ngt_f32_e32 vcc, s11, v10
	v_sub_f32_e32 v34, v95, v8
	v_cvt_f16_f32_e32 v48, v12
	v_ldexp_f32 v35, v35, v49
	v_cndmask_b32_e32 v35, 0, v35, vcc
	v_cmp_nlt_f32_e32 vcc, s12, v10
	v_cndmask_b32_e32 v10, v75, v35, vcc
	v_mul_f32_e32 v35, 0x3fb8aa3b, v34
	v_fma_f32 v49, v34, s10, -v35
	v_rndne_f32_e32 v50, v35
	v_fmac_f32_e32 v49, 0x32a5705f, v34
	v_sub_f32_e32 v35, v35, v50
	v_add_f32_e32 v35, v35, v49
	v_exp_f32_e32 v35, v35
	v_cvt_i32_f32_e32 v49, v50
	v_cmp_ngt_f32_e32 vcc, s11, v34
	v_add_f32_e32 v12, v12, v10
	v_cvt_f16_f32_e32 v10, v10
	v_ldexp_f32 v35, v35, v49
	v_cndmask_b32_e32 v35, 0, v35, vcc
	v_cmp_nlt_f32_e32 vcc, s12, v34
	v_cndmask_b32_e32 v34, v75, v35, vcc
	v_mov_b32_e32 v35, v55
	v_mov_b32_e32 v55, v12
	v_cvt_f16_f32_e32 v12, v34
	v_pack_b32_f16 v43, v43, v48
	v_pack_b32_f16 v42, v41, v42
	;; [unrolled: 1-line block ×4, first 2 shown]
	ds_write_b128 v0, v[40:43]
	v_pack_b32_f16 v41, v47, v10
	v_add_co_u32_e32 v9, vcc, s8, v71
	v_mov_b32_e32 v10, s9
	v_mul_u32_u24_e32 v12, 0x10001, v12
	v_addc_co_u32_e32 v10, vcc, v72, v10, vcc
	v_fmac_f32_e32 v55, v35, v34
	v_pk_mul_f16 v35, v126, v12
	v_pk_mul_f16 v34, v74, v12
	v_pack_b32_f16 v38, v11, v37
	global_load_dwordx4 v[9:12], v[9:10], off
	v_fmac_f32_e32 v18, v96, v30
	v_cvt_f16_f32_e32 v30, v30
	v_fmac_f32_e32 v17, v98, v28
	v_cvt_f16_f32_e32 v28, v28
	;; [unrolled: 2-line block ×3, first 2 shown]
	v_mul_u32_u24_e32 v30, 0x10001, v30
	v_pack_b32_f16 v40, v45, v46
	v_pk_mul_f16 v31, v127, v30
	v_pk_mul_f16 v30, v51, v30
	ds_write_b128 v0, v[38:41] offset:512
	v_mul_u32_u24_e32 v28, 0x10001, v28
	v_mul_u32_u24_e32 v32, 0x10001, v32
	v_pk_mul_f16 v29, v84, v28
	v_pk_mul_f16 v28, v85, v28
	;; [unrolled: 1-line block ×4, first 2 shown]
	s_or_b32 s8, s6, 16
	s_mul_hi_i32 s9, s8, s15
	s_mul_i32 s8, s8, s15
	s_lshl_b64 s[8:9], s[8:9], 2
	s_waitcnt vmcnt(0)
	ds_write_b128 v70, v[9:12]
	s_waitcnt lgkmcnt(0)
	s_barrier
	ds_read2_b64 v[9:12], v73 offset1:32
	ds_read_b128 v[36:39], v69
	ds_read_b128 v[40:43], v69 offset:16
	ds_read_b128 v[44:47], v69 offset:32
	;; [unrolled: 1-line block ×3, first 2 shown]
	s_waitcnt lgkmcnt(3)
	v_mul_u32_u24_sdwa v58, v36, s13 dst_sel:DWORD dst_unused:UNUSED_PAD src0_sel:WORD_0 src1_sel:DWORD
	v_mul_u32_u24_sdwa v36, v36, s13 dst_sel:DWORD dst_unused:UNUSED_PAD src0_sel:WORD_1 src1_sel:DWORD
	v_mul_u32_u24_sdwa v59, v37, s13 dst_sel:DWORD dst_unused:UNUSED_PAD src0_sel:WORD_0 src1_sel:DWORD
	v_mul_u32_u24_sdwa v37, v37, s13 dst_sel:DWORD dst_unused:UNUSED_PAD src0_sel:WORD_1 src1_sel:DWORD
	;; [unrolled: 2-line block ×4, first 2 shown]
	v_pk_fma_f16 v21, v9, v58, v21
	v_pk_fma_f16 v23, v9, v36, v23
	;; [unrolled: 1-line block ×16, first 2 shown]
	s_waitcnt lgkmcnt(2)
	v_mul_u32_u24_sdwa v34, v40, s13 dst_sel:DWORD dst_unused:UNUSED_PAD src0_sel:WORD_0 src1_sel:DWORD
	v_mul_u32_u24_sdwa v35, v40, s13 dst_sel:DWORD dst_unused:UNUSED_PAD src0_sel:WORD_1 src1_sel:DWORD
	v_mul_u32_u24_sdwa v36, v41, s13 dst_sel:DWORD dst_unused:UNUSED_PAD src0_sel:WORD_0 src1_sel:DWORD
	v_mul_u32_u24_sdwa v37, v41, s13 dst_sel:DWORD dst_unused:UNUSED_PAD src0_sel:WORD_1 src1_sel:DWORD
	;; [unrolled: 2-line block ×4, first 2 shown]
	v_pk_fma_f16 v21, v11, v34, v21
	v_pk_fma_f16 v23, v11, v35, v23
	;; [unrolled: 1-line block ×16, first 2 shown]
	ds_read2_b64 v[9:12], v73 offset0:64 offset1:96
	s_waitcnt lgkmcnt(2)
	v_mul_u32_u24_sdwa v35, v44, s13 dst_sel:DWORD dst_unused:UNUSED_PAD src0_sel:WORD_0 src1_sel:DWORD
	v_mul_u32_u24_sdwa v36, v44, s13 dst_sel:DWORD dst_unused:UNUSED_PAD src0_sel:WORD_1 src1_sel:DWORD
	v_mul_u32_u24_sdwa v37, v45, s13 dst_sel:DWORD dst_unused:UNUSED_PAD src0_sel:WORD_0 src1_sel:DWORD
	v_mul_u32_u24_sdwa v38, v45, s13 dst_sel:DWORD dst_unused:UNUSED_PAD src0_sel:WORD_1 src1_sel:DWORD
	;; [unrolled: 2-line block ×4, first 2 shown]
	s_waitcnt lgkmcnt(0)
	v_pk_fma_f16 v21, v9, v35, v21
	v_pk_fma_f16 v23, v9, v36, v23
	;; [unrolled: 1-line block ×16, first 2 shown]
	v_mul_u32_u24_sdwa v34, v48, s13 dst_sel:DWORD dst_unused:UNUSED_PAD src0_sel:WORD_0 src1_sel:DWORD
	v_mul_u32_u24_sdwa v35, v48, s13 dst_sel:DWORD dst_unused:UNUSED_PAD src0_sel:WORD_1 src1_sel:DWORD
	v_mul_u32_u24_sdwa v36, v49, s13 dst_sel:DWORD dst_unused:UNUSED_PAD src0_sel:WORD_0 src1_sel:DWORD
	v_mul_u32_u24_sdwa v37, v49, s13 dst_sel:DWORD dst_unused:UNUSED_PAD src0_sel:WORD_1 src1_sel:DWORD
	;; [unrolled: 2-line block ×4, first 2 shown]
	v_pk_fma_f16 v42, v11, v34, v21
	v_pk_fma_f16 v43, v11, v35, v23
	;; [unrolled: 1-line block ×16, first 2 shown]
	ds_read2_b64 v[9:12], v73 offset0:128 offset1:160
	ds_read_b128 v[20:23], v69 offset:64
	s_waitcnt lgkmcnt(0)
	v_mul_u32_u24_sdwa v37, v20, s13 dst_sel:DWORD dst_unused:UNUSED_PAD src0_sel:WORD_0 src1_sel:DWORD
	v_mul_u32_u24_sdwa v20, v20, s13 dst_sel:DWORD dst_unused:UNUSED_PAD src0_sel:WORD_1 src1_sel:DWORD
	v_mul_u32_u24_sdwa v38, v21, s13 dst_sel:DWORD dst_unused:UNUSED_PAD src0_sel:WORD_0 src1_sel:DWORD
	v_mul_u32_u24_sdwa v21, v21, s13 dst_sel:DWORD dst_unused:UNUSED_PAD src0_sel:WORD_1 src1_sel:DWORD
	v_mul_u32_u24_sdwa v39, v22, s13 dst_sel:DWORD dst_unused:UNUSED_PAD src0_sel:WORD_0 src1_sel:DWORD
	v_mul_u32_u24_sdwa v22, v22, s13 dst_sel:DWORD dst_unused:UNUSED_PAD src0_sel:WORD_1 src1_sel:DWORD
	v_mul_u32_u24_sdwa v40, v23, s13 dst_sel:DWORD dst_unused:UNUSED_PAD src0_sel:WORD_0 src1_sel:DWORD
	v_mul_u32_u24_sdwa v23, v23, s13 dst_sel:DWORD dst_unused:UNUSED_PAD src0_sel:WORD_1 src1_sel:DWORD
	v_pk_fma_f16 v41, v9, v37, v42
	v_pk_fma_f16 v42, v9, v20, v43
	;; [unrolled: 1-line block ×16, first 2 shown]
	ds_read_b128 v[20:23], v69 offset:80
	s_waitcnt lgkmcnt(0)
	v_mul_u32_u24_sdwa v28, v20, s13 dst_sel:DWORD dst_unused:UNUSED_PAD src0_sel:WORD_0 src1_sel:DWORD
	v_mul_u32_u24_sdwa v30, v20, s13 dst_sel:DWORD dst_unused:UNUSED_PAD src0_sel:WORD_1 src1_sel:DWORD
	v_mul_u32_u24_sdwa v32, v21, s13 dst_sel:DWORD dst_unused:UNUSED_PAD src0_sel:WORD_0 src1_sel:DWORD
	v_mul_u32_u24_sdwa v36, v21, s13 dst_sel:DWORD dst_unused:UNUSED_PAD src0_sel:WORD_1 src1_sel:DWORD
	;; [unrolled: 2-line block ×4, first 2 shown]
	v_pk_fma_f16 v20, v11, v28, v41
	v_pk_fma_f16 v21, v11, v30, v42
	;; [unrolled: 1-line block ×16, first 2 shown]
	ds_read2_b64 v[9:12], v73 offset0:192 offset1:224
	ds_read_b128 v[36:39], v69 offset:96
	s_waitcnt lgkmcnt(0)
	v_mul_u32_u24_sdwa v40, v36, s13 dst_sel:DWORD dst_unused:UNUSED_PAD src0_sel:WORD_0 src1_sel:DWORD
	v_mul_u32_u24_sdwa v36, v36, s13 dst_sel:DWORD dst_unused:UNUSED_PAD src0_sel:WORD_1 src1_sel:DWORD
	v_mul_u32_u24_sdwa v41, v37, s13 dst_sel:DWORD dst_unused:UNUSED_PAD src0_sel:WORD_0 src1_sel:DWORD
	v_mul_u32_u24_sdwa v37, v37, s13 dst_sel:DWORD dst_unused:UNUSED_PAD src0_sel:WORD_1 src1_sel:DWORD
	v_pk_fma_f16 v44, v9, v40, v20
	v_pk_fma_f16 v45, v9, v36, v21
	v_pk_fma_f16 v46, v9, v41, v22
	v_pk_fma_f16 v47, v9, v37, v23
	ds_read_b128 v[20:23], v69 offset:112
	v_mul_u32_u24_sdwa v42, v38, s13 dst_sel:DWORD dst_unused:UNUSED_PAD src0_sel:WORD_0 src1_sel:DWORD
	v_mul_u32_u24_sdwa v38, v38, s13 dst_sel:DWORD dst_unused:UNUSED_PAD src0_sel:WORD_1 src1_sel:DWORD
	v_mul_u32_u24_sdwa v43, v39, s13 dst_sel:DWORD dst_unused:UNUSED_PAD src0_sel:WORD_0 src1_sel:DWORD
	v_mul_u32_u24_sdwa v39, v39, s13 dst_sel:DWORD dst_unused:UNUSED_PAD src0_sel:WORD_1 src1_sel:DWORD
	v_pk_fma_f16 v24, v9, v42, v24
	v_pk_fma_f16 v25, v9, v38, v25
	;; [unrolled: 1-line block ×12, first 2 shown]
	s_waitcnt lgkmcnt(0)
	v_mul_u32_u24_sdwa v34, v20, s13 dst_sel:DWORD dst_unused:UNUSED_PAD src0_sel:WORD_0 src1_sel:DWORD
	v_mul_u32_u24_sdwa v20, v20, s13 dst_sel:DWORD dst_unused:UNUSED_PAD src0_sel:WORD_1 src1_sel:DWORD
	v_mul_u32_u24_sdwa v35, v21, s13 dst_sel:DWORD dst_unused:UNUSED_PAD src0_sel:WORD_0 src1_sel:DWORD
	v_mul_u32_u24_sdwa v21, v21, s13 dst_sel:DWORD dst_unused:UNUSED_PAD src0_sel:WORD_1 src1_sel:DWORD
	;; [unrolled: 2-line block ×4, first 2 shown]
	v_pk_fma_f16 v38, v11, v34, v44
	v_pk_fma_f16 v39, v11, v20, v45
	;; [unrolled: 1-line block ×16, first 2 shown]
	ds_read2_b64 v[9:12], v68 offset1:32
	ds_read_b128 v[20:23], v69 offset:128
	s_waitcnt lgkmcnt(0)
	v_mul_u32_u24_sdwa v35, v20, s13 dst_sel:DWORD dst_unused:UNUSED_PAD src0_sel:WORD_0 src1_sel:DWORD
	v_mul_u32_u24_sdwa v20, v20, s13 dst_sel:DWORD dst_unused:UNUSED_PAD src0_sel:WORD_1 src1_sel:DWORD
	v_mul_u32_u24_sdwa v36, v21, s13 dst_sel:DWORD dst_unused:UNUSED_PAD src0_sel:WORD_0 src1_sel:DWORD
	v_mul_u32_u24_sdwa v21, v21, s13 dst_sel:DWORD dst_unused:UNUSED_PAD src0_sel:WORD_1 src1_sel:DWORD
	v_mul_u32_u24_sdwa v37, v22, s13 dst_sel:DWORD dst_unused:UNUSED_PAD src0_sel:WORD_0 src1_sel:DWORD
	v_mul_u32_u24_sdwa v22, v22, s13 dst_sel:DWORD dst_unused:UNUSED_PAD src0_sel:WORD_1 src1_sel:DWORD
	v_mul_u32_u24_sdwa v43, v23, s13 dst_sel:DWORD dst_unused:UNUSED_PAD src0_sel:WORD_0 src1_sel:DWORD
	v_mul_u32_u24_sdwa v23, v23, s13 dst_sel:DWORD dst_unused:UNUSED_PAD src0_sel:WORD_1 src1_sel:DWORD
	v_pk_fma_f16 v38, v9, v35, v38
	v_pk_fma_f16 v39, v9, v20, v39
	v_pk_fma_f16 v40, v9, v36, v40
	v_pk_fma_f16 v41, v9, v21, v41
	v_pk_fma_f16 v24, v9, v37, v24
	v_pk_fma_f16 v25, v9, v22, v25
	v_pk_fma_f16 v26, v9, v43, v26
	v_pk_fma_f16 v9, v9, v23, v42
	v_pk_fma_f16 v27, v10, v35, v27
	v_pk_fma_f16 v28, v10, v20, v28
	v_pk_fma_f16 v29, v10, v36, v29
	v_pk_fma_f16 v30, v10, v21, v30
	v_pk_fma_f16 v31, v10, v37, v31
	v_pk_fma_f16 v32, v10, v22, v32
	v_pk_fma_f16 v33, v10, v43, v33
	v_pk_fma_f16 v10, v10, v23, v34
	ds_read_b128 v[20:23], v69 offset:144
	s_waitcnt lgkmcnt(0)
	v_mul_u32_u24_sdwa v34, v20, s13 dst_sel:DWORD dst_unused:UNUSED_PAD src0_sel:WORD_0 src1_sel:DWORD
	v_mul_u32_u24_sdwa v20, v20, s13 dst_sel:DWORD dst_unused:UNUSED_PAD src0_sel:WORD_1 src1_sel:DWORD
	v_mul_u32_u24_sdwa v35, v21, s13 dst_sel:DWORD dst_unused:UNUSED_PAD src0_sel:WORD_0 src1_sel:DWORD
	v_mul_u32_u24_sdwa v21, v21, s13 dst_sel:DWORD dst_unused:UNUSED_PAD src0_sel:WORD_1 src1_sel:DWORD
	v_mul_u32_u24_sdwa v36, v22, s13 dst_sel:DWORD dst_unused:UNUSED_PAD src0_sel:WORD_0 src1_sel:DWORD
	v_mul_u32_u24_sdwa v22, v22, s13 dst_sel:DWORD dst_unused:UNUSED_PAD src0_sel:WORD_1 src1_sel:DWORD
	v_mul_u32_u24_sdwa v37, v23, s13 dst_sel:DWORD dst_unused:UNUSED_PAD src0_sel:WORD_0 src1_sel:DWORD
	v_mul_u32_u24_sdwa v23, v23, s13 dst_sel:DWORD dst_unused:UNUSED_PAD src0_sel:WORD_1 src1_sel:DWORD
	v_pk_fma_f16 v38, v11, v34, v38
	v_pk_fma_f16 v39, v11, v20, v39
	v_pk_fma_f16 v40, v11, v35, v40
	v_pk_fma_f16 v41, v11, v21, v41
	v_pk_fma_f16 v24, v11, v36, v24
	v_pk_fma_f16 v25, v11, v22, v25
	v_pk_fma_f16 v26, v11, v37, v26
	v_pk_fma_f16 v42, v11, v23, v9
	v_pk_fma_f16 v27, v12, v34, v27
	v_pk_fma_f16 v28, v12, v20, v28
	v_pk_fma_f16 v29, v12, v35, v29
	v_pk_fma_f16 v30, v12, v21, v30
	v_pk_fma_f16 v31, v12, v36, v31
	v_pk_fma_f16 v32, v12, v22, v32
	v_pk_fma_f16 v33, v12, v37, v33
	v_pk_fma_f16 v34, v12, v23, v10
	ds_read2_b64 v[9:12], v68 offset0:64 offset1:96
	ds_read_b128 v[20:23], v69 offset:160
	s_waitcnt lgkmcnt(0)
	v_mul_u32_u24_sdwa v35, v20, s13 dst_sel:DWORD dst_unused:UNUSED_PAD src0_sel:WORD_0 src1_sel:DWORD
	v_mul_u32_u24_sdwa v20, v20, s13 dst_sel:DWORD dst_unused:UNUSED_PAD src0_sel:WORD_1 src1_sel:DWORD
	v_mul_u32_u24_sdwa v36, v21, s13 dst_sel:DWORD dst_unused:UNUSED_PAD src0_sel:WORD_0 src1_sel:DWORD
	v_mul_u32_u24_sdwa v21, v21, s13 dst_sel:DWORD dst_unused:UNUSED_PAD src0_sel:WORD_1 src1_sel:DWORD
	v_mul_u32_u24_sdwa v37, v22, s13 dst_sel:DWORD dst_unused:UNUSED_PAD src0_sel:WORD_0 src1_sel:DWORD
	v_mul_u32_u24_sdwa v22, v22, s13 dst_sel:DWORD dst_unused:UNUSED_PAD src0_sel:WORD_1 src1_sel:DWORD
	v_mul_u32_u24_sdwa v43, v23, s13 dst_sel:DWORD dst_unused:UNUSED_PAD src0_sel:WORD_0 src1_sel:DWORD
	v_mul_u32_u24_sdwa v23, v23, s13 dst_sel:DWORD dst_unused:UNUSED_PAD src0_sel:WORD_1 src1_sel:DWORD
	v_pk_fma_f16 v38, v9, v35, v38
	v_pk_fma_f16 v39, v9, v20, v39
	v_pk_fma_f16 v40, v9, v36, v40
	v_pk_fma_f16 v41, v9, v21, v41
	v_pk_fma_f16 v24, v9, v37, v24
	v_pk_fma_f16 v25, v9, v22, v25
	v_pk_fma_f16 v26, v9, v43, v26
	v_pk_fma_f16 v9, v9, v23, v42
	v_pk_fma_f16 v27, v10, v35, v27
	v_pk_fma_f16 v28, v10, v20, v28
	v_pk_fma_f16 v29, v10, v36, v29
	v_pk_fma_f16 v30, v10, v21, v30
	v_pk_fma_f16 v31, v10, v37, v31
	v_pk_fma_f16 v32, v10, v22, v32
	v_pk_fma_f16 v33, v10, v43, v33
	v_pk_fma_f16 v10, v10, v23, v34
	ds_read_b128 v[20:23], v69 offset:176
	s_waitcnt lgkmcnt(0)
	v_mul_u32_u24_sdwa v34, v20, s13 dst_sel:DWORD dst_unused:UNUSED_PAD src0_sel:WORD_0 src1_sel:DWORD
	v_mul_u32_u24_sdwa v20, v20, s13 dst_sel:DWORD dst_unused:UNUSED_PAD src0_sel:WORD_1 src1_sel:DWORD
	v_mul_u32_u24_sdwa v35, v21, s13 dst_sel:DWORD dst_unused:UNUSED_PAD src0_sel:WORD_0 src1_sel:DWORD
	v_mul_u32_u24_sdwa v21, v21, s13 dst_sel:DWORD dst_unused:UNUSED_PAD src0_sel:WORD_1 src1_sel:DWORD
	v_mul_u32_u24_sdwa v36, v22, s13 dst_sel:DWORD dst_unused:UNUSED_PAD src0_sel:WORD_0 src1_sel:DWORD
	v_mul_u32_u24_sdwa v22, v22, s13 dst_sel:DWORD dst_unused:UNUSED_PAD src0_sel:WORD_1 src1_sel:DWORD
	v_mul_u32_u24_sdwa v37, v23, s13 dst_sel:DWORD dst_unused:UNUSED_PAD src0_sel:WORD_0 src1_sel:DWORD
	v_mul_u32_u24_sdwa v23, v23, s13 dst_sel:DWORD dst_unused:UNUSED_PAD src0_sel:WORD_1 src1_sel:DWORD
	v_pk_fma_f16 v38, v11, v34, v38
	v_pk_fma_f16 v39, v11, v20, v39
	v_pk_fma_f16 v40, v11, v35, v40
	v_pk_fma_f16 v41, v11, v21, v41
	v_pk_fma_f16 v24, v11, v36, v24
	v_pk_fma_f16 v25, v11, v22, v25
	v_pk_fma_f16 v26, v11, v37, v26
	v_pk_fma_f16 v42, v11, v23, v9
	v_pk_fma_f16 v27, v12, v34, v27
	v_pk_fma_f16 v28, v12, v20, v28
	v_pk_fma_f16 v29, v12, v35, v29
	v_pk_fma_f16 v30, v12, v21, v30
	v_pk_fma_f16 v31, v12, v36, v31
	v_pk_fma_f16 v32, v12, v22, v32
	v_pk_fma_f16 v33, v12, v37, v33
	v_pk_fma_f16 v34, v12, v23, v10
	ds_read2_b64 v[9:12], v68 offset0:128 offset1:160
	;; [unrolled: 53-line block ×3, first 2 shown]
	ds_read_b128 v[9:12], v69 offset:224
	s_waitcnt lgkmcnt(0)
	v_mul_u32_u24_sdwa v33, v9, s13 dst_sel:DWORD dst_unused:UNUSED_PAD src0_sel:WORD_0 src1_sel:DWORD
	v_mul_u32_u24_sdwa v9, v9, s13 dst_sel:DWORD dst_unused:UNUSED_PAD src0_sel:WORD_1 src1_sel:DWORD
	v_mul_u32_u24_sdwa v36, v10, s13 dst_sel:DWORD dst_unused:UNUSED_PAD src0_sel:WORD_0 src1_sel:DWORD
	v_mul_u32_u24_sdwa v10, v10, s13 dst_sel:DWORD dst_unused:UNUSED_PAD src0_sel:WORD_1 src1_sel:DWORD
	;; [unrolled: 2-line block ×4, first 2 shown]
	v_pk_fma_f16 v38, v28, v33, v38
	v_pk_fma_f16 v39, v28, v9, v39
	;; [unrolled: 1-line block ×15, first 2 shown]
	ds_read_b128 v[9:12], v69 offset:240
	v_pk_fma_f16 v32, v29, v43, v32
	s_waitcnt lgkmcnt(0)
	s_barrier
	v_mul_u32_u24_sdwa v29, v9, s13 dst_sel:DWORD dst_unused:UNUSED_PAD src0_sel:WORD_0 src1_sel:DWORD
	v_mul_u32_u24_sdwa v43, v9, s13 dst_sel:DWORD dst_unused:UNUSED_PAD src0_sel:WORD_1 src1_sel:DWORD
	v_mul_u32_u24_sdwa v44, v10, s13 dst_sel:DWORD dst_unused:UNUSED_PAD src0_sel:WORD_0 src1_sel:DWORD
	v_mul_u32_u24_sdwa v45, v10, s13 dst_sel:DWORD dst_unused:UNUSED_PAD src0_sel:WORD_1 src1_sel:DWORD
	;; [unrolled: 2-line block ×4, first 2 shown]
	v_pk_fma_f16 v9, v30, v29, v38
	v_pk_fma_f16 v10, v30, v43, v39
	;; [unrolled: 1-line block ×10, first 2 shown]
	v_add_co_u32_e32 v32, vcc, s8, v71
	v_mov_b32_e32 v33, s9
	v_addc_co_u32_e32 v33, vcc, v72, v33, vcc
	v_pk_fma_f16 v26, v31, v44, v34
	v_pk_fma_f16 v28, v31, v46, v35
	global_load_dwordx4 v[32:35], v[32:33], off
	v_pk_fma_f16 v24, v31, v29, v27
	v_pk_fma_f16 v27, v31, v45, v36
	;; [unrolled: 1-line block ×4, first 2 shown]
	s_or_b32 s8, s6, 32
	s_mul_hi_i32 s9, s8, s15
	s_mul_i32 s8, s8, s15
	s_lshl_b64 s[8:9], s[8:9], 2
	s_waitcnt vmcnt(0)
	ds_write_b128 v70, v[32:35]
	s_waitcnt lgkmcnt(0)
	s_barrier
	ds_read2_b64 v[32:35], v73 offset1:32
	ds_read_b128 v[36:39], v69 offset:256
	ds_read_b128 v[40:43], v69 offset:272
	ds_read_b128 v[44:47], v69 offset:288
	ds_read_b128 v[48:51], v69 offset:304
	s_waitcnt lgkmcnt(3)
	v_mul_u32_u24_sdwa v58, v36, s13 dst_sel:DWORD dst_unused:UNUSED_PAD src0_sel:WORD_0 src1_sel:DWORD
	v_mul_u32_u24_sdwa v36, v36, s13 dst_sel:DWORD dst_unused:UNUSED_PAD src0_sel:WORD_1 src1_sel:DWORD
	v_mul_u32_u24_sdwa v59, v37, s13 dst_sel:DWORD dst_unused:UNUSED_PAD src0_sel:WORD_0 src1_sel:DWORD
	v_mul_u32_u24_sdwa v37, v37, s13 dst_sel:DWORD dst_unused:UNUSED_PAD src0_sel:WORD_1 src1_sel:DWORD
	;; [unrolled: 2-line block ×4, first 2 shown]
	v_pk_fma_f16 v9, v32, v58, v9
	v_pk_fma_f16 v10, v32, v36, v10
	;; [unrolled: 1-line block ×16, first 2 shown]
	s_waitcnt lgkmcnt(2)
	v_mul_u32_u24_sdwa v32, v40, s13 dst_sel:DWORD dst_unused:UNUSED_PAD src0_sel:WORD_0 src1_sel:DWORD
	v_mul_u32_u24_sdwa v33, v40, s13 dst_sel:DWORD dst_unused:UNUSED_PAD src0_sel:WORD_1 src1_sel:DWORD
	v_mul_u32_u24_sdwa v36, v41, s13 dst_sel:DWORD dst_unused:UNUSED_PAD src0_sel:WORD_0 src1_sel:DWORD
	v_mul_u32_u24_sdwa v37, v41, s13 dst_sel:DWORD dst_unused:UNUSED_PAD src0_sel:WORD_1 src1_sel:DWORD
	;; [unrolled: 2-line block ×4, first 2 shown]
	v_pk_fma_f16 v42, v34, v32, v9
	v_pk_fma_f16 v43, v34, v33, v10
	;; [unrolled: 1-line block ×4, first 2 shown]
	ds_read2_b64 v[9:12], v73 offset0:64 offset1:96
	v_pk_fma_f16 v20, v34, v38, v20
	v_pk_fma_f16 v21, v34, v39, v21
	;; [unrolled: 1-line block ×12, first 2 shown]
	s_waitcnt lgkmcnt(2)
	v_mul_u32_u24_sdwa v32, v44, s13 dst_sel:DWORD dst_unused:UNUSED_PAD src0_sel:WORD_0 src1_sel:DWORD
	v_mul_u32_u24_sdwa v33, v44, s13 dst_sel:DWORD dst_unused:UNUSED_PAD src0_sel:WORD_1 src1_sel:DWORD
	v_mul_u32_u24_sdwa v34, v45, s13 dst_sel:DWORD dst_unused:UNUSED_PAD src0_sel:WORD_0 src1_sel:DWORD
	v_mul_u32_u24_sdwa v35, v45, s13 dst_sel:DWORD dst_unused:UNUSED_PAD src0_sel:WORD_1 src1_sel:DWORD
	;; [unrolled: 2-line block ×4, first 2 shown]
	s_waitcnt lgkmcnt(0)
	v_pk_fma_f16 v40, v9, v32, v42
	v_pk_fma_f16 v41, v9, v33, v43
	;; [unrolled: 1-line block ×16, first 2 shown]
	v_mul_u32_u24_sdwa v30, v48, s13 dst_sel:DWORD dst_unused:UNUSED_PAD src0_sel:WORD_0 src1_sel:DWORD
	v_mul_u32_u24_sdwa v31, v48, s13 dst_sel:DWORD dst_unused:UNUSED_PAD src0_sel:WORD_1 src1_sel:DWORD
	v_mul_u32_u24_sdwa v32, v49, s13 dst_sel:DWORD dst_unused:UNUSED_PAD src0_sel:WORD_0 src1_sel:DWORD
	v_mul_u32_u24_sdwa v33, v49, s13 dst_sel:DWORD dst_unused:UNUSED_PAD src0_sel:WORD_1 src1_sel:DWORD
	;; [unrolled: 2-line block ×4, first 2 shown]
	v_pk_fma_f16 v38, v11, v30, v40
	v_pk_fma_f16 v39, v11, v31, v41
	;; [unrolled: 1-line block ×16, first 2 shown]
	ds_read2_b64 v[9:12], v73 offset0:128 offset1:160
	ds_read_b128 v[20:23], v69 offset:320
	s_waitcnt lgkmcnt(0)
	v_mul_u32_u24_sdwa v32, v20, s13 dst_sel:DWORD dst_unused:UNUSED_PAD src0_sel:WORD_0 src1_sel:DWORD
	v_mul_u32_u24_sdwa v20, v20, s13 dst_sel:DWORD dst_unused:UNUSED_PAD src0_sel:WORD_1 src1_sel:DWORD
	v_mul_u32_u24_sdwa v33, v21, s13 dst_sel:DWORD dst_unused:UNUSED_PAD src0_sel:WORD_0 src1_sel:DWORD
	v_mul_u32_u24_sdwa v21, v21, s13 dst_sel:DWORD dst_unused:UNUSED_PAD src0_sel:WORD_1 src1_sel:DWORD
	;; [unrolled: 2-line block ×4, first 2 shown]
	v_pk_fma_f16 v36, v9, v32, v38
	v_pk_fma_f16 v37, v9, v20, v39
	;; [unrolled: 1-line block ×16, first 2 shown]
	ds_read_b128 v[20:23], v69 offset:336
	s_waitcnt lgkmcnt(0)
	v_mul_u32_u24_sdwa v31, v20, s13 dst_sel:DWORD dst_unused:UNUSED_PAD src0_sel:WORD_0 src1_sel:DWORD
	v_mul_u32_u24_sdwa v20, v20, s13 dst_sel:DWORD dst_unused:UNUSED_PAD src0_sel:WORD_1 src1_sel:DWORD
	v_mul_u32_u24_sdwa v32, v21, s13 dst_sel:DWORD dst_unused:UNUSED_PAD src0_sel:WORD_0 src1_sel:DWORD
	v_mul_u32_u24_sdwa v21, v21, s13 dst_sel:DWORD dst_unused:UNUSED_PAD src0_sel:WORD_1 src1_sel:DWORD
	;; [unrolled: 2-line block ×4, first 2 shown]
	v_pk_fma_f16 v35, v11, v31, v36
	v_pk_fma_f16 v36, v11, v20, v37
	;; [unrolled: 1-line block ×16, first 2 shown]
	ds_read2_b64 v[9:12], v73 offset0:192 offset1:224
	ds_read_b128 v[20:23], v69 offset:352
	s_waitcnt lgkmcnt(0)
	v_mul_u32_u24_sdwa v32, v20, s13 dst_sel:DWORD dst_unused:UNUSED_PAD src0_sel:WORD_0 src1_sel:DWORD
	v_mul_u32_u24_sdwa v20, v20, s13 dst_sel:DWORD dst_unused:UNUSED_PAD src0_sel:WORD_1 src1_sel:DWORD
	v_mul_u32_u24_sdwa v33, v21, s13 dst_sel:DWORD dst_unused:UNUSED_PAD src0_sel:WORD_0 src1_sel:DWORD
	v_mul_u32_u24_sdwa v21, v21, s13 dst_sel:DWORD dst_unused:UNUSED_PAD src0_sel:WORD_1 src1_sel:DWORD
	;; [unrolled: 2-line block ×4, first 2 shown]
	v_pk_fma_f16 v35, v9, v32, v35
	v_pk_fma_f16 v36, v9, v20, v36
	v_pk_fma_f16 v37, v9, v33, v37
	v_pk_fma_f16 v38, v9, v21, v38
	v_pk_fma_f16 v39, v9, v34, v39
	v_pk_fma_f16 v40, v9, v22, v40
	v_pk_fma_f16 v41, v9, v43, v41
	v_pk_fma_f16 v9, v9, v23, v42
	v_pk_fma_f16 v30, v10, v32, v30
	v_pk_fma_f16 v24, v10, v20, v24
	v_pk_fma_f16 v25, v10, v33, v25
	v_pk_fma_f16 v26, v10, v21, v26
	v_pk_fma_f16 v27, v10, v34, v27
	v_pk_fma_f16 v28, v10, v22, v28
	v_pk_fma_f16 v29, v10, v43, v29
	v_pk_fma_f16 v10, v10, v23, v31
	ds_read_b128 v[20:23], v69 offset:368
	s_waitcnt lgkmcnt(0)
	v_mul_u32_u24_sdwa v31, v20, s13 dst_sel:DWORD dst_unused:UNUSED_PAD src0_sel:WORD_0 src1_sel:DWORD
	v_mul_u32_u24_sdwa v20, v20, s13 dst_sel:DWORD dst_unused:UNUSED_PAD src0_sel:WORD_1 src1_sel:DWORD
	v_mul_u32_u24_sdwa v32, v21, s13 dst_sel:DWORD dst_unused:UNUSED_PAD src0_sel:WORD_0 src1_sel:DWORD
	v_mul_u32_u24_sdwa v21, v21, s13 dst_sel:DWORD dst_unused:UNUSED_PAD src0_sel:WORD_1 src1_sel:DWORD
	;; [unrolled: 2-line block ×4, first 2 shown]
	v_pk_fma_f16 v35, v11, v31, v35
	v_pk_fma_f16 v36, v11, v20, v36
	;; [unrolled: 1-line block ×16, first 2 shown]
	ds_read2_b64 v[9:12], v68 offset1:32
	ds_read_b128 v[20:23], v69 offset:384
	s_waitcnt lgkmcnt(0)
	v_mul_u32_u24_sdwa v32, v20, s13 dst_sel:DWORD dst_unused:UNUSED_PAD src0_sel:WORD_0 src1_sel:DWORD
	v_mul_u32_u24_sdwa v20, v20, s13 dst_sel:DWORD dst_unused:UNUSED_PAD src0_sel:WORD_1 src1_sel:DWORD
	v_mul_u32_u24_sdwa v33, v21, s13 dst_sel:DWORD dst_unused:UNUSED_PAD src0_sel:WORD_0 src1_sel:DWORD
	v_mul_u32_u24_sdwa v21, v21, s13 dst_sel:DWORD dst_unused:UNUSED_PAD src0_sel:WORD_1 src1_sel:DWORD
	v_mul_u32_u24_sdwa v34, v22, s13 dst_sel:DWORD dst_unused:UNUSED_PAD src0_sel:WORD_0 src1_sel:DWORD
	v_mul_u32_u24_sdwa v22, v22, s13 dst_sel:DWORD dst_unused:UNUSED_PAD src0_sel:WORD_1 src1_sel:DWORD
	v_mul_u32_u24_sdwa v43, v23, s13 dst_sel:DWORD dst_unused:UNUSED_PAD src0_sel:WORD_0 src1_sel:DWORD
	v_mul_u32_u24_sdwa v23, v23, s13 dst_sel:DWORD dst_unused:UNUSED_PAD src0_sel:WORD_1 src1_sel:DWORD
	v_pk_fma_f16 v35, v9, v32, v35
	v_pk_fma_f16 v36, v9, v20, v36
	v_pk_fma_f16 v37, v9, v33, v37
	v_pk_fma_f16 v38, v9, v21, v38
	v_pk_fma_f16 v39, v9, v34, v39
	v_pk_fma_f16 v40, v9, v22, v40
	v_pk_fma_f16 v41, v9, v43, v41
	v_pk_fma_f16 v9, v9, v23, v42
	v_pk_fma_f16 v30, v10, v32, v30
	v_pk_fma_f16 v24, v10, v20, v24
	v_pk_fma_f16 v25, v10, v33, v25
	v_pk_fma_f16 v26, v10, v21, v26
	v_pk_fma_f16 v27, v10, v34, v27
	v_pk_fma_f16 v28, v10, v22, v28
	v_pk_fma_f16 v29, v10, v43, v29
	v_pk_fma_f16 v10, v10, v23, v31
	ds_read_b128 v[20:23], v69 offset:400
	s_waitcnt lgkmcnt(0)
	v_mul_u32_u24_sdwa v31, v20, s13 dst_sel:DWORD dst_unused:UNUSED_PAD src0_sel:WORD_0 src1_sel:DWORD
	v_mul_u32_u24_sdwa v20, v20, s13 dst_sel:DWORD dst_unused:UNUSED_PAD src0_sel:WORD_1 src1_sel:DWORD
	v_mul_u32_u24_sdwa v32, v21, s13 dst_sel:DWORD dst_unused:UNUSED_PAD src0_sel:WORD_0 src1_sel:DWORD
	v_mul_u32_u24_sdwa v21, v21, s13 dst_sel:DWORD dst_unused:UNUSED_PAD src0_sel:WORD_1 src1_sel:DWORD
	v_mul_u32_u24_sdwa v33, v22, s13 dst_sel:DWORD dst_unused:UNUSED_PAD src0_sel:WORD_0 src1_sel:DWORD
	v_mul_u32_u24_sdwa v22, v22, s13 dst_sel:DWORD dst_unused:UNUSED_PAD src0_sel:WORD_1 src1_sel:DWORD
	v_mul_u32_u24_sdwa v34, v23, s13 dst_sel:DWORD dst_unused:UNUSED_PAD src0_sel:WORD_0 src1_sel:DWORD
	v_mul_u32_u24_sdwa v23, v23, s13 dst_sel:DWORD dst_unused:UNUSED_PAD src0_sel:WORD_1 src1_sel:DWORD
	v_pk_fma_f16 v35, v11, v31, v35
	v_pk_fma_f16 v36, v11, v20, v36
	v_pk_fma_f16 v37, v11, v32, v37
	v_pk_fma_f16 v38, v11, v21, v38
	v_pk_fma_f16 v39, v11, v33, v39
	v_pk_fma_f16 v40, v11, v22, v40
	v_pk_fma_f16 v41, v11, v34, v41
	v_pk_fma_f16 v42, v11, v23, v9
	v_pk_fma_f16 v30, v12, v31, v30
	v_pk_fma_f16 v24, v12, v20, v24
	v_pk_fma_f16 v25, v12, v32, v25
	v_pk_fma_f16 v26, v12, v21, v26
	v_pk_fma_f16 v27, v12, v33, v27
	v_pk_fma_f16 v28, v12, v22, v28
	v_pk_fma_f16 v29, v12, v34, v29
	v_pk_fma_f16 v31, v12, v23, v10
	ds_read2_b64 v[9:12], v68 offset0:64 offset1:96
	ds_read_b128 v[20:23], v69 offset:416
	s_waitcnt lgkmcnt(0)
	v_mul_u32_u24_sdwa v32, v20, s13 dst_sel:DWORD dst_unused:UNUSED_PAD src0_sel:WORD_0 src1_sel:DWORD
	v_mul_u32_u24_sdwa v20, v20, s13 dst_sel:DWORD dst_unused:UNUSED_PAD src0_sel:WORD_1 src1_sel:DWORD
	v_mul_u32_u24_sdwa v33, v21, s13 dst_sel:DWORD dst_unused:UNUSED_PAD src0_sel:WORD_0 src1_sel:DWORD
	v_mul_u32_u24_sdwa v21, v21, s13 dst_sel:DWORD dst_unused:UNUSED_PAD src0_sel:WORD_1 src1_sel:DWORD
	v_mul_u32_u24_sdwa v34, v22, s13 dst_sel:DWORD dst_unused:UNUSED_PAD src0_sel:WORD_0 src1_sel:DWORD
	v_mul_u32_u24_sdwa v22, v22, s13 dst_sel:DWORD dst_unused:UNUSED_PAD src0_sel:WORD_1 src1_sel:DWORD
	v_mul_u32_u24_sdwa v43, v23, s13 dst_sel:DWORD dst_unused:UNUSED_PAD src0_sel:WORD_0 src1_sel:DWORD
	v_mul_u32_u24_sdwa v23, v23, s13 dst_sel:DWORD dst_unused:UNUSED_PAD src0_sel:WORD_1 src1_sel:DWORD
	v_pk_fma_f16 v35, v9, v32, v35
	v_pk_fma_f16 v36, v9, v20, v36
	v_pk_fma_f16 v37, v9, v33, v37
	v_pk_fma_f16 v38, v9, v21, v38
	v_pk_fma_f16 v39, v9, v34, v39
	v_pk_fma_f16 v40, v9, v22, v40
	v_pk_fma_f16 v41, v9, v43, v41
	v_pk_fma_f16 v9, v9, v23, v42
	v_pk_fma_f16 v30, v10, v32, v30
	v_pk_fma_f16 v24, v10, v20, v24
	v_pk_fma_f16 v25, v10, v33, v25
	v_pk_fma_f16 v26, v10, v21, v26
	v_pk_fma_f16 v27, v10, v34, v27
	v_pk_fma_f16 v28, v10, v22, v28
	v_pk_fma_f16 v29, v10, v43, v29
	v_pk_fma_f16 v10, v10, v23, v31
	ds_read_b128 v[20:23], v69 offset:432
	s_waitcnt lgkmcnt(0)
	v_mul_u32_u24_sdwa v31, v20, s13 dst_sel:DWORD dst_unused:UNUSED_PAD src0_sel:WORD_0 src1_sel:DWORD
	v_mul_u32_u24_sdwa v20, v20, s13 dst_sel:DWORD dst_unused:UNUSED_PAD src0_sel:WORD_1 src1_sel:DWORD
	v_mul_u32_u24_sdwa v32, v21, s13 dst_sel:DWORD dst_unused:UNUSED_PAD src0_sel:WORD_0 src1_sel:DWORD
	v_mul_u32_u24_sdwa v21, v21, s13 dst_sel:DWORD dst_unused:UNUSED_PAD src0_sel:WORD_1 src1_sel:DWORD
	v_mul_u32_u24_sdwa v33, v22, s13 dst_sel:DWORD dst_unused:UNUSED_PAD src0_sel:WORD_0 src1_sel:DWORD
	v_mul_u32_u24_sdwa v22, v22, s13 dst_sel:DWORD dst_unused:UNUSED_PAD src0_sel:WORD_1 src1_sel:DWORD
	v_mul_u32_u24_sdwa v34, v23, s13 dst_sel:DWORD dst_unused:UNUSED_PAD src0_sel:WORD_0 src1_sel:DWORD
	v_mul_u32_u24_sdwa v23, v23, s13 dst_sel:DWORD dst_unused:UNUSED_PAD src0_sel:WORD_1 src1_sel:DWORD
	v_pk_fma_f16 v35, v11, v31, v35
	v_pk_fma_f16 v36, v11, v20, v36
	v_pk_fma_f16 v37, v11, v32, v37
	v_pk_fma_f16 v38, v11, v21, v38
	v_pk_fma_f16 v39, v11, v33, v39
	v_pk_fma_f16 v40, v11, v22, v40
	v_pk_fma_f16 v41, v11, v34, v41
	v_pk_fma_f16 v42, v11, v23, v9
	v_pk_fma_f16 v30, v12, v31, v30
	v_pk_fma_f16 v24, v12, v20, v24
	v_pk_fma_f16 v25, v12, v32, v25
	v_pk_fma_f16 v26, v12, v21, v26
	v_pk_fma_f16 v27, v12, v33, v27
	v_pk_fma_f16 v28, v12, v22, v28
	v_pk_fma_f16 v29, v12, v34, v29
	v_pk_fma_f16 v31, v12, v23, v10
	ds_read2_b64 v[9:12], v68 offset0:128 offset1:160
	;; [unrolled: 53-line block ×3, first 2 shown]
	ds_read_b128 v[9:12], v69 offset:480
	s_waitcnt lgkmcnt(0)
	v_mul_u32_u24_sdwa v27, v9, s13 dst_sel:DWORD dst_unused:UNUSED_PAD src0_sel:WORD_0 src1_sel:DWORD
	v_mul_u32_u24_sdwa v9, v9, s13 dst_sel:DWORD dst_unused:UNUSED_PAD src0_sel:WORD_1 src1_sel:DWORD
	v_mul_u32_u24_sdwa v32, v10, s13 dst_sel:DWORD dst_unused:UNUSED_PAD src0_sel:WORD_0 src1_sel:DWORD
	v_mul_u32_u24_sdwa v10, v10, s13 dst_sel:DWORD dst_unused:UNUSED_PAD src0_sel:WORD_1 src1_sel:DWORD
	;; [unrolled: 2-line block ×4, first 2 shown]
	v_pk_fma_f16 v35, v28, v27, v35
	v_pk_fma_f16 v36, v28, v9, v36
	;; [unrolled: 1-line block ×13, first 2 shown]
	ds_read_b128 v[9:12], v69 offset:496
	v_pk_fma_f16 v32, v29, v32, v24
	v_pk_fma_f16 v33, v29, v33, v25
	;; [unrolled: 1-line block ×3, first 2 shown]
	s_waitcnt lgkmcnt(0)
	v_mul_u32_u24_sdwa v26, v10, s13 dst_sel:DWORD dst_unused:UNUSED_PAD src0_sel:WORD_0 src1_sel:DWORD
	v_mul_u32_u24_sdwa v46, v11, s13 dst_sel:DWORD dst_unused:UNUSED_PAD src0_sel:WORD_0 src1_sel:DWORD
	v_mul_u32_u24_sdwa v49, v12, s13 dst_sel:DWORD dst_unused:UNUSED_PAD src0_sel:WORD_1 src1_sel:DWORD
	v_mul_u32_u24_sdwa v47, v11, s13 dst_sel:DWORD dst_unused:UNUSED_PAD src0_sel:WORD_1 src1_sel:DWORD
	v_pk_fma_f16 v11, v30, v26, v37
	v_pk_fma_f16 v23, v30, v49, v28
	;; [unrolled: 1-line block ×4, first 2 shown]
	v_add_co_u32_e32 v32, vcc, s8, v71
	v_mov_b32_e32 v33, s9
	v_mul_u32_u24_sdwa v24, v9, s13 dst_sel:DWORD dst_unused:UNUSED_PAD src0_sel:WORD_0 src1_sel:DWORD
	v_mul_u32_u24_sdwa v25, v9, s13 dst_sel:DWORD dst_unused:UNUSED_PAD src0_sel:WORD_1 src1_sel:DWORD
	v_mul_u32_u24_sdwa v29, v10, s13 dst_sel:DWORD dst_unused:UNUSED_PAD src0_sel:WORD_1 src1_sel:DWORD
	v_mul_u32_u24_sdwa v48, v12, s13 dst_sel:DWORD dst_unused:UNUSED_PAD src0_sel:WORD_0 src1_sel:DWORD
	v_addc_co_u32_e32 v33, vcc, v72, v33, vcc
	v_pk_fma_f16 v9, v30, v24, v35
	v_pk_fma_f16 v10, v30, v25, v36
	;; [unrolled: 1-line block ×7, first 2 shown]
	s_barrier
	global_load_dwordx4 v[32:35], v[32:33], off
	v_pk_fma_f16 v24, v31, v24, v27
	v_pk_fma_f16 v25, v31, v25, v42
	;; [unrolled: 1-line block ×5, first 2 shown]
	s_or_b32 s8, s6, 48
	s_mul_hi_i32 s9, s8, s15
	s_mul_i32 s8, s8, s15
	s_lshl_b64 s[8:9], s[8:9], 2
	s_waitcnt vmcnt(0)
	ds_write_b128 v70, v[32:35]
	s_waitcnt lgkmcnt(0)
	s_barrier
	ds_read2_b64 v[32:35], v73 offset1:32
	ds_read_b128 v[36:39], v69 offset:512
	ds_read_b128 v[40:43], v69 offset:528
	;; [unrolled: 1-line block ×4, first 2 shown]
	s_waitcnt lgkmcnt(3)
	v_mul_u32_u24_sdwa v58, v36, s13 dst_sel:DWORD dst_unused:UNUSED_PAD src0_sel:WORD_0 src1_sel:DWORD
	v_mul_u32_u24_sdwa v36, v36, s13 dst_sel:DWORD dst_unused:UNUSED_PAD src0_sel:WORD_1 src1_sel:DWORD
	v_mul_u32_u24_sdwa v59, v37, s13 dst_sel:DWORD dst_unused:UNUSED_PAD src0_sel:WORD_0 src1_sel:DWORD
	v_mul_u32_u24_sdwa v37, v37, s13 dst_sel:DWORD dst_unused:UNUSED_PAD src0_sel:WORD_1 src1_sel:DWORD
	;; [unrolled: 2-line block ×4, first 2 shown]
	v_pk_fma_f16 v9, v32, v58, v9
	v_pk_fma_f16 v10, v32, v36, v10
	;; [unrolled: 1-line block ×16, first 2 shown]
	s_waitcnt lgkmcnt(2)
	v_mul_u32_u24_sdwa v32, v40, s13 dst_sel:DWORD dst_unused:UNUSED_PAD src0_sel:WORD_0 src1_sel:DWORD
	v_mul_u32_u24_sdwa v33, v40, s13 dst_sel:DWORD dst_unused:UNUSED_PAD src0_sel:WORD_1 src1_sel:DWORD
	v_mul_u32_u24_sdwa v36, v41, s13 dst_sel:DWORD dst_unused:UNUSED_PAD src0_sel:WORD_0 src1_sel:DWORD
	v_mul_u32_u24_sdwa v37, v41, s13 dst_sel:DWORD dst_unused:UNUSED_PAD src0_sel:WORD_1 src1_sel:DWORD
	;; [unrolled: 2-line block ×4, first 2 shown]
	v_pk_fma_f16 v42, v34, v32, v9
	v_pk_fma_f16 v43, v34, v33, v10
	;; [unrolled: 1-line block ×4, first 2 shown]
	ds_read2_b64 v[9:12], v73 offset0:64 offset1:96
	v_pk_fma_f16 v20, v34, v38, v20
	v_pk_fma_f16 v21, v34, v39, v21
	;; [unrolled: 1-line block ×12, first 2 shown]
	s_waitcnt lgkmcnt(2)
	v_mul_u32_u24_sdwa v32, v44, s13 dst_sel:DWORD dst_unused:UNUSED_PAD src0_sel:WORD_0 src1_sel:DWORD
	v_mul_u32_u24_sdwa v33, v44, s13 dst_sel:DWORD dst_unused:UNUSED_PAD src0_sel:WORD_1 src1_sel:DWORD
	v_mul_u32_u24_sdwa v34, v45, s13 dst_sel:DWORD dst_unused:UNUSED_PAD src0_sel:WORD_0 src1_sel:DWORD
	v_mul_u32_u24_sdwa v35, v45, s13 dst_sel:DWORD dst_unused:UNUSED_PAD src0_sel:WORD_1 src1_sel:DWORD
	;; [unrolled: 2-line block ×4, first 2 shown]
	s_waitcnt lgkmcnt(0)
	v_pk_fma_f16 v40, v9, v32, v42
	v_pk_fma_f16 v41, v9, v33, v43
	;; [unrolled: 1-line block ×16, first 2 shown]
	v_mul_u32_u24_sdwa v30, v48, s13 dst_sel:DWORD dst_unused:UNUSED_PAD src0_sel:WORD_0 src1_sel:DWORD
	v_mul_u32_u24_sdwa v31, v48, s13 dst_sel:DWORD dst_unused:UNUSED_PAD src0_sel:WORD_1 src1_sel:DWORD
	v_mul_u32_u24_sdwa v32, v49, s13 dst_sel:DWORD dst_unused:UNUSED_PAD src0_sel:WORD_0 src1_sel:DWORD
	v_mul_u32_u24_sdwa v33, v49, s13 dst_sel:DWORD dst_unused:UNUSED_PAD src0_sel:WORD_1 src1_sel:DWORD
	;; [unrolled: 2-line block ×4, first 2 shown]
	v_pk_fma_f16 v38, v11, v30, v40
	v_pk_fma_f16 v39, v11, v31, v41
	;; [unrolled: 1-line block ×16, first 2 shown]
	ds_read2_b64 v[9:12], v73 offset0:128 offset1:160
	ds_read_b128 v[20:23], v69 offset:576
	s_waitcnt lgkmcnt(0)
	v_mul_u32_u24_sdwa v32, v20, s13 dst_sel:DWORD dst_unused:UNUSED_PAD src0_sel:WORD_0 src1_sel:DWORD
	v_mul_u32_u24_sdwa v20, v20, s13 dst_sel:DWORD dst_unused:UNUSED_PAD src0_sel:WORD_1 src1_sel:DWORD
	v_mul_u32_u24_sdwa v33, v21, s13 dst_sel:DWORD dst_unused:UNUSED_PAD src0_sel:WORD_0 src1_sel:DWORD
	v_mul_u32_u24_sdwa v21, v21, s13 dst_sel:DWORD dst_unused:UNUSED_PAD src0_sel:WORD_1 src1_sel:DWORD
	;; [unrolled: 2-line block ×4, first 2 shown]
	v_pk_fma_f16 v36, v9, v32, v38
	v_pk_fma_f16 v37, v9, v20, v39
	;; [unrolled: 1-line block ×16, first 2 shown]
	ds_read_b128 v[20:23], v69 offset:592
	s_waitcnt lgkmcnt(0)
	v_mul_u32_u24_sdwa v31, v20, s13 dst_sel:DWORD dst_unused:UNUSED_PAD src0_sel:WORD_0 src1_sel:DWORD
	v_mul_u32_u24_sdwa v20, v20, s13 dst_sel:DWORD dst_unused:UNUSED_PAD src0_sel:WORD_1 src1_sel:DWORD
	v_mul_u32_u24_sdwa v32, v21, s13 dst_sel:DWORD dst_unused:UNUSED_PAD src0_sel:WORD_0 src1_sel:DWORD
	v_mul_u32_u24_sdwa v21, v21, s13 dst_sel:DWORD dst_unused:UNUSED_PAD src0_sel:WORD_1 src1_sel:DWORD
	;; [unrolled: 2-line block ×4, first 2 shown]
	v_pk_fma_f16 v35, v11, v31, v36
	v_pk_fma_f16 v36, v11, v20, v37
	;; [unrolled: 1-line block ×16, first 2 shown]
	ds_read2_b64 v[9:12], v73 offset0:192 offset1:224
	ds_read_b128 v[20:23], v69 offset:608
	s_waitcnt lgkmcnt(0)
	v_mul_u32_u24_sdwa v32, v20, s13 dst_sel:DWORD dst_unused:UNUSED_PAD src0_sel:WORD_0 src1_sel:DWORD
	v_mul_u32_u24_sdwa v20, v20, s13 dst_sel:DWORD dst_unused:UNUSED_PAD src0_sel:WORD_1 src1_sel:DWORD
	v_mul_u32_u24_sdwa v33, v21, s13 dst_sel:DWORD dst_unused:UNUSED_PAD src0_sel:WORD_0 src1_sel:DWORD
	v_mul_u32_u24_sdwa v21, v21, s13 dst_sel:DWORD dst_unused:UNUSED_PAD src0_sel:WORD_1 src1_sel:DWORD
	;; [unrolled: 2-line block ×4, first 2 shown]
	v_pk_fma_f16 v35, v9, v32, v35
	v_pk_fma_f16 v36, v9, v20, v36
	;; [unrolled: 1-line block ×16, first 2 shown]
	ds_read_b128 v[20:23], v69 offset:624
	s_waitcnt lgkmcnt(0)
	v_mul_u32_u24_sdwa v31, v20, s13 dst_sel:DWORD dst_unused:UNUSED_PAD src0_sel:WORD_0 src1_sel:DWORD
	v_mul_u32_u24_sdwa v20, v20, s13 dst_sel:DWORD dst_unused:UNUSED_PAD src0_sel:WORD_1 src1_sel:DWORD
	v_mul_u32_u24_sdwa v32, v21, s13 dst_sel:DWORD dst_unused:UNUSED_PAD src0_sel:WORD_0 src1_sel:DWORD
	v_mul_u32_u24_sdwa v21, v21, s13 dst_sel:DWORD dst_unused:UNUSED_PAD src0_sel:WORD_1 src1_sel:DWORD
	;; [unrolled: 2-line block ×4, first 2 shown]
	v_pk_fma_f16 v35, v11, v31, v35
	v_pk_fma_f16 v36, v11, v20, v36
	;; [unrolled: 1-line block ×16, first 2 shown]
	ds_read2_b64 v[9:12], v68 offset1:32
	ds_read_b128 v[20:23], v69 offset:640
	s_waitcnt lgkmcnt(0)
	v_mul_u32_u24_sdwa v32, v20, s13 dst_sel:DWORD dst_unused:UNUSED_PAD src0_sel:WORD_0 src1_sel:DWORD
	v_mul_u32_u24_sdwa v20, v20, s13 dst_sel:DWORD dst_unused:UNUSED_PAD src0_sel:WORD_1 src1_sel:DWORD
	v_mul_u32_u24_sdwa v33, v21, s13 dst_sel:DWORD dst_unused:UNUSED_PAD src0_sel:WORD_0 src1_sel:DWORD
	v_mul_u32_u24_sdwa v21, v21, s13 dst_sel:DWORD dst_unused:UNUSED_PAD src0_sel:WORD_1 src1_sel:DWORD
	v_mul_u32_u24_sdwa v34, v22, s13 dst_sel:DWORD dst_unused:UNUSED_PAD src0_sel:WORD_0 src1_sel:DWORD
	v_mul_u32_u24_sdwa v22, v22, s13 dst_sel:DWORD dst_unused:UNUSED_PAD src0_sel:WORD_1 src1_sel:DWORD
	v_mul_u32_u24_sdwa v43, v23, s13 dst_sel:DWORD dst_unused:UNUSED_PAD src0_sel:WORD_0 src1_sel:DWORD
	v_mul_u32_u24_sdwa v23, v23, s13 dst_sel:DWORD dst_unused:UNUSED_PAD src0_sel:WORD_1 src1_sel:DWORD
	v_pk_fma_f16 v35, v9, v32, v35
	v_pk_fma_f16 v36, v9, v20, v36
	v_pk_fma_f16 v37, v9, v33, v37
	v_pk_fma_f16 v38, v9, v21, v38
	v_pk_fma_f16 v39, v9, v34, v39
	v_pk_fma_f16 v40, v9, v22, v40
	v_pk_fma_f16 v41, v9, v43, v41
	v_pk_fma_f16 v9, v9, v23, v42
	v_pk_fma_f16 v30, v10, v32, v30
	v_pk_fma_f16 v24, v10, v20, v24
	v_pk_fma_f16 v25, v10, v33, v25
	v_pk_fma_f16 v26, v10, v21, v26
	v_pk_fma_f16 v27, v10, v34, v27
	v_pk_fma_f16 v28, v10, v22, v28
	v_pk_fma_f16 v29, v10, v43, v29
	v_pk_fma_f16 v10, v10, v23, v31
	ds_read_b128 v[20:23], v69 offset:656
	s_waitcnt lgkmcnt(0)
	v_mul_u32_u24_sdwa v31, v20, s13 dst_sel:DWORD dst_unused:UNUSED_PAD src0_sel:WORD_0 src1_sel:DWORD
	v_mul_u32_u24_sdwa v20, v20, s13 dst_sel:DWORD dst_unused:UNUSED_PAD src0_sel:WORD_1 src1_sel:DWORD
	v_mul_u32_u24_sdwa v32, v21, s13 dst_sel:DWORD dst_unused:UNUSED_PAD src0_sel:WORD_0 src1_sel:DWORD
	v_mul_u32_u24_sdwa v21, v21, s13 dst_sel:DWORD dst_unused:UNUSED_PAD src0_sel:WORD_1 src1_sel:DWORD
	v_mul_u32_u24_sdwa v33, v22, s13 dst_sel:DWORD dst_unused:UNUSED_PAD src0_sel:WORD_0 src1_sel:DWORD
	v_mul_u32_u24_sdwa v22, v22, s13 dst_sel:DWORD dst_unused:UNUSED_PAD src0_sel:WORD_1 src1_sel:DWORD
	v_mul_u32_u24_sdwa v34, v23, s13 dst_sel:DWORD dst_unused:UNUSED_PAD src0_sel:WORD_0 src1_sel:DWORD
	v_mul_u32_u24_sdwa v23, v23, s13 dst_sel:DWORD dst_unused:UNUSED_PAD src0_sel:WORD_1 src1_sel:DWORD
	v_pk_fma_f16 v35, v11, v31, v35
	v_pk_fma_f16 v36, v11, v20, v36
	v_pk_fma_f16 v37, v11, v32, v37
	v_pk_fma_f16 v38, v11, v21, v38
	v_pk_fma_f16 v39, v11, v33, v39
	v_pk_fma_f16 v40, v11, v22, v40
	v_pk_fma_f16 v41, v11, v34, v41
	v_pk_fma_f16 v42, v11, v23, v9
	v_pk_fma_f16 v30, v12, v31, v30
	v_pk_fma_f16 v24, v12, v20, v24
	v_pk_fma_f16 v25, v12, v32, v25
	v_pk_fma_f16 v26, v12, v21, v26
	v_pk_fma_f16 v27, v12, v33, v27
	v_pk_fma_f16 v28, v12, v22, v28
	v_pk_fma_f16 v29, v12, v34, v29
	v_pk_fma_f16 v31, v12, v23, v10
	ds_read2_b64 v[9:12], v68 offset0:64 offset1:96
	ds_read_b128 v[20:23], v69 offset:672
	s_waitcnt lgkmcnt(0)
	v_mul_u32_u24_sdwa v32, v20, s13 dst_sel:DWORD dst_unused:UNUSED_PAD src0_sel:WORD_0 src1_sel:DWORD
	v_mul_u32_u24_sdwa v20, v20, s13 dst_sel:DWORD dst_unused:UNUSED_PAD src0_sel:WORD_1 src1_sel:DWORD
	v_mul_u32_u24_sdwa v33, v21, s13 dst_sel:DWORD dst_unused:UNUSED_PAD src0_sel:WORD_0 src1_sel:DWORD
	v_mul_u32_u24_sdwa v21, v21, s13 dst_sel:DWORD dst_unused:UNUSED_PAD src0_sel:WORD_1 src1_sel:DWORD
	v_mul_u32_u24_sdwa v34, v22, s13 dst_sel:DWORD dst_unused:UNUSED_PAD src0_sel:WORD_0 src1_sel:DWORD
	v_mul_u32_u24_sdwa v22, v22, s13 dst_sel:DWORD dst_unused:UNUSED_PAD src0_sel:WORD_1 src1_sel:DWORD
	v_mul_u32_u24_sdwa v43, v23, s13 dst_sel:DWORD dst_unused:UNUSED_PAD src0_sel:WORD_0 src1_sel:DWORD
	v_mul_u32_u24_sdwa v23, v23, s13 dst_sel:DWORD dst_unused:UNUSED_PAD src0_sel:WORD_1 src1_sel:DWORD
	v_pk_fma_f16 v35, v9, v32, v35
	v_pk_fma_f16 v36, v9, v20, v36
	v_pk_fma_f16 v37, v9, v33, v37
	v_pk_fma_f16 v38, v9, v21, v38
	v_pk_fma_f16 v39, v9, v34, v39
	v_pk_fma_f16 v40, v9, v22, v40
	v_pk_fma_f16 v41, v9, v43, v41
	v_pk_fma_f16 v9, v9, v23, v42
	v_pk_fma_f16 v30, v10, v32, v30
	v_pk_fma_f16 v24, v10, v20, v24
	v_pk_fma_f16 v25, v10, v33, v25
	v_pk_fma_f16 v26, v10, v21, v26
	v_pk_fma_f16 v27, v10, v34, v27
	v_pk_fma_f16 v28, v10, v22, v28
	v_pk_fma_f16 v29, v10, v43, v29
	v_pk_fma_f16 v10, v10, v23, v31
	ds_read_b128 v[20:23], v69 offset:688
	s_waitcnt lgkmcnt(0)
	v_mul_u32_u24_sdwa v31, v20, s13 dst_sel:DWORD dst_unused:UNUSED_PAD src0_sel:WORD_0 src1_sel:DWORD
	v_mul_u32_u24_sdwa v20, v20, s13 dst_sel:DWORD dst_unused:UNUSED_PAD src0_sel:WORD_1 src1_sel:DWORD
	v_mul_u32_u24_sdwa v32, v21, s13 dst_sel:DWORD dst_unused:UNUSED_PAD src0_sel:WORD_0 src1_sel:DWORD
	v_mul_u32_u24_sdwa v21, v21, s13 dst_sel:DWORD dst_unused:UNUSED_PAD src0_sel:WORD_1 src1_sel:DWORD
	v_mul_u32_u24_sdwa v33, v22, s13 dst_sel:DWORD dst_unused:UNUSED_PAD src0_sel:WORD_0 src1_sel:DWORD
	v_mul_u32_u24_sdwa v22, v22, s13 dst_sel:DWORD dst_unused:UNUSED_PAD src0_sel:WORD_1 src1_sel:DWORD
	v_mul_u32_u24_sdwa v34, v23, s13 dst_sel:DWORD dst_unused:UNUSED_PAD src0_sel:WORD_0 src1_sel:DWORD
	v_mul_u32_u24_sdwa v23, v23, s13 dst_sel:DWORD dst_unused:UNUSED_PAD src0_sel:WORD_1 src1_sel:DWORD
	v_pk_fma_f16 v35, v11, v31, v35
	v_pk_fma_f16 v36, v11, v20, v36
	v_pk_fma_f16 v37, v11, v32, v37
	v_pk_fma_f16 v38, v11, v21, v38
	v_pk_fma_f16 v39, v11, v33, v39
	v_pk_fma_f16 v40, v11, v22, v40
	v_pk_fma_f16 v41, v11, v34, v41
	v_pk_fma_f16 v42, v11, v23, v9
	v_pk_fma_f16 v30, v12, v31, v30
	v_pk_fma_f16 v24, v12, v20, v24
	v_pk_fma_f16 v25, v12, v32, v25
	v_pk_fma_f16 v26, v12, v21, v26
	v_pk_fma_f16 v27, v12, v33, v27
	v_pk_fma_f16 v28, v12, v22, v28
	v_pk_fma_f16 v29, v12, v34, v29
	v_pk_fma_f16 v31, v12, v23, v10
	ds_read2_b64 v[9:12], v68 offset0:128 offset1:160
	;; [unrolled: 53-line block ×3, first 2 shown]
	ds_read_b128 v[9:12], v69 offset:736
	s_waitcnt lgkmcnt(0)
	v_mul_u32_u24_sdwa v27, v9, s13 dst_sel:DWORD dst_unused:UNUSED_PAD src0_sel:WORD_0 src1_sel:DWORD
	v_mul_u32_u24_sdwa v9, v9, s13 dst_sel:DWORD dst_unused:UNUSED_PAD src0_sel:WORD_1 src1_sel:DWORD
	v_mul_u32_u24_sdwa v32, v10, s13 dst_sel:DWORD dst_unused:UNUSED_PAD src0_sel:WORD_0 src1_sel:DWORD
	v_mul_u32_u24_sdwa v10, v10, s13 dst_sel:DWORD dst_unused:UNUSED_PAD src0_sel:WORD_1 src1_sel:DWORD
	;; [unrolled: 2-line block ×4, first 2 shown]
	v_pk_fma_f16 v35, v28, v27, v35
	v_pk_fma_f16 v36, v28, v9, v36
	;; [unrolled: 1-line block ×13, first 2 shown]
	ds_read_b128 v[9:12], v69 offset:752
	v_pk_fma_f16 v32, v29, v32, v24
	v_pk_fma_f16 v33, v29, v33, v25
	;; [unrolled: 1-line block ×3, first 2 shown]
	s_waitcnt lgkmcnt(0)
	v_mul_u32_u24_sdwa v26, v10, s13 dst_sel:DWORD dst_unused:UNUSED_PAD src0_sel:WORD_0 src1_sel:DWORD
	v_mul_u32_u24_sdwa v46, v11, s13 dst_sel:DWORD dst_unused:UNUSED_PAD src0_sel:WORD_0 src1_sel:DWORD
	v_mul_u32_u24_sdwa v49, v12, s13 dst_sel:DWORD dst_unused:UNUSED_PAD src0_sel:WORD_1 src1_sel:DWORD
	v_mul_u32_u24_sdwa v47, v11, s13 dst_sel:DWORD dst_unused:UNUSED_PAD src0_sel:WORD_1 src1_sel:DWORD
	v_pk_fma_f16 v11, v30, v26, v37
	v_pk_fma_f16 v23, v30, v49, v28
	;; [unrolled: 1-line block ×4, first 2 shown]
	v_add_co_u32_e32 v32, vcc, s8, v71
	v_mov_b32_e32 v33, s9
	v_mul_u32_u24_sdwa v24, v9, s13 dst_sel:DWORD dst_unused:UNUSED_PAD src0_sel:WORD_0 src1_sel:DWORD
	v_mul_u32_u24_sdwa v25, v9, s13 dst_sel:DWORD dst_unused:UNUSED_PAD src0_sel:WORD_1 src1_sel:DWORD
	v_mul_u32_u24_sdwa v29, v10, s13 dst_sel:DWORD dst_unused:UNUSED_PAD src0_sel:WORD_1 src1_sel:DWORD
	v_mul_u32_u24_sdwa v48, v12, s13 dst_sel:DWORD dst_unused:UNUSED_PAD src0_sel:WORD_0 src1_sel:DWORD
	v_addc_co_u32_e32 v33, vcc, v72, v33, vcc
	v_pk_fma_f16 v9, v30, v24, v35
	v_pk_fma_f16 v10, v30, v25, v36
	;; [unrolled: 1-line block ×7, first 2 shown]
	s_barrier
	global_load_dwordx4 v[32:35], v[32:33], off
	v_pk_fma_f16 v24, v31, v24, v27
	v_pk_fma_f16 v25, v31, v25, v42
	;; [unrolled: 1-line block ×5, first 2 shown]
	s_waitcnt vmcnt(0)
	ds_write_b128 v70, v[32:35]
	s_waitcnt lgkmcnt(0)
	s_barrier
	ds_read2_b64 v[32:35], v73 offset1:32
	ds_read_b128 v[36:39], v69 offset:768
	ds_read_b128 v[40:43], v69 offset:784
	;; [unrolled: 1-line block ×4, first 2 shown]
	s_waitcnt lgkmcnt(3)
	v_mul_u32_u24_sdwa v58, v36, s13 dst_sel:DWORD dst_unused:UNUSED_PAD src0_sel:WORD_0 src1_sel:DWORD
	v_mul_u32_u24_sdwa v36, v36, s13 dst_sel:DWORD dst_unused:UNUSED_PAD src0_sel:WORD_1 src1_sel:DWORD
	v_mul_u32_u24_sdwa v59, v37, s13 dst_sel:DWORD dst_unused:UNUSED_PAD src0_sel:WORD_0 src1_sel:DWORD
	v_mul_u32_u24_sdwa v37, v37, s13 dst_sel:DWORD dst_unused:UNUSED_PAD src0_sel:WORD_1 src1_sel:DWORD
	;; [unrolled: 2-line block ×4, first 2 shown]
	v_pk_fma_f16 v9, v32, v58, v9
	v_pk_fma_f16 v10, v32, v36, v10
	;; [unrolled: 1-line block ×16, first 2 shown]
	s_waitcnt lgkmcnt(2)
	v_mul_u32_u24_sdwa v32, v40, s13 dst_sel:DWORD dst_unused:UNUSED_PAD src0_sel:WORD_0 src1_sel:DWORD
	v_mul_u32_u24_sdwa v33, v40, s13 dst_sel:DWORD dst_unused:UNUSED_PAD src0_sel:WORD_1 src1_sel:DWORD
	v_mul_u32_u24_sdwa v36, v41, s13 dst_sel:DWORD dst_unused:UNUSED_PAD src0_sel:WORD_0 src1_sel:DWORD
	v_mul_u32_u24_sdwa v37, v41, s13 dst_sel:DWORD dst_unused:UNUSED_PAD src0_sel:WORD_1 src1_sel:DWORD
	;; [unrolled: 2-line block ×4, first 2 shown]
	v_pk_fma_f16 v42, v34, v32, v9
	v_pk_fma_f16 v43, v34, v33, v10
	;; [unrolled: 1-line block ×4, first 2 shown]
	ds_read2_b64 v[9:12], v73 offset0:64 offset1:96
	v_pk_fma_f16 v20, v34, v38, v20
	v_pk_fma_f16 v21, v34, v39, v21
	;; [unrolled: 1-line block ×12, first 2 shown]
	s_waitcnt lgkmcnt(2)
	v_mul_u32_u24_sdwa v32, v44, s13 dst_sel:DWORD dst_unused:UNUSED_PAD src0_sel:WORD_0 src1_sel:DWORD
	v_mul_u32_u24_sdwa v33, v44, s13 dst_sel:DWORD dst_unused:UNUSED_PAD src0_sel:WORD_1 src1_sel:DWORD
	v_mul_u32_u24_sdwa v34, v45, s13 dst_sel:DWORD dst_unused:UNUSED_PAD src0_sel:WORD_0 src1_sel:DWORD
	v_mul_u32_u24_sdwa v35, v45, s13 dst_sel:DWORD dst_unused:UNUSED_PAD src0_sel:WORD_1 src1_sel:DWORD
	;; [unrolled: 2-line block ×4, first 2 shown]
	s_waitcnt lgkmcnt(0)
	v_pk_fma_f16 v40, v9, v32, v42
	v_pk_fma_f16 v41, v9, v33, v43
	;; [unrolled: 1-line block ×16, first 2 shown]
	v_mul_u32_u24_sdwa v30, v48, s13 dst_sel:DWORD dst_unused:UNUSED_PAD src0_sel:WORD_0 src1_sel:DWORD
	v_mul_u32_u24_sdwa v31, v48, s13 dst_sel:DWORD dst_unused:UNUSED_PAD src0_sel:WORD_1 src1_sel:DWORD
	v_mul_u32_u24_sdwa v32, v49, s13 dst_sel:DWORD dst_unused:UNUSED_PAD src0_sel:WORD_0 src1_sel:DWORD
	v_mul_u32_u24_sdwa v33, v49, s13 dst_sel:DWORD dst_unused:UNUSED_PAD src0_sel:WORD_1 src1_sel:DWORD
	v_mul_u32_u24_sdwa v34, v50, s13 dst_sel:DWORD dst_unused:UNUSED_PAD src0_sel:WORD_0 src1_sel:DWORD
	v_mul_u32_u24_sdwa v35, v50, s13 dst_sel:DWORD dst_unused:UNUSED_PAD src0_sel:WORD_1 src1_sel:DWORD
	v_mul_u32_u24_sdwa v36, v51, s13 dst_sel:DWORD dst_unused:UNUSED_PAD src0_sel:WORD_0 src1_sel:DWORD
	v_mul_u32_u24_sdwa v37, v51, s13 dst_sel:DWORD dst_unused:UNUSED_PAD src0_sel:WORD_1 src1_sel:DWORD
	v_pk_fma_f16 v38, v11, v30, v40
	v_pk_fma_f16 v39, v11, v31, v41
	;; [unrolled: 1-line block ×16, first 2 shown]
	ds_read2_b64 v[9:12], v73 offset0:128 offset1:160
	ds_read_b128 v[20:23], v69 offset:832
	s_waitcnt lgkmcnt(0)
	v_mul_u32_u24_sdwa v32, v20, s13 dst_sel:DWORD dst_unused:UNUSED_PAD src0_sel:WORD_0 src1_sel:DWORD
	v_mul_u32_u24_sdwa v20, v20, s13 dst_sel:DWORD dst_unused:UNUSED_PAD src0_sel:WORD_1 src1_sel:DWORD
	v_mul_u32_u24_sdwa v33, v21, s13 dst_sel:DWORD dst_unused:UNUSED_PAD src0_sel:WORD_0 src1_sel:DWORD
	v_mul_u32_u24_sdwa v21, v21, s13 dst_sel:DWORD dst_unused:UNUSED_PAD src0_sel:WORD_1 src1_sel:DWORD
	;; [unrolled: 2-line block ×4, first 2 shown]
	v_pk_fma_f16 v36, v9, v32, v38
	v_pk_fma_f16 v37, v9, v20, v39
	;; [unrolled: 1-line block ×16, first 2 shown]
	ds_read_b128 v[20:23], v69 offset:848
	s_waitcnt lgkmcnt(0)
	v_mul_u32_u24_sdwa v31, v20, s13 dst_sel:DWORD dst_unused:UNUSED_PAD src0_sel:WORD_0 src1_sel:DWORD
	v_mul_u32_u24_sdwa v20, v20, s13 dst_sel:DWORD dst_unused:UNUSED_PAD src0_sel:WORD_1 src1_sel:DWORD
	v_mul_u32_u24_sdwa v32, v21, s13 dst_sel:DWORD dst_unused:UNUSED_PAD src0_sel:WORD_0 src1_sel:DWORD
	v_mul_u32_u24_sdwa v21, v21, s13 dst_sel:DWORD dst_unused:UNUSED_PAD src0_sel:WORD_1 src1_sel:DWORD
	;; [unrolled: 2-line block ×4, first 2 shown]
	v_pk_fma_f16 v35, v11, v31, v36
	v_pk_fma_f16 v36, v11, v20, v37
	;; [unrolled: 1-line block ×16, first 2 shown]
	ds_read2_b64 v[9:12], v73 offset0:192 offset1:224
	ds_read_b128 v[20:23], v69 offset:864
	s_waitcnt lgkmcnt(0)
	v_mul_u32_u24_sdwa v32, v20, s13 dst_sel:DWORD dst_unused:UNUSED_PAD src0_sel:WORD_0 src1_sel:DWORD
	v_mul_u32_u24_sdwa v20, v20, s13 dst_sel:DWORD dst_unused:UNUSED_PAD src0_sel:WORD_1 src1_sel:DWORD
	v_mul_u32_u24_sdwa v33, v21, s13 dst_sel:DWORD dst_unused:UNUSED_PAD src0_sel:WORD_0 src1_sel:DWORD
	v_mul_u32_u24_sdwa v21, v21, s13 dst_sel:DWORD dst_unused:UNUSED_PAD src0_sel:WORD_1 src1_sel:DWORD
	;; [unrolled: 2-line block ×4, first 2 shown]
	v_pk_fma_f16 v35, v9, v32, v35
	v_pk_fma_f16 v36, v9, v20, v36
	;; [unrolled: 1-line block ×16, first 2 shown]
	ds_read_b128 v[20:23], v69 offset:880
	s_waitcnt lgkmcnt(0)
	v_mul_u32_u24_sdwa v31, v20, s13 dst_sel:DWORD dst_unused:UNUSED_PAD src0_sel:WORD_0 src1_sel:DWORD
	v_mul_u32_u24_sdwa v20, v20, s13 dst_sel:DWORD dst_unused:UNUSED_PAD src0_sel:WORD_1 src1_sel:DWORD
	v_mul_u32_u24_sdwa v32, v21, s13 dst_sel:DWORD dst_unused:UNUSED_PAD src0_sel:WORD_0 src1_sel:DWORD
	v_mul_u32_u24_sdwa v21, v21, s13 dst_sel:DWORD dst_unused:UNUSED_PAD src0_sel:WORD_1 src1_sel:DWORD
	;; [unrolled: 2-line block ×4, first 2 shown]
	v_pk_fma_f16 v35, v11, v31, v35
	v_pk_fma_f16 v36, v11, v20, v36
	;; [unrolled: 1-line block ×16, first 2 shown]
	ds_read2_b64 v[9:12], v68 offset1:32
	ds_read_b128 v[20:23], v69 offset:896
	s_waitcnt lgkmcnt(0)
	v_mul_u32_u24_sdwa v32, v20, s13 dst_sel:DWORD dst_unused:UNUSED_PAD src0_sel:WORD_0 src1_sel:DWORD
	v_mul_u32_u24_sdwa v20, v20, s13 dst_sel:DWORD dst_unused:UNUSED_PAD src0_sel:WORD_1 src1_sel:DWORD
	v_mul_u32_u24_sdwa v33, v21, s13 dst_sel:DWORD dst_unused:UNUSED_PAD src0_sel:WORD_0 src1_sel:DWORD
	v_mul_u32_u24_sdwa v21, v21, s13 dst_sel:DWORD dst_unused:UNUSED_PAD src0_sel:WORD_1 src1_sel:DWORD
	v_mul_u32_u24_sdwa v34, v22, s13 dst_sel:DWORD dst_unused:UNUSED_PAD src0_sel:WORD_0 src1_sel:DWORD
	v_mul_u32_u24_sdwa v22, v22, s13 dst_sel:DWORD dst_unused:UNUSED_PAD src0_sel:WORD_1 src1_sel:DWORD
	v_mul_u32_u24_sdwa v43, v23, s13 dst_sel:DWORD dst_unused:UNUSED_PAD src0_sel:WORD_0 src1_sel:DWORD
	v_mul_u32_u24_sdwa v23, v23, s13 dst_sel:DWORD dst_unused:UNUSED_PAD src0_sel:WORD_1 src1_sel:DWORD
	v_pk_fma_f16 v35, v9, v32, v35
	v_pk_fma_f16 v36, v9, v20, v36
	v_pk_fma_f16 v37, v9, v33, v37
	v_pk_fma_f16 v38, v9, v21, v38
	v_pk_fma_f16 v39, v9, v34, v39
	v_pk_fma_f16 v40, v9, v22, v40
	v_pk_fma_f16 v41, v9, v43, v41
	v_pk_fma_f16 v9, v9, v23, v42
	v_pk_fma_f16 v30, v10, v32, v30
	v_pk_fma_f16 v24, v10, v20, v24
	v_pk_fma_f16 v25, v10, v33, v25
	v_pk_fma_f16 v26, v10, v21, v26
	v_pk_fma_f16 v27, v10, v34, v27
	v_pk_fma_f16 v28, v10, v22, v28
	v_pk_fma_f16 v29, v10, v43, v29
	v_pk_fma_f16 v10, v10, v23, v31
	ds_read_b128 v[20:23], v69 offset:912
	s_waitcnt lgkmcnt(0)
	v_mul_u32_u24_sdwa v31, v20, s13 dst_sel:DWORD dst_unused:UNUSED_PAD src0_sel:WORD_0 src1_sel:DWORD
	v_mul_u32_u24_sdwa v20, v20, s13 dst_sel:DWORD dst_unused:UNUSED_PAD src0_sel:WORD_1 src1_sel:DWORD
	v_mul_u32_u24_sdwa v32, v21, s13 dst_sel:DWORD dst_unused:UNUSED_PAD src0_sel:WORD_0 src1_sel:DWORD
	v_mul_u32_u24_sdwa v21, v21, s13 dst_sel:DWORD dst_unused:UNUSED_PAD src0_sel:WORD_1 src1_sel:DWORD
	v_mul_u32_u24_sdwa v33, v22, s13 dst_sel:DWORD dst_unused:UNUSED_PAD src0_sel:WORD_0 src1_sel:DWORD
	v_mul_u32_u24_sdwa v22, v22, s13 dst_sel:DWORD dst_unused:UNUSED_PAD src0_sel:WORD_1 src1_sel:DWORD
	v_mul_u32_u24_sdwa v34, v23, s13 dst_sel:DWORD dst_unused:UNUSED_PAD src0_sel:WORD_0 src1_sel:DWORD
	v_mul_u32_u24_sdwa v23, v23, s13 dst_sel:DWORD dst_unused:UNUSED_PAD src0_sel:WORD_1 src1_sel:DWORD
	v_pk_fma_f16 v35, v11, v31, v35
	v_pk_fma_f16 v36, v11, v20, v36
	v_pk_fma_f16 v37, v11, v32, v37
	v_pk_fma_f16 v38, v11, v21, v38
	v_pk_fma_f16 v39, v11, v33, v39
	v_pk_fma_f16 v40, v11, v22, v40
	v_pk_fma_f16 v41, v11, v34, v41
	v_pk_fma_f16 v42, v11, v23, v9
	v_pk_fma_f16 v30, v12, v31, v30
	v_pk_fma_f16 v24, v12, v20, v24
	v_pk_fma_f16 v25, v12, v32, v25
	v_pk_fma_f16 v26, v12, v21, v26
	v_pk_fma_f16 v27, v12, v33, v27
	v_pk_fma_f16 v28, v12, v22, v28
	v_pk_fma_f16 v29, v12, v34, v29
	v_pk_fma_f16 v31, v12, v23, v10
	ds_read2_b64 v[9:12], v68 offset0:64 offset1:96
	ds_read_b128 v[20:23], v69 offset:928
	s_waitcnt lgkmcnt(0)
	v_mul_u32_u24_sdwa v32, v20, s13 dst_sel:DWORD dst_unused:UNUSED_PAD src0_sel:WORD_0 src1_sel:DWORD
	v_mul_u32_u24_sdwa v20, v20, s13 dst_sel:DWORD dst_unused:UNUSED_PAD src0_sel:WORD_1 src1_sel:DWORD
	v_mul_u32_u24_sdwa v33, v21, s13 dst_sel:DWORD dst_unused:UNUSED_PAD src0_sel:WORD_0 src1_sel:DWORD
	v_mul_u32_u24_sdwa v21, v21, s13 dst_sel:DWORD dst_unused:UNUSED_PAD src0_sel:WORD_1 src1_sel:DWORD
	v_mul_u32_u24_sdwa v34, v22, s13 dst_sel:DWORD dst_unused:UNUSED_PAD src0_sel:WORD_0 src1_sel:DWORD
	v_mul_u32_u24_sdwa v22, v22, s13 dst_sel:DWORD dst_unused:UNUSED_PAD src0_sel:WORD_1 src1_sel:DWORD
	v_mul_u32_u24_sdwa v43, v23, s13 dst_sel:DWORD dst_unused:UNUSED_PAD src0_sel:WORD_0 src1_sel:DWORD
	v_mul_u32_u24_sdwa v23, v23, s13 dst_sel:DWORD dst_unused:UNUSED_PAD src0_sel:WORD_1 src1_sel:DWORD
	v_pk_fma_f16 v35, v9, v32, v35
	v_pk_fma_f16 v36, v9, v20, v36
	v_pk_fma_f16 v37, v9, v33, v37
	v_pk_fma_f16 v38, v9, v21, v38
	v_pk_fma_f16 v39, v9, v34, v39
	v_pk_fma_f16 v40, v9, v22, v40
	v_pk_fma_f16 v41, v9, v43, v41
	v_pk_fma_f16 v9, v9, v23, v42
	v_pk_fma_f16 v30, v10, v32, v30
	v_pk_fma_f16 v24, v10, v20, v24
	v_pk_fma_f16 v25, v10, v33, v25
	v_pk_fma_f16 v26, v10, v21, v26
	v_pk_fma_f16 v27, v10, v34, v27
	v_pk_fma_f16 v28, v10, v22, v28
	v_pk_fma_f16 v29, v10, v43, v29
	v_pk_fma_f16 v10, v10, v23, v31
	ds_read_b128 v[20:23], v69 offset:944
	s_waitcnt lgkmcnt(0)
	v_mul_u32_u24_sdwa v31, v20, s13 dst_sel:DWORD dst_unused:UNUSED_PAD src0_sel:WORD_0 src1_sel:DWORD
	v_mul_u32_u24_sdwa v20, v20, s13 dst_sel:DWORD dst_unused:UNUSED_PAD src0_sel:WORD_1 src1_sel:DWORD
	v_mul_u32_u24_sdwa v32, v21, s13 dst_sel:DWORD dst_unused:UNUSED_PAD src0_sel:WORD_0 src1_sel:DWORD
	v_mul_u32_u24_sdwa v21, v21, s13 dst_sel:DWORD dst_unused:UNUSED_PAD src0_sel:WORD_1 src1_sel:DWORD
	v_mul_u32_u24_sdwa v33, v22, s13 dst_sel:DWORD dst_unused:UNUSED_PAD src0_sel:WORD_0 src1_sel:DWORD
	v_mul_u32_u24_sdwa v22, v22, s13 dst_sel:DWORD dst_unused:UNUSED_PAD src0_sel:WORD_1 src1_sel:DWORD
	v_mul_u32_u24_sdwa v34, v23, s13 dst_sel:DWORD dst_unused:UNUSED_PAD src0_sel:WORD_0 src1_sel:DWORD
	v_mul_u32_u24_sdwa v23, v23, s13 dst_sel:DWORD dst_unused:UNUSED_PAD src0_sel:WORD_1 src1_sel:DWORD
	v_pk_fma_f16 v35, v11, v31, v35
	v_pk_fma_f16 v36, v11, v20, v36
	v_pk_fma_f16 v37, v11, v32, v37
	v_pk_fma_f16 v38, v11, v21, v38
	v_pk_fma_f16 v39, v11, v33, v39
	v_pk_fma_f16 v40, v11, v22, v40
	v_pk_fma_f16 v41, v11, v34, v41
	v_pk_fma_f16 v42, v11, v23, v9
	v_pk_fma_f16 v30, v12, v31, v30
	v_pk_fma_f16 v24, v12, v20, v24
	v_pk_fma_f16 v25, v12, v32, v25
	v_pk_fma_f16 v26, v12, v21, v26
	v_pk_fma_f16 v27, v12, v33, v27
	v_pk_fma_f16 v28, v12, v22, v28
	v_pk_fma_f16 v29, v12, v34, v29
	v_pk_fma_f16 v31, v12, v23, v10
	ds_read2_b64 v[9:12], v68 offset0:128 offset1:160
	;; [unrolled: 53-line block ×3, first 2 shown]
	ds_read_b128 v[20:23], v69 offset:992
	s_waitcnt lgkmcnt(0)
	v_mul_u32_u24_sdwa v32, v20, s13 dst_sel:DWORD dst_unused:UNUSED_PAD src0_sel:WORD_0 src1_sel:DWORD
	v_mul_u32_u24_sdwa v20, v20, s13 dst_sel:DWORD dst_unused:UNUSED_PAD src0_sel:WORD_1 src1_sel:DWORD
	v_mul_u32_u24_sdwa v33, v21, s13 dst_sel:DWORD dst_unused:UNUSED_PAD src0_sel:WORD_0 src1_sel:DWORD
	v_mul_u32_u24_sdwa v21, v21, s13 dst_sel:DWORD dst_unused:UNUSED_PAD src0_sel:WORD_1 src1_sel:DWORD
	;; [unrolled: 2-line block ×4, first 2 shown]
	v_pk_fma_f16 v35, v9, v32, v35
	v_pk_fma_f16 v36, v9, v20, v36
	;; [unrolled: 1-line block ×16, first 2 shown]
	ds_read_b128 v[20:23], v69 offset:1008
	s_waitcnt lgkmcnt(0)
	s_barrier
	s_load_dword s8, s[0:1], 0x4
	v_mul_u32_u24_sdwa v31, v20, s13 dst_sel:DWORD dst_unused:UNUSED_PAD src0_sel:WORD_0 src1_sel:DWORD
	v_mul_u32_u24_sdwa v20, v20, s13 dst_sel:DWORD dst_unused:UNUSED_PAD src0_sel:WORD_1 src1_sel:DWORD
	v_mul_u32_u24_sdwa v32, v21, s13 dst_sel:DWORD dst_unused:UNUSED_PAD src0_sel:WORD_0 src1_sel:DWORD
	v_mul_u32_u24_sdwa v21, v21, s13 dst_sel:DWORD dst_unused:UNUSED_PAD src0_sel:WORD_1 src1_sel:DWORD
	s_waitcnt lgkmcnt(0)
	s_lshl_b32 s8, s8, 6
	v_mul_u32_u24_sdwa v33, v22, s13 dst_sel:DWORD dst_unused:UNUSED_PAD src0_sel:WORD_0 src1_sel:DWORD
	v_mul_u32_u24_sdwa v22, v22, s13 dst_sel:DWORD dst_unused:UNUSED_PAD src0_sel:WORD_1 src1_sel:DWORD
	v_mul_u32_u24_sdwa v34, v23, s13 dst_sel:DWORD dst_unused:UNUSED_PAD src0_sel:WORD_0 src1_sel:DWORD
	v_mul_u32_u24_sdwa v23, v23, s13 dst_sel:DWORD dst_unused:UNUSED_PAD src0_sel:WORD_1 src1_sel:DWORD
	s_add_i32 s6, s8, s6
	v_pk_fma_f16 v92, v11, v31, v35
	v_pk_fma_f16 v90, v11, v20, v36
	;; [unrolled: 1-line block ×16, first 2 shown]
	s_cmp_ge_i32 s6, s30
	s_cbranch_scc0 .LBB17_9
; %bb.10:
	buffer_load_dword v48, off, s[48:51], 0 offset:20 ; 4-byte Folded Reload
	buffer_load_dword v49, off, s[48:51], 0 offset:24 ; 4-byte Folded Reload
	;; [unrolled: 1-line block ×11, first 2 shown]
.LBB17_11:
	v_cmp_lt_i32_e32 vcc, v79, v57
	v_cndmask_b32_e32 v0, v56, v79, vcc
	v_cmp_lt_i32_e32 vcc, v52, v57
	v_lshlrev_b32_e32 v0, 2, v0
	v_cndmask_b32_e32 v9, v56, v52, vcc
	v_lshlrev_b32_e32 v12, 2, v9
	ds_bpermute_b32 v9, v0, v13
	v_cmp_lt_i32_e32 vcc, v77, v57
	v_cndmask_b32_e32 v10, v56, v77, vcc
	v_cmp_lt_i32_e32 vcc, v78, v57
	v_lshlrev_b32_e32 v20, 2, v10
	v_cndmask_b32_e32 v10, v56, v78, vcc
	s_waitcnt lgkmcnt(0)
	v_add_f32_e32 v9, v13, v9
	v_lshlrev_b32_e32 v13, 2, v10
	ds_bpermute_b32 v10, v0, v14
	ds_bpermute_b32 v11, v12, v9
	ds_bpermute_b32 v22, v0, v15
	v_cmp_lt_i32_e32 vcc, v76, v57
	v_cndmask_b32_e32 v21, v56, v76, vcc
	s_waitcnt lgkmcnt(2)
	v_add_f32_e32 v10, v14, v10
	s_waitcnt lgkmcnt(1)
	v_add_f32_e32 v9, v9, v11
	ds_bpermute_b32 v14, v12, v10
	ds_bpermute_b32 v11, v20, v9
	s_waitcnt lgkmcnt(2)
	v_add_f32_e32 v15, v15, v22
	ds_bpermute_b32 v22, v12, v15
	v_lshlrev_b32_e32 v21, 2, v21
	s_waitcnt lgkmcnt(2)
	v_add_f32_e32 v10, v10, v14
	s_waitcnt lgkmcnt(1)
	v_add_f32_e32 v9, v9, v11
	ds_bpermute_b32 v14, v20, v10
	ds_bpermute_b32 v11, v13, v9
	s_waitcnt lgkmcnt(2)
	v_add_f32_e32 v15, v15, v22
	ds_bpermute_b32 v22, v20, v15
	ds_bpermute_b32 v23, v0, v16
	s_waitcnt lgkmcnt(3)
	v_add_f32_e32 v10, v10, v14
	s_waitcnt lgkmcnt(2)
	v_add_f32_e32 v9, v9, v11
	ds_bpermute_b32 v14, v13, v10
	ds_bpermute_b32 v11, v21, v9
	s_cmp_lg_u64 s[16:17], 0
	s_cselect_b64 s[0:1], -1, 0
	s_cmp_eq_u32 s7, 0
	s_waitcnt lgkmcnt(1)
	v_add_f32_e32 v10, v10, v14
	v_add_f32_e32 v14, v15, v22
	;; [unrolled: 1-line block ×3, first 2 shown]
	s_waitcnt lgkmcnt(0)
	v_add_f32_e32 v9, v9, v11
	ds_bpermute_b32 v11, v0, v17
	ds_bpermute_b32 v16, v12, v15
	;; [unrolled: 1-line block ×4, first 2 shown]
	s_cselect_b64 s[8:9], -1, 0
	s_waitcnt lgkmcnt(3)
	v_add_f32_e32 v11, v17, v11
	s_waitcnt lgkmcnt(2)
	v_add_f32_e32 v15, v15, v16
	ds_bpermute_b32 v17, v12, v11
	ds_bpermute_b32 v16, v20, v15
	s_waitcnt lgkmcnt(3)
	v_add_f32_e32 v14, v14, v22
	ds_bpermute_b32 v22, v21, v14
	s_waitcnt lgkmcnt(3)
	v_add_f32_e32 v10, v10, v23
	s_waitcnt lgkmcnt(2)
	v_add_f32_e32 v11, v11, v17
	;; [unrolled: 2-line block ×3, first 2 shown]
	ds_bpermute_b32 v17, v20, v11
	ds_bpermute_b32 v16, v13, v15
	s_and_b64 s[0:1], s[8:9], s[0:1]
	s_and_b64 vcc, exec, s[0:1]
	s_waitcnt lgkmcnt(1)
	v_add_f32_e32 v17, v11, v17
	v_add_f32_e32 v11, v14, v22
	s_waitcnt lgkmcnt(0)
	v_add_f32_e32 v14, v15, v16
	ds_bpermute_b32 v16, v0, v18
	ds_bpermute_b32 v22, v0, v19
	;; [unrolled: 1-line block ×5, first 2 shown]
	s_waitcnt lgkmcnt(4)
	v_add_f32_e32 v16, v18, v16
	s_waitcnt lgkmcnt(3)
	v_add_f32_e32 v19, v19, v22
	;; [unrolled: 2-line block ×3, first 2 shown]
	ds_bpermute_b32 v18, v12, v16
	ds_bpermute_b32 v22, v12, v19
	;; [unrolled: 1-line block ×3, first 2 shown]
	s_waitcnt lgkmcnt(4)
	v_add_f32_e32 v17, v17, v23
	ds_bpermute_b32 v23, v21, v17
	s_waitcnt lgkmcnt(3)
	v_add_f32_e32 v16, v16, v18
	s_waitcnt lgkmcnt(2)
	v_add_f32_e32 v19, v19, v22
	;; [unrolled: 2-line block ×3, first 2 shown]
	ds_bpermute_b32 v18, v20, v16
	ds_bpermute_b32 v22, v20, v19
	;; [unrolled: 1-line block ×3, first 2 shown]
	s_waitcnt lgkmcnt(2)
	v_add_f32_e32 v16, v16, v18
	s_waitcnt lgkmcnt(1)
	v_add_f32_e32 v19, v19, v22
	;; [unrolled: 2-line block ×3, first 2 shown]
	ds_bpermute_b32 v18, v13, v16
	ds_bpermute_b32 v20, v13, v19
	;; [unrolled: 1-line block ×3, first 2 shown]
	v_add_f32_e32 v13, v17, v23
	s_waitcnt lgkmcnt(2)
	v_add_f32_e32 v16, v16, v18
	s_waitcnt lgkmcnt(1)
	;; [unrolled: 2-line block ×3, first 2 shown]
	v_add_f32_e32 v0, v0, v12
	ds_bpermute_b32 v18, v21, v16
	ds_bpermute_b32 v20, v21, v19
	;; [unrolled: 1-line block ×3, first 2 shown]
	v_add_f32_e32 v12, v14, v15
	s_waitcnt lgkmcnt(2)
	v_add_f32_e32 v14, v16, v18
	s_waitcnt lgkmcnt(1)
	v_add_f32_e32 v15, v19, v20
	s_waitcnt lgkmcnt(0)
	v_add_f32_e32 v16, v0, v21
	s_cbranch_vccz .LBB17_14
; %bb.12:
	s_ashr_i32 s29, s28, 31
	s_lshl_b64 s[0:1], s[28:29], 2
	s_add_u32 s0, s16, s0
	s_addc_u32 s1, s17, s1
	v_mov_b32_e32 v0, 0
	global_load_dwordx4 v[21:24], v0, s[0:1]
	v_max_f32_e32 v0, v1, v1
	v_max_f32_e32 v17, v2, v2
	s_mov_b32 s6, 0x3fb8aa3b
	v_max_f32_e32 v18, v3, v3
	s_mov_b32 s1, 0xc2ce8ed0
	s_mov_b32 s0, 0x42b17218
	v_mov_b32_e32 v33, 0x7f800000
	s_waitcnt vmcnt(0)
	v_max_f32_e32 v29, v21, v21
	v_max_f32_e32 v25, v0, v29
	;; [unrolled: 1-line block ×3, first 2 shown]
	v_sub_f32_e32 v0, v1, v25
	v_max_f32_e32 v26, v17, v30
	v_sub_f32_e32 v1, v21, v25
	v_mul_f32_e32 v17, 0x3fb8aa3b, v0
	v_max_f32_e32 v31, v23, v23
	v_sub_f32_e32 v2, v2, v26
	v_mul_f32_e32 v20, 0x3fb8aa3b, v1
	v_fma_f32 v36, v0, s6, -v17
	v_rndne_f32_e32 v37, v17
	v_max_f32_e32 v27, v18, v31
	v_sub_f32_e32 v18, v22, v26
	v_mul_f32_e32 v28, 0x3fb8aa3b, v2
	v_fma_f32 v38, v1, s6, -v20
	v_rndne_f32_e32 v39, v20
	v_fmac_f32_e32 v36, 0x32a5705f, v0
	v_sub_f32_e32 v17, v17, v37
	v_mul_f32_e32 v32, 0x3fb8aa3b, v18
	v_fma_f32 v40, v2, s6, -v28
	v_rndne_f32_e32 v41, v28
	v_fmac_f32_e32 v38, 0x32a5705f, v1
	v_sub_f32_e32 v20, v20, v39
	v_add_f32_e32 v17, v17, v36
	v_fma_f32 v42, v18, s6, -v32
	v_rndne_f32_e32 v43, v32
	v_cvt_i32_f32_e32 v37, v37
	v_fmac_f32_e32 v40, 0x32a5705f, v2
	v_sub_f32_e32 v28, v28, v41
	v_add_f32_e32 v20, v20, v38
	v_exp_f32_e32 v17, v17
	v_cvt_i32_f32_e32 v39, v39
	v_fmac_f32_e32 v42, 0x32a5705f, v18
	v_sub_f32_e32 v32, v32, v43
	v_add_f32_e32 v28, v28, v40
	v_exp_f32_e32 v20, v20
	v_cvt_i32_f32_e32 v41, v41
	v_add_f32_e32 v32, v32, v42
	v_exp_f32_e32 v28, v28
	v_cvt_i32_f32_e32 v43, v43
	v_exp_f32_e32 v32, v32
	v_ldexp_f32 v17, v17, v37
	v_cmp_ngt_f32_e32 vcc, s1, v0
	v_ldexp_f32 v20, v20, v39
	v_cndmask_b32_e32 v17, 0, v17, vcc
	v_cmp_ngt_f32_e32 vcc, s1, v1
	v_sub_f32_e32 v3, v3, v27
	v_ldexp_f32 v28, v28, v41
	v_cndmask_b32_e32 v20, 0, v20, vcc
	v_cmp_ngt_f32_e32 vcc, s1, v2
	v_mul_f32_e32 v34, 0x3fb8aa3b, v3
	v_ldexp_f32 v32, v32, v43
	v_cndmask_b32_e32 v28, 0, v28, vcc
	v_cmp_ngt_f32_e32 vcc, s1, v18
	v_sub_f32_e32 v19, v23, v27
	v_fma_f32 v44, v3, s6, -v34
	v_rndne_f32_e32 v45, v34
	v_cndmask_b32_e32 v32, 0, v32, vcc
	v_cmp_nlt_f32_e32 vcc, s0, v0
	v_mul_f32_e32 v35, 0x3fb8aa3b, v19
	v_fmac_f32_e32 v44, 0x32a5705f, v3
	v_sub_f32_e32 v34, v34, v45
	v_cndmask_b32_e32 v0, v33, v17, vcc
	v_cmp_nlt_f32_e32 vcc, s0, v1
	v_fma_f32 v46, v19, s6, -v35
	v_rndne_f32_e32 v47, v35
	v_add_f32_e32 v34, v34, v44
	v_cndmask_b32_e32 v17, v33, v20, vcc
	v_cmp_nlt_f32_e32 vcc, s0, v2
	v_cvt_i32_f32_e32 v45, v45
	v_fmac_f32_e32 v46, 0x32a5705f, v19
	v_sub_f32_e32 v35, v35, v47
	v_exp_f32_e32 v34, v34
	v_cndmask_b32_e32 v1, v33, v28, vcc
	v_cvt_f16_f32_e32 v2, v0
	v_add_f32_e32 v35, v35, v46
	v_cvt_f16_f32_e32 v20, v1
	v_cvt_i32_f32_e32 v47, v47
	v_exp_f32_e32 v35, v35
	v_cmp_nlt_f32_e32 vcc, s0, v18
	v_ldexp_f32 v34, v34, v45
	v_cndmask_b32_e32 v18, v33, v32, vcc
	v_fmac_f32_e32 v17, v9, v0
	v_mul_u32_u24_e32 v0, 0x10001, v2
	v_cmp_ngt_f32_e32 vcc, s1, v3
	v_fmac_f32_e32 v18, v10, v1
	v_mul_u32_u24_e32 v1, 0x10001, v20
	v_pk_mul_f16 v92, v92, v0
	v_pk_mul_f16 v93, v93, v0
	v_cndmask_b32_e32 v0, 0, v34, vcc
	v_cmp_nlt_f32_e32 vcc, s0, v3
	v_pk_mul_f16 v90, v90, v1
	v_pk_mul_f16 v91, v91, v1
	v_cndmask_b32_e32 v0, v33, v0, vcc
	v_ldexp_f32 v1, v35, v47
	v_cmp_ngt_f32_e32 vcc, s1, v19
	v_cndmask_b32_e32 v1, 0, v1, vcc
	v_cmp_nlt_f32_e32 vcc, s0, v19
	v_cndmask_b32_e32 v19, v33, v1, vcc
	v_max_f32_e32 v1, v24, v24
	v_max_f32_e32 v2, v4, v4
	;; [unrolled: 1-line block ×3, first 2 shown]
	v_sub_f32_e32 v2, v4, v28
	v_mul_f32_e32 v3, 0x3fb8aa3b, v2
	v_fma_f32 v4, v2, s6, -v3
	v_rndne_f32_e32 v9, v3
	v_fmac_f32_e32 v4, 0x32a5705f, v2
	v_sub_f32_e32 v3, v3, v9
	v_fmac_f32_e32 v19, v11, v0
	v_cvt_f16_f32_e32 v0, v0
	v_add_f32_e32 v3, v3, v4
	v_exp_f32_e32 v3, v3
	v_cvt_i32_f32_e32 v4, v9
	v_mul_u32_u24_e32 v0, 0x10001, v0
	v_pk_mul_f16 v88, v88, v0
	v_pk_mul_f16 v89, v89, v0
	v_ldexp_f32 v0, v3, v4
	v_sub_f32_e32 v3, v24, v28
	v_mul_f32_e32 v4, 0x3fb8aa3b, v3
	v_fma_f32 v9, v3, s6, -v4
	v_rndne_f32_e32 v10, v4
	v_fmac_f32_e32 v9, 0x32a5705f, v3
	v_sub_f32_e32 v4, v4, v10
	v_add_f32_e32 v4, v4, v9
	v_exp_f32_e32 v4, v4
	v_cvt_i32_f32_e32 v9, v10
	v_cmp_ngt_f32_e32 vcc, s1, v2
	v_cndmask_b32_e32 v0, 0, v0, vcc
	v_cmp_nlt_f32_e32 vcc, s0, v2
	v_cndmask_b32_e32 v0, v33, v0, vcc
	v_ldexp_f32 v2, v4, v9
	v_cmp_ngt_f32_e32 vcc, s1, v3
	v_cndmask_b32_e32 v2, 0, v2, vcc
	v_cmp_nlt_f32_e32 vcc, s0, v3
	v_cndmask_b32_e32 v20, v33, v2, vcc
	v_max_f32_e32 v2, v5, v5
	v_max_f32_e32 v29, v2, v29
	v_sub_f32_e32 v2, v5, v29
	v_mul_f32_e32 v3, 0x3fb8aa3b, v2
	v_fma_f32 v4, v2, s6, -v3
	v_rndne_f32_e32 v5, v3
	v_fmac_f32_e32 v4, 0x32a5705f, v2
	v_sub_f32_e32 v3, v3, v5
	v_fmac_f32_e32 v20, v12, v0
	v_cvt_f16_f32_e32 v0, v0
	v_add_f32_e32 v3, v3, v4
	v_exp_f32_e32 v3, v3
	v_cvt_i32_f32_e32 v4, v5
	v_mul_u32_u24_e32 v0, 0x10001, v0
	v_pk_mul_f16 v86, v86, v0
	v_pk_mul_f16 v87, v87, v0
	v_ldexp_f32 v0, v3, v4
	v_sub_f32_e32 v3, v21, v29
	v_mul_f32_e32 v4, 0x3fb8aa3b, v3
	v_fma_f32 v5, v3, s6, -v4
	v_rndne_f32_e32 v9, v4
	v_fmac_f32_e32 v5, 0x32a5705f, v3
	v_sub_f32_e32 v4, v4, v9
	v_add_f32_e32 v4, v4, v5
	v_exp_f32_e32 v4, v4
	v_cvt_i32_f32_e32 v5, v9
	v_cmp_ngt_f32_e32 vcc, s1, v2
	v_cndmask_b32_e32 v0, 0, v0, vcc
	v_cmp_nlt_f32_e32 vcc, s0, v2
	v_cndmask_b32_e32 v0, v33, v0, vcc
	v_ldexp_f32 v2, v4, v5
	v_cmp_ngt_f32_e32 vcc, s1, v3
	v_cndmask_b32_e32 v2, 0, v2, vcc
	v_cmp_nlt_f32_e32 vcc, s0, v3
	v_cndmask_b32_e32 v21, v33, v2, vcc
	v_max_f32_e32 v2, v6, v6
	v_max_f32_e32 v30, v2, v30
	;; [unrolled: 35-line block ×4, first 2 shown]
	v_sub_f32_e32 v1, v8, v32
	v_mul_f32_e32 v2, 0x3fb8aa3b, v1
	v_fma_f32 v3, v1, s6, -v2
	v_rndne_f32_e32 v4, v2
	v_fmac_f32_e32 v3, 0x32a5705f, v1
	v_sub_f32_e32 v2, v2, v4
	v_fmac_f32_e32 v23, v15, v0
	v_cvt_f16_f32_e32 v0, v0
	v_add_f32_e32 v2, v2, v3
	v_exp_f32_e32 v2, v2
	v_cvt_i32_f32_e32 v3, v4
	v_mul_u32_u24_e32 v0, 0x10001, v0
	v_pk_mul_f16 v67, v67, v0
	v_pk_mul_f16 v125, v125, v0
	v_ldexp_f32 v0, v2, v3
	v_sub_f32_e32 v2, v24, v32
	v_mul_f32_e32 v3, 0x3fb8aa3b, v2
	v_fma_f32 v4, v2, s6, -v3
	v_rndne_f32_e32 v5, v3
	v_fmac_f32_e32 v4, 0x32a5705f, v2
	v_sub_f32_e32 v3, v3, v5
	v_add_f32_e32 v3, v3, v4
	v_exp_f32_e32 v3, v3
	v_cvt_i32_f32_e32 v4, v5
	v_cmp_ngt_f32_e32 vcc, s1, v1
	v_cndmask_b32_e32 v0, 0, v0, vcc
	v_cmp_nlt_f32_e32 vcc, s0, v1
	v_cndmask_b32_e32 v0, v33, v0, vcc
	v_ldexp_f32 v1, v3, v4
	v_cvt_f16_f32_e32 v3, v0
	v_cmp_ngt_f32_e32 vcc, s1, v2
	v_cndmask_b32_e32 v1, 0, v1, vcc
	v_cmp_nlt_f32_e32 vcc, s0, v2
	v_cndmask_b32_e32 v24, v33, v1, vcc
	v_fmac_f32_e32 v24, v16, v0
	v_mul_u32_u24_e32 v0, 0x10001, v3
	v_mov_b32_e32 v1, v25
	v_pk_mul_f16 v126, v126, v0
	v_pk_mul_f16 v74, v74, v0
	v_mov_b32_e32 v2, v26
	v_mov_b32_e32 v3, v27
	;; [unrolled: 1-line block ×15, first 2 shown]
	v_cmp_gt_i32_e32 vcc, s2, v65
	s_and_saveexec_b64 s[0:1], vcc
	s_cbranch_execnz .LBB17_15
.LBB17_13:
	s_endpgm
.LBB17_14:
	v_mov_b32_e32 v24, v16
	v_mov_b32_e32 v23, v15
	;; [unrolled: 1-line block ×8, first 2 shown]
	s_waitcnt vmcnt(0)
	v_cmp_gt_i32_e32 vcc, s2, v65
	s_and_saveexec_b64 s[0:1], vcc
	s_cbranch_execz .LBB17_13
.LBB17_15:
	s_load_dword s6, s[4:5], 0xd4
	v_mov_b32_e32 v26, 1.0
	s_waitcnt lgkmcnt(0)
	s_cmp_lg_u32 s6, 1
	s_cselect_b64 s[4:5], -1, 0
	s_cmp_eq_u32 s6, 1
	s_cselect_b64 s[8:9], -1, 0
	s_and_b64 vcc, exec, s[4:5]
	s_cbranch_vccnz .LBB17_17
; %bb.16:
	v_div_scale_f32 v0, s[0:1], v9, v9, 1.0
	v_div_scale_f32 v25, vcc, 1.0, v9, 1.0
	v_rcp_f32_e32 v26, v0
	v_fma_f32 v27, -v0, v26, 1.0
	v_fmac_f32_e32 v26, v27, v26
	v_mul_f32_e32 v27, v25, v26
	v_fma_f32 v28, -v0, v27, v25
	v_fmac_f32_e32 v27, v28, v26
	v_fma_f32 v0, -v0, v27, v25
	v_div_fmas_f32 v0, v0, v26, v27
	v_div_fixup_f32 v26, v0, v9, 1.0
.LBB17_17:
	s_mul_i32 s10, s33, s2
	s_add_i32 s10, s10, s14
	v_add_u32_e32 v0, s10, v64
	v_mul_lo_u32 v9, v0, s3
	v_cvt_f32_f16_e32 v0, v92
	v_mov_b32_e32 v32, 0
	v_cvt_f32_f16_sdwa v28, v92 dst_sel:DWORD dst_unused:UNUSED_PAD src0_sel:WORD_1
	v_add_u32_e32 v25, s28, v9
	v_mul_lo_u32 v25, s6, v25
	v_cvt_f32_f16_e32 v29, v93
	v_cvt_f32_f16_sdwa v30, v93 dst_sel:DWORD dst_unused:UNUSED_PAD src0_sel:WORD_1
	v_cmp_eq_u32_e32 vcc, 0, v62
	v_add_u32_e32 v25, s7, v25
	v_lshl_add_u32 v31, v25, 7, v63
	v_lshlrev_b64 v[31:32], 2, v[31:32]
	v_mul_f32_e32 v27, v26, v0
	v_mov_b32_e32 v0, s21
	v_add_co_u32_e64 v31, s[0:1], s20, v31
	v_mul_f32_e32 v28, v26, v28
	v_mul_f32_e32 v29, v26, v29
	;; [unrolled: 1-line block ×3, first 2 shown]
	v_addc_co_u32_e64 v32, s[0:1], v0, v32, s[0:1]
	s_and_b64 s[4:5], vcc, s[4:5]
	global_store_dwordx4 v[31:32], v[27:30], off
	s_and_saveexec_b64 s[0:1], s[4:5]
	s_cbranch_execz .LBB17_19
; %bb.18:
	v_ashrrev_i32_e32 v26, 31, v25
	v_lshlrev_b64 v[25:26], 3, v[25:26]
	v_mov_b32_e32 v0, s23
	v_add_co_u32_e32 v25, vcc, s22, v25
	v_addc_co_u32_e32 v26, vcc, v0, v26, vcc
	v_mov_b32_e32 v0, v1
	v_mov_b32_e32 v1, v17
	global_store_dwordx2 v[25:26], v[0:1], off
.LBB17_19:
	s_or_b64 exec, exec, s[0:1]
	v_cndmask_b32_e64 v0, 0, 1, s[8:9]
	v_cmp_ne_u32_e64 s[0:1], 1, v0
	s_andn2_b64 vcc, exec, s[8:9]
	v_mov_b32_e32 v1, 1.0
	s_cbranch_vccnz .LBB17_21
; %bb.20:
	v_div_scale_f32 v0, s[8:9], v10, v10, 1.0
	v_div_scale_f32 v1, vcc, 1.0, v10, 1.0
	v_rcp_f32_e32 v17, v0
	v_fma_f32 v25, -v0, v17, 1.0
	v_fmac_f32_e32 v17, v25, v17
	v_mul_f32_e32 v25, v1, v17
	v_fma_f32 v26, -v0, v25, v1
	v_fmac_f32_e32 v25, v26, v17
	v_fma_f32 v0, -v0, v25, v1
	v_div_fmas_f32 v0, v0, v17, v25
	v_div_fixup_f32 v1, v0, v10, 1.0
.LBB17_21:
	s_add_i32 s13, s28, 1
	v_add_u32_e32 v0, s13, v9
	v_mul_lo_u32 v0, s6, v0
	v_cvt_f32_f16_e32 v10, v90
	v_cvt_f32_f16_sdwa v17, v90 dst_sel:DWORD dst_unused:UNUSED_PAD src0_sel:WORD_1
	v_cvt_f32_f16_e32 v27, v91
	v_add_u32_e32 v0, s7, v0
	v_cvt_f32_f16_sdwa v28, v91 dst_sel:DWORD dst_unused:UNUSED_PAD src0_sel:WORD_1
	v_mov_b32_e32 v30, 0
	v_lshl_add_u32 v29, v0, 7, v63
	v_lshlrev_b64 v[29:30], 2, v[29:30]
	v_mul_f32_e32 v25, v1, v10
	v_mul_f32_e32 v26, v1, v17
	;; [unrolled: 1-line block ×4, first 2 shown]
	v_mov_b32_e32 v1, s21
	v_add_co_u32_e32 v29, vcc, s20, v29
	v_addc_co_u32_e32 v30, vcc, v1, v30, vcc
	global_store_dwordx4 v[29:30], v[25:28], off
	s_and_saveexec_b64 s[8:9], s[4:5]
	s_cbranch_execz .LBB17_23
; %bb.22:
	v_ashrrev_i32_e32 v1, 31, v0
	v_lshlrev_b64 v[0:1], 3, v[0:1]
	v_mov_b32_e32 v10, s23
	v_add_co_u32_e32 v0, vcc, s22, v0
	v_addc_co_u32_e32 v1, vcc, v10, v1, vcc
	v_mov_b32_e32 v17, v2
	global_store_dwordx2 v[0:1], v[17:18], off
.LBB17_23:
	s_or_b64 exec, exec, s[8:9]
	s_and_b64 vcc, exec, s[0:1]
	v_mov_b32_e32 v1, 1.0
	s_cbranch_vccnz .LBB17_25
; %bb.24:
	v_div_scale_f32 v0, s[8:9], v11, v11, 1.0
	v_div_scale_f32 v1, vcc, 1.0, v11, 1.0
	v_rcp_f32_e32 v2, v0
	v_fma_f32 v10, -v0, v2, 1.0
	v_fmac_f32_e32 v2, v10, v2
	v_mul_f32_e32 v10, v1, v2
	v_fma_f32 v17, -v0, v10, v1
	v_fmac_f32_e32 v10, v17, v2
	v_fma_f32 v0, -v0, v10, v1
	v_div_fmas_f32 v0, v0, v2, v10
	v_div_fixup_f32 v1, v0, v11, 1.0
.LBB17_25:
	s_add_i32 s12, s28, 2
	v_add_u32_e32 v0, s12, v9
	v_mul_lo_u32 v0, s6, v0
	v_cvt_f32_f16_e32 v2, v88
	v_cvt_f32_f16_sdwa v17, v88 dst_sel:DWORD dst_unused:UNUSED_PAD src0_sel:WORD_1
	v_cvt_f32_f16_e32 v18, v89
	v_cvt_f32_f16_sdwa v28, v89 dst_sel:DWORD dst_unused:UNUSED_PAD src0_sel:WORD_1
	v_add_u32_e32 v0, s7, v0
	v_mov_b32_e32 v11, 0
	v_lshl_add_u32 v10, v0, 7, v63
	v_mul_f32_e32 v25, v1, v2
	v_mul_f32_e32 v26, v1, v17
	;; [unrolled: 1-line block ×4, first 2 shown]
	v_lshlrev_b64 v[1:2], 2, v[10:11]
	v_mov_b32_e32 v10, s21
	v_add_co_u32_e32 v1, vcc, s20, v1
	v_addc_co_u32_e32 v2, vcc, v10, v2, vcc
	global_store_dwordx4 v[1:2], v[25:28], off
	s_and_saveexec_b64 s[8:9], s[4:5]
	s_cbranch_execz .LBB17_27
; %bb.26:
	v_ashrrev_i32_e32 v1, 31, v0
	v_lshlrev_b64 v[0:1], 3, v[0:1]
	v_mov_b32_e32 v2, s23
	v_add_co_u32_e32 v0, vcc, s22, v0
	v_addc_co_u32_e32 v1, vcc, v2, v1, vcc
	v_mov_b32_e32 v18, v3
	global_store_dwordx2 v[0:1], v[18:19], off
.LBB17_27:
	s_or_b64 exec, exec, s[8:9]
	s_and_b64 vcc, exec, s[0:1]
	v_mov_b32_e32 v1, 1.0
	s_cbranch_vccnz .LBB17_29
; %bb.28:
	v_div_scale_f32 v0, s[8:9], v12, v12, 1.0
	v_div_scale_f32 v1, vcc, 1.0, v12, 1.0
	v_rcp_f32_e32 v2, v0
	v_fma_f32 v3, -v0, v2, 1.0
	v_fmac_f32_e32 v2, v3, v2
	v_mul_f32_e32 v3, v1, v2
	v_fma_f32 v10, -v0, v3, v1
	v_fmac_f32_e32 v3, v10, v2
	v_fma_f32 v0, -v0, v3, v1
	v_div_fmas_f32 v0, v0, v2, v3
	v_div_fixup_f32 v1, v0, v12, 1.0
.LBB17_29:
	s_add_i32 s11, s28, 3
	v_add_u32_e32 v0, s11, v9
	v_mul_lo_u32 v0, s6, v0
	v_cvt_f32_f16_e32 v9, v86
	v_cvt_f32_f16_sdwa v10, v86 dst_sel:DWORD dst_unused:UNUSED_PAD src0_sel:WORD_1
	v_cvt_f32_f16_e32 v11, v87
	v_cvt_f32_f16_sdwa v12, v87 dst_sel:DWORD dst_unused:UNUSED_PAD src0_sel:WORD_1
	v_add_u32_e32 v0, s7, v0
	v_mov_b32_e32 v3, 0
	v_lshl_add_u32 v2, v0, 7, v63
	v_mul_f32_e32 v9, v1, v9
	v_mul_f32_e32 v10, v1, v10
	;; [unrolled: 1-line block ×4, first 2 shown]
	v_lshlrev_b64 v[1:2], 2, v[2:3]
	v_mov_b32_e32 v3, s21
	v_add_co_u32_e32 v1, vcc, s20, v1
	v_addc_co_u32_e32 v2, vcc, v3, v2, vcc
	global_store_dwordx4 v[1:2], v[9:12], off
	s_and_saveexec_b64 s[8:9], s[4:5]
	s_cbranch_execz .LBB17_31
; %bb.30:
	v_ashrrev_i32_e32 v1, 31, v0
	v_lshlrev_b64 v[0:1], 3, v[0:1]
	v_mov_b32_e32 v2, s23
	v_add_co_u32_e32 v0, vcc, s22, v0
	v_addc_co_u32_e32 v1, vcc, v2, v1, vcc
	v_mov_b32_e32 v19, v4
	global_store_dwordx2 v[0:1], v[19:20], off
.LBB17_31:
	s_or_b64 exec, exec, s[8:9]
	v_cmp_gt_i32_e32 vcc, s2, v61
	s_and_b64 exec, exec, vcc
	s_cbranch_execz .LBB17_13
; %bb.32:
	s_and_b64 vcc, exec, s[0:1]
	v_mov_b32_e32 v1, 1.0
	s_cbranch_vccnz .LBB17_34
; %bb.33:
	v_div_scale_f32 v0, s[8:9], v13, v13, 1.0
	v_div_scale_f32 v1, vcc, 1.0, v13, 1.0
	v_rcp_f32_e32 v2, v0
	v_fma_f32 v3, -v0, v2, 1.0
	v_fmac_f32_e32 v2, v3, v2
	v_mul_f32_e32 v3, v1, v2
	v_fma_f32 v4, -v0, v3, v1
	v_fmac_f32_e32 v3, v4, v2
	v_fma_f32 v0, -v0, v3, v1
	v_div_fmas_f32 v0, v0, v2, v3
	v_div_fixup_f32 v1, v0, v13, 1.0
.LBB17_34:
	v_add_u32_e32 v0, s10, v60
	v_mul_lo_u32 v0, v0, s3
	v_cvt_f32_f16_e32 v2, v84
	v_cvt_f32_f16_sdwa v4, v84 dst_sel:DWORD dst_unused:UNUSED_PAD src0_sel:WORD_1
	v_cvt_f32_f16_e32 v11, v85
	v_add_u32_e32 v0, s28, v0
	v_mul_lo_u32 v0, s6, v0
	v_cvt_f32_f16_sdwa v12, v85 dst_sel:DWORD dst_unused:UNUSED_PAD src0_sel:WORD_1
	v_mov_b32_e32 v3, 0
	v_mul_f32_e32 v9, v1, v2
	v_add_u32_e32 v0, s7, v0
	v_lshl_add_u32 v2, v0, 7, v63
	v_mul_f32_e32 v10, v1, v4
	v_mul_f32_e32 v11, v1, v11
	;; [unrolled: 1-line block ×3, first 2 shown]
	v_lshlrev_b64 v[1:2], 2, v[2:3]
	v_mov_b32_e32 v3, s21
	v_add_co_u32_e32 v1, vcc, s20, v1
	v_addc_co_u32_e32 v2, vcc, v3, v2, vcc
	global_store_dwordx4 v[1:2], v[9:12], off
	s_and_saveexec_b64 s[8:9], s[4:5]
	s_cbranch_execz .LBB17_36
; %bb.35:
	v_ashrrev_i32_e32 v1, 31, v0
	v_lshlrev_b64 v[0:1], 3, v[0:1]
	v_mov_b32_e32 v2, s23
	v_add_co_u32_e32 v0, vcc, s22, v0
	v_addc_co_u32_e32 v1, vcc, v2, v1, vcc
	v_mov_b32_e32 v20, v5
	global_store_dwordx2 v[0:1], v[20:21], off
.LBB17_36:
	s_or_b64 exec, exec, s[8:9]
	v_cmp_gt_i32_e32 vcc, s2, v58
	s_and_b64 exec, exec, vcc
	s_cbranch_execz .LBB17_13
; %bb.37:
	s_and_b64 vcc, exec, s[0:1]
	v_mov_b32_e32 v1, 1.0
	s_cbranch_vccnz .LBB17_39
; %bb.38:
	v_div_scale_f32 v0, s[8:9], v14, v14, 1.0
	v_div_scale_f32 v1, vcc, 1.0, v14, 1.0
	v_rcp_f32_e32 v2, v0
	v_fma_f32 v3, -v0, v2, 1.0
	v_fmac_f32_e32 v2, v3, v2
	v_mul_f32_e32 v3, v1, v2
	v_fma_f32 v4, -v0, v3, v1
	v_fmac_f32_e32 v3, v4, v2
	v_fma_f32 v0, -v0, v3, v1
	v_div_fmas_f32 v0, v0, v2, v3
	v_div_fixup_f32 v1, v0, v14, 1.0
.LBB17_39:
	v_add_u32_e32 v0, s10, v50
	v_mul_lo_u32 v0, v0, s3
	v_cvt_f32_f16_e32 v2, v127
	v_cvt_f32_f16_sdwa v3, v127 dst_sel:DWORD dst_unused:UNUSED_PAD src0_sel:WORD_1
	v_cvt_f32_f16_e32 v4, v51
	v_add_u32_e32 v0, s13, v0
	v_mul_lo_u32 v0, s6, v0
	v_cvt_f32_f16_sdwa v5, v51 dst_sel:DWORD dst_unused:UNUSED_PAD src0_sel:WORD_1
	v_mov_b32_e32 v10, 0
	v_mul_f32_e32 v2, v1, v2
	v_add_u32_e32 v0, s7, v0
	v_lshl_add_u32 v9, v0, 7, v63
	v_lshlrev_b64 v[9:10], 2, v[9:10]
	v_mul_f32_e32 v3, v1, v3
	v_mul_f32_e32 v4, v1, v4
	v_mul_f32_e32 v5, v1, v5
	v_mov_b32_e32 v1, s21
	v_add_co_u32_e32 v9, vcc, s20, v9
	v_addc_co_u32_e32 v10, vcc, v1, v10, vcc
	global_store_dwordx4 v[9:10], v[2:5], off
	s_and_saveexec_b64 s[8:9], s[4:5]
	s_cbranch_execz .LBB17_41
; %bb.40:
	v_ashrrev_i32_e32 v1, 31, v0
	v_lshlrev_b64 v[0:1], 3, v[0:1]
	v_mov_b32_e32 v2, s23
	v_add_co_u32_e32 v0, vcc, s22, v0
	v_addc_co_u32_e32 v1, vcc, v2, v1, vcc
	v_mov_b32_e32 v21, v6
	global_store_dwordx2 v[0:1], v[21:22], off
.LBB17_41:
	s_or_b64 exec, exec, s[8:9]
	v_cmp_gt_i32_e32 vcc, s2, v59
	s_and_b64 exec, exec, vcc
	s_cbranch_execz .LBB17_13
; %bb.42:
	s_and_b64 vcc, exec, s[0:1]
	v_mov_b32_e32 v1, 1.0
	s_cbranch_vccnz .LBB17_44
; %bb.43:
	v_div_scale_f32 v0, s[8:9], v15, v15, 1.0
	v_div_scale_f32 v1, vcc, 1.0, v15, 1.0
	v_rcp_f32_e32 v2, v0
	v_fma_f32 v3, -v0, v2, 1.0
	v_fmac_f32_e32 v2, v3, v2
	v_mul_f32_e32 v3, v1, v2
	v_fma_f32 v4, -v0, v3, v1
	v_fmac_f32_e32 v3, v4, v2
	v_fma_f32 v0, -v0, v3, v1
	v_div_fmas_f32 v0, v0, v2, v3
	v_div_fixup_f32 v1, v0, v15, 1.0
.LBB17_44:
	v_add_u32_e32 v0, s10, v53
	v_mul_lo_u32 v0, v0, s3
	v_cvt_f32_f16_e32 v2, v67
	v_cvt_f32_f16_sdwa v3, v67 dst_sel:DWORD dst_unused:UNUSED_PAD src0_sel:WORD_1
	v_cvt_f32_f16_e32 v4, v125
	v_add_u32_e32 v0, s12, v0
	v_mul_lo_u32 v0, s6, v0
	v_cvt_f32_f16_sdwa v5, v125 dst_sel:DWORD dst_unused:UNUSED_PAD src0_sel:WORD_1
	v_mov_b32_e32 v10, 0
	v_mul_f32_e32 v2, v1, v2
	v_add_u32_e32 v0, s7, v0
	v_lshl_add_u32 v9, v0, 7, v63
	v_lshlrev_b64 v[9:10], 2, v[9:10]
	v_mul_f32_e32 v3, v1, v3
	v_mul_f32_e32 v4, v1, v4
	v_mul_f32_e32 v5, v1, v5
	;; [unrolled: 52-line block ×3, first 2 shown]
	v_mov_b32_e32 v1, s21
	v_add_co_u32_e32 v6, vcc, s20, v6
	v_addc_co_u32_e32 v7, vcc, v1, v7, vcc
	global_store_dwordx4 v[6:7], v[2:5], off
	s_and_b64 exec, exec, s[4:5]
	s_cbranch_execz .LBB17_13
; %bb.50:
	v_ashrrev_i32_e32 v1, 31, v0
	v_lshlrev_b64 v[0:1], 3, v[0:1]
	v_mov_b32_e32 v2, s23
	v_add_co_u32_e32 v0, vcc, s22, v0
	v_addc_co_u32_e32 v1, vcc, v2, v1, vcc
	v_mov_b32_e32 v23, v8
	global_store_dwordx2 v[0:1], v[23:24], off
	s_endpgm
	.section	.rodata,"a",@progbits
	.p2align	6, 0x0
	.amdhsa_kernel _ZL15flash_attn_tileILi128ELi128ELi16ELi4ELb0EEvPKcS1_S1_S1_S1_PKiPfP15HIP_vector_typeIfLj2EEffffjfiS5_IjLj3EEiiiiiiiiiiiliiliiiiil
		.amdhsa_group_segment_fixed_size 29696
		.amdhsa_private_segment_fixed_size 68
		.amdhsa_kernarg_size 464
		.amdhsa_user_sgpr_count 6
		.amdhsa_user_sgpr_private_segment_buffer 1
		.amdhsa_user_sgpr_dispatch_ptr 0
		.amdhsa_user_sgpr_queue_ptr 0
		.amdhsa_user_sgpr_kernarg_segment_ptr 1
		.amdhsa_user_sgpr_dispatch_id 0
		.amdhsa_user_sgpr_flat_scratch_init 0
		.amdhsa_user_sgpr_private_segment_size 0
		.amdhsa_uses_dynamic_stack 0
		.amdhsa_system_sgpr_private_segment_wavefront_offset 1
		.amdhsa_system_sgpr_workgroup_id_x 1
		.amdhsa_system_sgpr_workgroup_id_y 1
		.amdhsa_system_sgpr_workgroup_id_z 1
		.amdhsa_system_sgpr_workgroup_info 0
		.amdhsa_system_vgpr_workitem_id 1
		.amdhsa_next_free_vgpr 128
		.amdhsa_next_free_sgpr 98
		.amdhsa_reserve_vcc 1
		.amdhsa_reserve_flat_scratch 0
		.amdhsa_float_round_mode_32 0
		.amdhsa_float_round_mode_16_64 0
		.amdhsa_float_denorm_mode_32 3
		.amdhsa_float_denorm_mode_16_64 3
		.amdhsa_dx10_clamp 1
		.amdhsa_ieee_mode 1
		.amdhsa_fp16_overflow 0
		.amdhsa_exception_fp_ieee_invalid_op 0
		.amdhsa_exception_fp_denorm_src 0
		.amdhsa_exception_fp_ieee_div_zero 0
		.amdhsa_exception_fp_ieee_overflow 0
		.amdhsa_exception_fp_ieee_underflow 0
		.amdhsa_exception_fp_ieee_inexact 0
		.amdhsa_exception_int_div_zero 0
	.end_amdhsa_kernel
	.section	.text._ZL15flash_attn_tileILi128ELi128ELi16ELi4ELb0EEvPKcS1_S1_S1_S1_PKiPfP15HIP_vector_typeIfLj2EEffffjfiS5_IjLj3EEiiiiiiiiiiiliiliiiiil,"axG",@progbits,_ZL15flash_attn_tileILi128ELi128ELi16ELi4ELb0EEvPKcS1_S1_S1_S1_PKiPfP15HIP_vector_typeIfLj2EEffffjfiS5_IjLj3EEiiiiiiiiiiiliiliiiiil,comdat
.Lfunc_end17:
	.size	_ZL15flash_attn_tileILi128ELi128ELi16ELi4ELb0EEvPKcS1_S1_S1_S1_PKiPfP15HIP_vector_typeIfLj2EEffffjfiS5_IjLj3EEiiiiiiiiiiiliiliiiiil, .Lfunc_end17-_ZL15flash_attn_tileILi128ELi128ELi16ELi4ELb0EEvPKcS1_S1_S1_S1_PKiPfP15HIP_vector_typeIfLj2EEffffjfiS5_IjLj3EEiiiiiiiiiiiliiliiiiil
                                        ; -- End function
	.set _ZL15flash_attn_tileILi128ELi128ELi16ELi4ELb0EEvPKcS1_S1_S1_S1_PKiPfP15HIP_vector_typeIfLj2EEffffjfiS5_IjLj3EEiiiiiiiiiiiliiliiiiil.num_vgpr, 128
	.set _ZL15flash_attn_tileILi128ELi128ELi16ELi4ELb0EEvPKcS1_S1_S1_S1_PKiPfP15HIP_vector_typeIfLj2EEffffjfiS5_IjLj3EEiiiiiiiiiiiliiliiiiil.num_agpr, 0
	.set _ZL15flash_attn_tileILi128ELi128ELi16ELi4ELb0EEvPKcS1_S1_S1_S1_PKiPfP15HIP_vector_typeIfLj2EEffffjfiS5_IjLj3EEiiiiiiiiiiiliiliiiiil.numbered_sgpr, 52
	.set _ZL15flash_attn_tileILi128ELi128ELi16ELi4ELb0EEvPKcS1_S1_S1_S1_PKiPfP15HIP_vector_typeIfLj2EEffffjfiS5_IjLj3EEiiiiiiiiiiiliiliiiiil.num_named_barrier, 0
	.set _ZL15flash_attn_tileILi128ELi128ELi16ELi4ELb0EEvPKcS1_S1_S1_S1_PKiPfP15HIP_vector_typeIfLj2EEffffjfiS5_IjLj3EEiiiiiiiiiiiliiliiiiil.private_seg_size, 68
	.set _ZL15flash_attn_tileILi128ELi128ELi16ELi4ELb0EEvPKcS1_S1_S1_S1_PKiPfP15HIP_vector_typeIfLj2EEffffjfiS5_IjLj3EEiiiiiiiiiiiliiliiiiil.uses_vcc, 1
	.set _ZL15flash_attn_tileILi128ELi128ELi16ELi4ELb0EEvPKcS1_S1_S1_S1_PKiPfP15HIP_vector_typeIfLj2EEffffjfiS5_IjLj3EEiiiiiiiiiiiliiliiiiil.uses_flat_scratch, 0
	.set _ZL15flash_attn_tileILi128ELi128ELi16ELi4ELb0EEvPKcS1_S1_S1_S1_PKiPfP15HIP_vector_typeIfLj2EEffffjfiS5_IjLj3EEiiiiiiiiiiiliiliiiiil.has_dyn_sized_stack, 0
	.set _ZL15flash_attn_tileILi128ELi128ELi16ELi4ELb0EEvPKcS1_S1_S1_S1_PKiPfP15HIP_vector_typeIfLj2EEffffjfiS5_IjLj3EEiiiiiiiiiiiliiliiiiil.has_recursion, 0
	.set _ZL15flash_attn_tileILi128ELi128ELi16ELi4ELb0EEvPKcS1_S1_S1_S1_PKiPfP15HIP_vector_typeIfLj2EEffffjfiS5_IjLj3EEiiiiiiiiiiiliiliiiiil.has_indirect_call, 0
	.section	.AMDGPU.csdata,"",@progbits
; Kernel info:
; codeLenInByte = 34904
; TotalNumSgprs: 56
; NumVgprs: 128
; ScratchSize: 68
; MemoryBound: 0
; FloatMode: 240
; IeeeMode: 1
; LDSByteSize: 29696 bytes/workgroup (compile time only)
; SGPRBlocks: 12
; VGPRBlocks: 31
; NumSGPRsForWavesPerEU: 102
; NumVGPRsForWavesPerEU: 128
; Occupancy: 2
; WaveLimiterHint : 1
; COMPUTE_PGM_RSRC2:SCRATCH_EN: 1
; COMPUTE_PGM_RSRC2:USER_SGPR: 6
; COMPUTE_PGM_RSRC2:TRAP_HANDLER: 0
; COMPUTE_PGM_RSRC2:TGID_X_EN: 1
; COMPUTE_PGM_RSRC2:TGID_Y_EN: 1
; COMPUTE_PGM_RSRC2:TGID_Z_EN: 1
; COMPUTE_PGM_RSRC2:TIDIG_COMP_CNT: 1
	.section	.text._ZL25flash_attn_mask_to_KV_maxILi16EEvPK7__half2Piiii,"axG",@progbits,_ZL25flash_attn_mask_to_KV_maxILi16EEvPK7__half2Piiii,comdat
	.globl	_ZL25flash_attn_mask_to_KV_maxILi16EEvPK7__half2Piiii ; -- Begin function _ZL25flash_attn_mask_to_KV_maxILi16EEvPK7__half2Piiii
	.p2align	8
	.type	_ZL25flash_attn_mask_to_KV_maxILi16EEvPK7__half2Piiii,@function
_ZL25flash_attn_mask_to_KV_maxILi16EEvPK7__half2Piiii: ; @_ZL25flash_attn_mask_to_KV_maxILi16EEvPK7__half2Piiii
; %bb.0:
	s_load_dwordx4 s[8:11], s[4:5], 0x0
	v_cmp_gt_u32_e32 vcc, 32, v0
	s_and_saveexec_b64 s[0:1], vcc
; %bb.1:
	v_lshlrev_b32_e32 v1, 2, v0
	v_mov_b32_e32 v2, 1
	ds_write_b32 v1, v2
; %bb.2:
	s_or_b64 exec, exec, s[0:1]
	s_load_dwordx4 s[12:15], s[4:5], 0x10
	s_load_dword s33, s[4:5], 0x20
	v_and_b32_e32 v1, 31, v0
	v_lshlrev_b32_e32 v6, 2, v1
	v_lshrrev_b32_e32 v5, 3, v0
	s_waitcnt lgkmcnt(0)
	s_mul_i32 s1, s6, s13
	s_mul_i32 s0, s14, s7
	s_lshl_b32 s1, s1, 4
	s_add_i32 s0, s0, s1
	s_ashr_i32 s1, s0, 31
	s_lshl_b64 s[0:1], s[0:1], 2
	s_add_u32 s72, s8, s0
	s_addc_u32 s73, s9, s1
	v_cmp_eq_u32_e64 s[0:1], 0, v1
	v_mbcnt_lo_u32_b32 v1, -1, 0
	s_lshl_b32 s12, s12, 8
	s_mov_b64 s[4:5], 0
	v_mov_b32_e32 v2, 0
	s_movk_i32 s74, 0x204
	v_mbcnt_hi_u32_b32 v7, -1, v1
	s_barrier
                                        ; implicit-def: $sgpr2_sgpr3
	s_branch .LBB18_5
.LBB18_3:                               ;   in Loop: Header=BB18_5 Depth=1
	s_or_b64 exec, exec, s[8:9]
	s_waitcnt lgkmcnt(0)
	s_barrier
	ds_read_b32 v10, v6
	s_waitcnt lgkmcnt(0)
	s_barrier
	ds_bpermute_b32 v1, v1, v10
	v_cmp_ne_u32_e32 vcc, 0, v10
	s_waitcnt lgkmcnt(0)
	v_cmp_ne_u32_e64 s[2:3], 0, v1
	s_and_b64 s[2:3], vcc, s[2:3]
	v_cndmask_b32_e64 v1, 0, 1, s[2:3]
	ds_bpermute_b32 v1, v3, v1
	s_waitcnt lgkmcnt(0)
	v_cmp_ne_u32_e32 vcc, 0, v1
	s_and_b64 s[2:3], vcc, s[2:3]
	v_cndmask_b32_e64 v1, 0, 1, s[2:3]
	ds_bpermute_b32 v1, v4, v1
	s_waitcnt lgkmcnt(0)
	v_cmp_ne_u32_e32 vcc, 0, v1
	;; [unrolled: 5-line block ×3, first 2 shown]
	s_and_b64 s[2:3], vcc, s[2:3]
	v_cndmask_b32_e64 v1, 0, 1, s[2:3]
	ds_bpermute_b32 v1, v9, v1
	s_xor_b64 s[2:3], s[2:3], -1
	s_waitcnt lgkmcnt(0)
	v_cmp_eq_u32_e32 vcc, 0, v1
	s_or_b64 s[2:3], vcc, s[2:3]
.LBB18_4:                               ;   in Loop: Header=BB18_5 Depth=1
	s_and_b64 s[8:9], exec, s[2:3]
	s_or_b64 s[4:5], s[8:9], s[4:5]
	v_mov_b32_e32 v1, s12
	s_mov_b32 s12, s75
	s_andn2_b64 exec, exec, s[4:5]
	s_cbranch_execz .LBB18_68
.LBB18_5:                               ; =>This Inner Loop Header: Depth=1
	s_add_i32 s75, s12, 0xffffff00
	s_or_b64 s[2:3], s[2:3], exec
	s_cmp_lt_i32 s75, 0
	s_cbranch_scc1 .LBB18_4
; %bb.6:                                ;   in Loop: Header=BB18_5 Depth=1
	s_lshr_b32 s2, s75, 1
	v_add_u32_e32 v1, s2, v0
	v_lshlrev_b64 v[3:4], 2, v[1:2]
	v_mov_b32_e32 v8, s73
	v_add_co_u32_e32 v3, vcc, s72, v3
	v_addc_co_u32_e32 v4, vcc, v8, v4, vcc
	global_load_dword v3, v[3:4], off
	v_mov_b32_e32 v4, 0
	s_waitcnt vmcnt(0)
	v_cmp_class_f16_e64 s[2:3], v3, s74
	v_cmp_class_f16_sdwa s[8:9], v3, s74 src0_sel:WORD_1 src1_sel:DWORD
	s_and_b64 s[8:9], s[2:3], s[8:9]
	s_and_saveexec_b64 s[2:3], s[8:9]
	s_cbranch_execz .LBB18_66
; %bb.7:                                ;   in Loop: Header=BB18_5 Depth=1
	v_add_u32_e32 v3, s13, v1
	v_ashrrev_i32_e32 v4, 31, v3
	v_lshlrev_b64 v[8:9], 2, v[3:4]
	v_mov_b32_e32 v1, s73
	v_add_co_u32_e32 v8, vcc, s72, v8
	v_addc_co_u32_e32 v9, vcc, v1, v9, vcc
	global_load_dword v1, v[8:9], off
	v_mov_b32_e32 v4, 0
	s_waitcnt vmcnt(0)
	v_cmp_class_f16_e64 s[14:15], v1, s74
	s_and_saveexec_b64 s[8:9], s[14:15]
	s_cbranch_execz .LBB18_65
; %bb.8:                                ;   in Loop: Header=BB18_5 Depth=1
	v_cmp_class_f16_sdwa s[16:17], v1, s74 src0_sel:WORD_1 src1_sel:DWORD
	v_mov_b32_e32 v4, 0
	s_and_saveexec_b64 s[14:15], s[16:17]
	s_cbranch_execz .LBB18_64
; %bb.9:                                ;   in Loop: Header=BB18_5 Depth=1
	v_add_u32_e32 v3, s13, v3
	v_ashrrev_i32_e32 v4, 31, v3
	v_lshlrev_b64 v[8:9], 2, v[3:4]
	v_mov_b32_e32 v1, s73
	v_add_co_u32_e32 v8, vcc, s72, v8
	v_addc_co_u32_e32 v9, vcc, v1, v9, vcc
	global_load_dword v1, v[8:9], off
	v_mov_b32_e32 v4, 0
	s_waitcnt vmcnt(0)
	v_cmp_class_f16_e64 s[18:19], v1, s74
	s_and_saveexec_b64 s[16:17], s[18:19]
	s_cbranch_execz .LBB18_63
; %bb.10:                               ;   in Loop: Header=BB18_5 Depth=1
	v_cmp_class_f16_sdwa s[20:21], v1, s74 src0_sel:WORD_1 src1_sel:DWORD
	v_mov_b32_e32 v4, 0
	s_and_saveexec_b64 s[18:19], s[20:21]
	s_cbranch_execz .LBB18_62
; %bb.11:                               ;   in Loop: Header=BB18_5 Depth=1
	v_add_u32_e32 v3, s13, v3
	v_ashrrev_i32_e32 v4, 31, v3
	v_lshlrev_b64 v[8:9], 2, v[3:4]
	v_mov_b32_e32 v1, s73
	v_add_co_u32_e32 v8, vcc, s72, v8
	v_addc_co_u32_e32 v9, vcc, v1, v9, vcc
	global_load_dword v1, v[8:9], off
	v_mov_b32_e32 v4, 0
	s_waitcnt vmcnt(0)
	v_cmp_class_f16_e64 s[22:23], v1, s74
	s_and_saveexec_b64 s[20:21], s[22:23]
	s_cbranch_execz .LBB18_61
; %bb.12:                               ;   in Loop: Header=BB18_5 Depth=1
	v_cmp_class_f16_sdwa s[24:25], v1, s74 src0_sel:WORD_1 src1_sel:DWORD
	v_mov_b32_e32 v4, 0
	s_and_saveexec_b64 s[22:23], s[24:25]
	s_cbranch_execz .LBB18_60
; %bb.13:                               ;   in Loop: Header=BB18_5 Depth=1
	;; [unrolled: 18-line block ×13, first 2 shown]
	v_add_u32_e32 v3, s13, v3
	v_ashrrev_i32_e32 v4, 31, v3
	v_lshlrev_b64 v[3:4], 2, v[3:4]
	v_mov_b32_e32 v1, s73
	v_add_co_u32_e32 v3, vcc, s72, v3
	v_addc_co_u32_e32 v4, vcc, v1, v4, vcc
	global_load_dword v1, v[3:4], off
	v_mov_b32_e32 v4, 0
	s_waitcnt vmcnt(0)
	v_cmp_class_f16_e64 s[76:77], v1, s74
	s_and_saveexec_b64 s[70:71], s[76:77]
; %bb.36:                               ;   in Loop: Header=BB18_5 Depth=1
	v_cmp_class_f16_sdwa s[76:77], v1, s74 src0_sel:WORD_1 src1_sel:DWORD
	v_cndmask_b32_e64 v4, 0, 1, s[76:77]
; %bb.37:                               ;   in Loop: Header=BB18_5 Depth=1
	s_or_b64 exec, exec, s[70:71]
.LBB18_38:                              ;   in Loop: Header=BB18_5 Depth=1
	s_or_b64 exec, exec, s[68:69]
.LBB18_39:                              ;   in Loop: Header=BB18_5 Depth=1
	s_or_b64 exec, exec, s[66:67]
.LBB18_40:                              ;   in Loop: Header=BB18_5 Depth=1
	s_or_b64 exec, exec, s[64:65]
.LBB18_41:                              ;   in Loop: Header=BB18_5 Depth=1
	s_or_b64 exec, exec, s[62:63]
.LBB18_42:                              ;   in Loop: Header=BB18_5 Depth=1
	s_or_b64 exec, exec, s[60:61]
.LBB18_43:                              ;   in Loop: Header=BB18_5 Depth=1
	s_or_b64 exec, exec, s[58:59]
.LBB18_44:                              ;   in Loop: Header=BB18_5 Depth=1
	s_or_b64 exec, exec, s[56:57]
.LBB18_45:                              ;   in Loop: Header=BB18_5 Depth=1
	s_or_b64 exec, exec, s[54:55]
.LBB18_46:                              ;   in Loop: Header=BB18_5 Depth=1
	s_or_b64 exec, exec, s[52:53]
.LBB18_47:                              ;   in Loop: Header=BB18_5 Depth=1
	s_or_b64 exec, exec, s[50:51]
.LBB18_48:                              ;   in Loop: Header=BB18_5 Depth=1
	s_or_b64 exec, exec, s[48:49]
.LBB18_49:                              ;   in Loop: Header=BB18_5 Depth=1
	s_or_b64 exec, exec, s[46:47]
.LBB18_50:                              ;   in Loop: Header=BB18_5 Depth=1
	s_or_b64 exec, exec, s[44:45]
.LBB18_51:                              ;   in Loop: Header=BB18_5 Depth=1
	s_or_b64 exec, exec, s[42:43]
.LBB18_52:                              ;   in Loop: Header=BB18_5 Depth=1
	s_or_b64 exec, exec, s[40:41]
.LBB18_53:                              ;   in Loop: Header=BB18_5 Depth=1
	s_or_b64 exec, exec, s[38:39]
.LBB18_54:                              ;   in Loop: Header=BB18_5 Depth=1
	s_or_b64 exec, exec, s[36:37]
.LBB18_55:                              ;   in Loop: Header=BB18_5 Depth=1
	s_or_b64 exec, exec, s[34:35]
.LBB18_56:                              ;   in Loop: Header=BB18_5 Depth=1
	s_or_b64 exec, exec, s[30:31]
.LBB18_57:                              ;   in Loop: Header=BB18_5 Depth=1
	s_or_b64 exec, exec, s[28:29]
.LBB18_58:                              ;   in Loop: Header=BB18_5 Depth=1
	s_or_b64 exec, exec, s[26:27]
.LBB18_59:                              ;   in Loop: Header=BB18_5 Depth=1
	s_or_b64 exec, exec, s[24:25]
.LBB18_60:                              ;   in Loop: Header=BB18_5 Depth=1
	s_or_b64 exec, exec, s[22:23]
.LBB18_61:                              ;   in Loop: Header=BB18_5 Depth=1
	s_or_b64 exec, exec, s[20:21]
.LBB18_62:                              ;   in Loop: Header=BB18_5 Depth=1
	s_or_b64 exec, exec, s[18:19]
.LBB18_63:                              ;   in Loop: Header=BB18_5 Depth=1
	s_or_b64 exec, exec, s[16:17]
.LBB18_64:                              ;   in Loop: Header=BB18_5 Depth=1
	s_or_b64 exec, exec, s[14:15]
.LBB18_65:                              ;   in Loop: Header=BB18_5 Depth=1
	s_or_b64 exec, exec, s[8:9]
.LBB18_66:                              ;   in Loop: Header=BB18_5 Depth=1
	s_or_b64 exec, exec, s[2:3]
	v_and_b32_e32 v1, 0x60, v7
	v_add_u32_e32 v9, 32, v1
	v_xor_b32_e32 v1, 16, v7
	v_cmp_lt_i32_e32 vcc, v1, v9
	v_cndmask_b32_e32 v1, v7, v1, vcc
	v_lshlrev_b32_e32 v1, 2, v1
	ds_bpermute_b32 v3, v1, v4
	v_cmp_ne_u32_e32 vcc, 0, v4
	v_xor_b32_e32 v11, 1, v7
	s_waitcnt lgkmcnt(0)
	v_cmp_ne_u32_e64 s[2:3], 0, v3
	v_xor_b32_e32 v3, 8, v7
	s_and_b64 s[2:3], vcc, s[2:3]
	v_cmp_lt_i32_e32 vcc, v3, v9
	v_cndmask_b32_e32 v3, v7, v3, vcc
	v_cndmask_b32_e64 v4, 0, 1, s[2:3]
	v_lshlrev_b32_e32 v3, 2, v3
	ds_bpermute_b32 v4, v3, v4
	s_waitcnt lgkmcnt(0)
	v_cmp_ne_u32_e32 vcc, 0, v4
	v_xor_b32_e32 v4, 4, v7
	s_and_b64 s[2:3], vcc, s[2:3]
	v_cmp_lt_i32_e32 vcc, v4, v9
	v_cndmask_b32_e32 v4, v7, v4, vcc
	v_cndmask_b32_e64 v8, 0, 1, s[2:3]
	v_lshlrev_b32_e32 v4, 2, v4
	ds_bpermute_b32 v8, v4, v8
	s_waitcnt lgkmcnt(0)
	v_cmp_ne_u32_e32 vcc, 0, v8
	;; [unrolled: 9-line block ×3, first 2 shown]
	s_and_b64 s[2:3], vcc, s[2:3]
	v_cmp_lt_i32_e32 vcc, v11, v9
	v_cndmask_b32_e32 v9, v7, v11, vcc
	v_cndmask_b32_e64 v10, 0, 1, s[2:3]
	v_lshlrev_b32_e32 v9, 2, v9
	ds_bpermute_b32 v10, v9, v10
	s_and_saveexec_b64 s[8:9], s[0:1]
	s_cbranch_execz .LBB18_3
; %bb.67:                               ;   in Loop: Header=BB18_5 Depth=1
	s_waitcnt lgkmcnt(0)
	v_cmp_ne_u32_e32 vcc, 0, v10
	s_and_b64 s[2:3], vcc, s[2:3]
	v_cndmask_b32_e64 v10, 0, 1, s[2:3]
	ds_write_b32 v5, v10
	s_branch .LBB18_3
.LBB18_68:
	s_or_b64 exec, exec, s[4:5]
	v_cmp_eq_u32_e32 vcc, 0, v0
	s_and_saveexec_b64 s[0:1], vcc
	s_cbranch_execz .LBB18_70
; %bb.69:
	s_mul_i32 s0, s33, s7
	s_add_i32 s0, s0, s6
	s_ashr_i32 s1, s0, 31
	s_lshl_b64 s[0:1], s[0:1], 2
	s_add_u32 s0, s10, s0
	s_addc_u32 s1, s11, s1
	v_mov_b32_e32 v0, 0
	global_store_dword v0, v1, s[0:1]
.LBB18_70:
	s_endpgm
	.section	.rodata,"a",@progbits
	.p2align	6, 0x0
	.amdhsa_kernel _ZL25flash_attn_mask_to_KV_maxILi16EEvPK7__half2Piiii
		.amdhsa_group_segment_fixed_size 128
		.amdhsa_private_segment_fixed_size 0
		.amdhsa_kernarg_size 288
		.amdhsa_user_sgpr_count 6
		.amdhsa_user_sgpr_private_segment_buffer 1
		.amdhsa_user_sgpr_dispatch_ptr 0
		.amdhsa_user_sgpr_queue_ptr 0
		.amdhsa_user_sgpr_kernarg_segment_ptr 1
		.amdhsa_user_sgpr_dispatch_id 0
		.amdhsa_user_sgpr_flat_scratch_init 0
		.amdhsa_user_sgpr_private_segment_size 0
		.amdhsa_uses_dynamic_stack 0
		.amdhsa_system_sgpr_private_segment_wavefront_offset 0
		.amdhsa_system_sgpr_workgroup_id_x 1
		.amdhsa_system_sgpr_workgroup_id_y 1
		.amdhsa_system_sgpr_workgroup_id_z 0
		.amdhsa_system_sgpr_workgroup_info 0
		.amdhsa_system_vgpr_workitem_id 0
		.amdhsa_next_free_vgpr 12
		.amdhsa_next_free_sgpr 78
		.amdhsa_reserve_vcc 1
		.amdhsa_reserve_flat_scratch 0
		.amdhsa_float_round_mode_32 0
		.amdhsa_float_round_mode_16_64 0
		.amdhsa_float_denorm_mode_32 3
		.amdhsa_float_denorm_mode_16_64 3
		.amdhsa_dx10_clamp 1
		.amdhsa_ieee_mode 1
		.amdhsa_fp16_overflow 0
		.amdhsa_exception_fp_ieee_invalid_op 0
		.amdhsa_exception_fp_denorm_src 0
		.amdhsa_exception_fp_ieee_div_zero 0
		.amdhsa_exception_fp_ieee_overflow 0
		.amdhsa_exception_fp_ieee_underflow 0
		.amdhsa_exception_fp_ieee_inexact 0
		.amdhsa_exception_int_div_zero 0
	.end_amdhsa_kernel
	.section	.text._ZL25flash_attn_mask_to_KV_maxILi16EEvPK7__half2Piiii,"axG",@progbits,_ZL25flash_attn_mask_to_KV_maxILi16EEvPK7__half2Piiii,comdat
.Lfunc_end18:
	.size	_ZL25flash_attn_mask_to_KV_maxILi16EEvPK7__half2Piiii, .Lfunc_end18-_ZL25flash_attn_mask_to_KV_maxILi16EEvPK7__half2Piiii
                                        ; -- End function
	.set _ZL25flash_attn_mask_to_KV_maxILi16EEvPK7__half2Piiii.num_vgpr, 12
	.set _ZL25flash_attn_mask_to_KV_maxILi16EEvPK7__half2Piiii.num_agpr, 0
	.set _ZL25flash_attn_mask_to_KV_maxILi16EEvPK7__half2Piiii.numbered_sgpr, 78
	.set _ZL25flash_attn_mask_to_KV_maxILi16EEvPK7__half2Piiii.num_named_barrier, 0
	.set _ZL25flash_attn_mask_to_KV_maxILi16EEvPK7__half2Piiii.private_seg_size, 0
	.set _ZL25flash_attn_mask_to_KV_maxILi16EEvPK7__half2Piiii.uses_vcc, 1
	.set _ZL25flash_attn_mask_to_KV_maxILi16EEvPK7__half2Piiii.uses_flat_scratch, 0
	.set _ZL25flash_attn_mask_to_KV_maxILi16EEvPK7__half2Piiii.has_dyn_sized_stack, 0
	.set _ZL25flash_attn_mask_to_KV_maxILi16EEvPK7__half2Piiii.has_recursion, 0
	.set _ZL25flash_attn_mask_to_KV_maxILi16EEvPK7__half2Piiii.has_indirect_call, 0
	.section	.AMDGPU.csdata,"",@progbits
; Kernel info:
; codeLenInByte = 2064
; TotalNumSgprs: 82
; NumVgprs: 12
; ScratchSize: 0
; MemoryBound: 0
; FloatMode: 240
; IeeeMode: 1
; LDSByteSize: 128 bytes/workgroup (compile time only)
; SGPRBlocks: 10
; VGPRBlocks: 2
; NumSGPRsForWavesPerEU: 82
; NumVGPRsForWavesPerEU: 12
; Occupancy: 9
; WaveLimiterHint : 0
; COMPUTE_PGM_RSRC2:SCRATCH_EN: 0
; COMPUTE_PGM_RSRC2:USER_SGPR: 6
; COMPUTE_PGM_RSRC2:TRAP_HANDLER: 0
; COMPUTE_PGM_RSRC2:TGID_X_EN: 1
; COMPUTE_PGM_RSRC2:TGID_Y_EN: 1
; COMPUTE_PGM_RSRC2:TGID_Z_EN: 0
; COMPUTE_PGM_RSRC2:TIDIG_COMP_CNT: 0
	.section	.text._ZL33flash_attn_stream_k_fixup_uniformILi128ELi16ELi4EEvPfPK15HIP_vector_typeIfLj2EEiiiiiiS1_IjLj3EES5_S5_,"axG",@progbits,_ZL33flash_attn_stream_k_fixup_uniformILi128ELi16ELi4EEvPfPK15HIP_vector_typeIfLj2EEiiiiiiS1_IjLj3EES5_S5_,comdat
	.globl	_ZL33flash_attn_stream_k_fixup_uniformILi128ELi16ELi4EEvPfPK15HIP_vector_typeIfLj2EEiiiiiiS1_IjLj3EES5_S5_ ; -- Begin function _ZL33flash_attn_stream_k_fixup_uniformILi128ELi16ELi4EEvPfPK15HIP_vector_typeIfLj2EEiiiiiiS1_IjLj3EES5_S5_
	.p2align	8
	.type	_ZL33flash_attn_stream_k_fixup_uniformILi128ELi16ELi4EEvPfPK15HIP_vector_typeIfLj2EEiiiiiiS1_IjLj3EES5_S5_,@function
_ZL33flash_attn_stream_k_fixup_uniformILi128ELi16ELi4EEvPfPK15HIP_vector_typeIfLj2EEiiiiiiS1_IjLj3EES5_S5_: ; @_ZL33flash_attn_stream_k_fixup_uniformILi128ELi16ELi4EEvPfPK15HIP_vector_typeIfLj2EEiiiiiiS1_IjLj3EES5_S5_
; %bb.0:
	s_load_dwordx8 s[12:19], s[4:5], 0x1c
	s_load_dwordx2 s[10:11], s[4:5], 0x10
	s_load_dwordx4 s[0:3], s[4:5], 0x3c
	s_waitcnt lgkmcnt(0)
	s_mul_hi_u32 s9, s15, s6
	s_add_i32 s9, s6, s9
	s_lshr_b32 s9, s9, s16
	s_mul_i32 s15, s9, s17
	s_sub_i32 s15, s6, s15
	s_mul_hi_u32 s16, s15, s18
	s_add_i32 s16, s15, s16
	s_lshr_b32 s16, s16, s19
	s_mul_i32 s0, s16, s0
	s_sub_i32 s0, s15, s0
	;; [unrolled: 5-line block ×3, first 2 shown]
	s_lshl_b32 s0, s17, 4
	s_lshl_b32 s15, s1, 2
	s_add_i32 s0, s0, s7
	s_cmp_lt_i32 s0, s10
	s_cselect_b64 s[0:1], -1, 0
	s_add_i32 s2, s15, s8
	s_cmp_lt_i32 s2, s13
	s_cselect_b64 s[2:3], -1, 0
	s_and_b64 s[0:1], s[0:1], s[2:3]
	s_andn2_b64 vcc, exec, s[0:1]
	s_cbranch_vccnz .LBB19_6
; %bb.1:
	s_load_dwordx4 s[0:3], s[4:5], 0x0
	s_mul_i32 s4, s9, s10
	s_add_i32 s4, s4, s7
	s_mul_i32 s4, s4, s11
	s_mul_i32 s16, s16, s13
	s_add_i32 s4, s4, s8
	s_add_i32 s4, s4, s16
	s_mul_i32 s5, s11, s17
	s_add_i32 s4, s4, s15
	s_lshl_b32 s5, s5, 11
	s_lshl_b32 s4, s4, 7
	s_add_i32 s5, s5, s4
	v_or_b32_e32 v1, s5, v0
	v_ashrrev_i32_e32 v2, 31, v1
	v_lshlrev_b64 v[1:2], 2, v[1:2]
	s_waitcnt lgkmcnt(0)
	v_mov_b32_e32 v3, s1
	v_add_co_u32_e32 v1, vcc, s0, v1
	v_addc_co_u32_e32 v2, vcc, v3, v2, vcc
	global_load_dword v8, v[1:2], off
	s_mul_i32 s9, s14, s6
	s_lshl_b32 s4, s7, 2
	s_add_i32 s11, s9, s14
	s_add_i32 s0, s4, s8
	s_lshl_b32 s1, s11, 6
	s_add_i32 s0, s0, s1
	s_sub_i32 s0, s0, 64
	s_ashr_i32 s1, s0, 31
	s_lshl_b64 s[0:1], s[0:1], 3
	s_add_u32 s0, s2, s0
	s_addc_u32 s1, s3, s1
	s_load_dword s5, s[0:1], 0x4
	s_add_i32 s10, s11, -2
	s_cmp_lt_i32 s10, s9
	s_cbranch_scc1 .LBB19_4
; %bb.2:
	s_lshl_b32 s16, s12, 8
	s_ashr_i32 s17, s16, 31
	s_lshl_b64 s[16:17], s[16:17], 2
	s_add_u32 s10, s2, s16
	s_addc_u32 s13, s3, s17
	s_add_i32 s6, s6, 1
	s_load_dword s0, s[0:1], 0x0
	s_mul_i32 s1, s14, s6
	s_lshl_b32 s7, s7, 9
	s_lshl_b32 s14, s8, 7
	;; [unrolled: 1-line block ×3, first 2 shown]
	s_add_i32 s7, s14, s7
	s_lshl_b32 s1, s1, 6
	s_add_i32 s7, s7, s6
	s_add_i32 s1, s8, s1
	s_lshl_b32 s6, s12, 6
	s_add_i32 s1, s1, s6
	v_or_b32_e32 v0, s7, v0
	s_add_i32 s1, s1, s4
	s_add_i32 s11, s11, -1
	v_add_u32_e32 v3, 0xffffc000, v0
	s_add_i32 s4, s1, 0xffffff80
	s_waitcnt lgkmcnt(0)
	v_mov_b32_e32 v7, s5
	v_mov_b32_e32 v6, s0
	;; [unrolled: 1-line block ×3, first 2 shown]
	s_mov_b32 s6, 0x3fb8aa3b
	s_mov_b32 s7, 0xc2ce8ed0
	s_mov_b32 s8, 0x42b17218
	v_mov_b32_e32 v5, 0x7f800000
	s_mov_b32 s12, 0xc1a00000
.LBB19_3:                               ; =>This Inner Loop Header: Depth=1
	v_ashrrev_i32_e32 v4, 31, v3
	v_lshlrev_b64 v[9:10], 2, v[3:4]
	s_ashr_i32 s5, s4, 31
	v_add_co_u32_e32 v9, vcc, s10, v9
	v_addc_co_u32_e32 v10, vcc, v0, v10, vcc
	global_load_dword v4, v[9:10], off
	s_lshl_b64 s[0:1], s[4:5], 3
	s_add_u32 s0, s2, s0
	s_addc_u32 s1, s3, s1
	s_load_dwordx2 s[14:15], s[0:1], 0x0
	s_waitcnt vmcnt(1)
	v_mov_b32_e32 v9, v8
	v_max_f32_e32 v8, v6, v6
	v_mov_b32_e32 v10, v7
	s_add_i32 s11, s11, -1
	s_waitcnt lgkmcnt(0)
	v_max_f32_e64 v7, s14, s14
	v_max_f32_e32 v7, v8, v7
	v_sub_f32_e32 v11, s14, v7
	v_sub_f32_e32 v8, v6, v7
	v_mul_f32_e32 v12, 0x3fb8aa3b, v11
	v_mov_b32_e32 v6, v7
	v_mul_f32_e32 v7, 0x3fb8aa3b, v8
	v_fma_f32 v15, v11, s6, -v12
	v_rndne_f32_e32 v16, v12
	v_fma_f32 v13, v8, s6, -v7
	v_rndne_f32_e32 v14, v7
	v_fmac_f32_e32 v15, 0x32a5705f, v11
	v_sub_f32_e32 v12, v12, v16
	v_fmac_f32_e32 v13, 0x32a5705f, v8
	v_sub_f32_e32 v7, v7, v14
	v_add_f32_e32 v12, v12, v15
	v_cvt_i32_f32_e32 v16, v16
	v_add_f32_e32 v7, v7, v13
	v_exp_f32_e32 v12, v12
	v_cvt_i32_f32_e32 v14, v14
	v_exp_f32_e32 v7, v7
	v_cmp_ngt_f32_e32 vcc, s7, v11
	v_ldexp_f32 v12, v12, v16
	v_cmp_ngt_f32_e64 s[0:1], s7, v8
	v_ldexp_f32 v7, v7, v14
	v_cndmask_b32_e32 v12, 0, v12, vcc
	v_cmp_nlt_f32_e32 vcc, s8, v11
	v_cndmask_b32_e64 v7, 0, v7, s[0:1]
	v_cmp_nlt_f32_e64 s[0:1], s8, v8
	v_cndmask_b32_e32 v12, v5, v12, vcc
	v_cmp_le_f32_e32 vcc, s12, v11
	v_cndmask_b32_e64 v7, v5, v7, s[0:1]
	v_cmp_le_f32_e64 s[0:1], s12, v8
	v_cndmask_b32_e32 v8, 0, v12, vcc
	s_sub_i32 s4, s4, 64
	v_cndmask_b32_e64 v11, 0, v7, s[0:1]
	v_mul_f32_e32 v7, s15, v8
	v_add_u32_e32 v3, 0xffffe000, v3
	s_cmp_le_i32 s11, s9
	v_fmac_f32_e32 v7, v10, v11
	s_waitcnt vmcnt(0)
	v_mul_f32_e32 v8, v4, v8
	v_fmac_f32_e32 v8, v9, v11
	s_cbranch_scc0 .LBB19_3
	s_branch .LBB19_5
.LBB19_4:
	s_waitcnt lgkmcnt(0)
	v_mov_b32_e32 v7, s5
.LBB19_5:
	s_waitcnt vmcnt(0)
	v_div_scale_f32 v0, s[0:1], v7, v7, v8
	v_div_scale_f32 v3, vcc, v8, v7, v8
	v_rcp_f32_e32 v4, v0
	v_fma_f32 v5, -v0, v4, 1.0
	v_fmac_f32_e32 v4, v5, v4
	v_mul_f32_e32 v5, v3, v4
	v_fma_f32 v6, -v0, v5, v3
	v_fmac_f32_e32 v5, v6, v4
	v_fma_f32 v0, -v0, v5, v3
	v_div_fmas_f32 v0, v0, v4, v5
	v_div_fixup_f32 v0, v0, v7, v8
	global_store_dword v[1:2], v0, off
.LBB19_6:
	s_endpgm
	.section	.rodata,"a",@progbits
	.p2align	6, 0x0
	.amdhsa_kernel _ZL33flash_attn_stream_k_fixup_uniformILi128ELi16ELi4EEvPfPK15HIP_vector_typeIfLj2EEiiiiiiS1_IjLj3EES5_S5_
		.amdhsa_group_segment_fixed_size 0
		.amdhsa_private_segment_fixed_size 0
		.amdhsa_kernarg_size 76
		.amdhsa_user_sgpr_count 6
		.amdhsa_user_sgpr_private_segment_buffer 1
		.amdhsa_user_sgpr_dispatch_ptr 0
		.amdhsa_user_sgpr_queue_ptr 0
		.amdhsa_user_sgpr_kernarg_segment_ptr 1
		.amdhsa_user_sgpr_dispatch_id 0
		.amdhsa_user_sgpr_flat_scratch_init 0
		.amdhsa_user_sgpr_private_segment_size 0
		.amdhsa_uses_dynamic_stack 0
		.amdhsa_system_sgpr_private_segment_wavefront_offset 0
		.amdhsa_system_sgpr_workgroup_id_x 1
		.amdhsa_system_sgpr_workgroup_id_y 1
		.amdhsa_system_sgpr_workgroup_id_z 1
		.amdhsa_system_sgpr_workgroup_info 0
		.amdhsa_system_vgpr_workitem_id 0
		.amdhsa_next_free_vgpr 17
		.amdhsa_next_free_sgpr 20
		.amdhsa_reserve_vcc 1
		.amdhsa_reserve_flat_scratch 0
		.amdhsa_float_round_mode_32 0
		.amdhsa_float_round_mode_16_64 0
		.amdhsa_float_denorm_mode_32 3
		.amdhsa_float_denorm_mode_16_64 3
		.amdhsa_dx10_clamp 1
		.amdhsa_ieee_mode 1
		.amdhsa_fp16_overflow 0
		.amdhsa_exception_fp_ieee_invalid_op 0
		.amdhsa_exception_fp_denorm_src 0
		.amdhsa_exception_fp_ieee_div_zero 0
		.amdhsa_exception_fp_ieee_overflow 0
		.amdhsa_exception_fp_ieee_underflow 0
		.amdhsa_exception_fp_ieee_inexact 0
		.amdhsa_exception_int_div_zero 0
	.end_amdhsa_kernel
	.section	.text._ZL33flash_attn_stream_k_fixup_uniformILi128ELi16ELi4EEvPfPK15HIP_vector_typeIfLj2EEiiiiiiS1_IjLj3EES5_S5_,"axG",@progbits,_ZL33flash_attn_stream_k_fixup_uniformILi128ELi16ELi4EEvPfPK15HIP_vector_typeIfLj2EEiiiiiiS1_IjLj3EES5_S5_,comdat
.Lfunc_end19:
	.size	_ZL33flash_attn_stream_k_fixup_uniformILi128ELi16ELi4EEvPfPK15HIP_vector_typeIfLj2EEiiiiiiS1_IjLj3EES5_S5_, .Lfunc_end19-_ZL33flash_attn_stream_k_fixup_uniformILi128ELi16ELi4EEvPfPK15HIP_vector_typeIfLj2EEiiiiiiS1_IjLj3EES5_S5_
                                        ; -- End function
	.set _ZL33flash_attn_stream_k_fixup_uniformILi128ELi16ELi4EEvPfPK15HIP_vector_typeIfLj2EEiiiiiiS1_IjLj3EES5_S5_.num_vgpr, 17
	.set _ZL33flash_attn_stream_k_fixup_uniformILi128ELi16ELi4EEvPfPK15HIP_vector_typeIfLj2EEiiiiiiS1_IjLj3EES5_S5_.num_agpr, 0
	.set _ZL33flash_attn_stream_k_fixup_uniformILi128ELi16ELi4EEvPfPK15HIP_vector_typeIfLj2EEiiiiiiS1_IjLj3EES5_S5_.numbered_sgpr, 20
	.set _ZL33flash_attn_stream_k_fixup_uniformILi128ELi16ELi4EEvPfPK15HIP_vector_typeIfLj2EEiiiiiiS1_IjLj3EES5_S5_.num_named_barrier, 0
	.set _ZL33flash_attn_stream_k_fixup_uniformILi128ELi16ELi4EEvPfPK15HIP_vector_typeIfLj2EEiiiiiiS1_IjLj3EES5_S5_.private_seg_size, 0
	.set _ZL33flash_attn_stream_k_fixup_uniformILi128ELi16ELi4EEvPfPK15HIP_vector_typeIfLj2EEiiiiiiS1_IjLj3EES5_S5_.uses_vcc, 1
	.set _ZL33flash_attn_stream_k_fixup_uniformILi128ELi16ELi4EEvPfPK15HIP_vector_typeIfLj2EEiiiiiiS1_IjLj3EES5_S5_.uses_flat_scratch, 0
	.set _ZL33flash_attn_stream_k_fixup_uniformILi128ELi16ELi4EEvPfPK15HIP_vector_typeIfLj2EEiiiiiiS1_IjLj3EES5_S5_.has_dyn_sized_stack, 0
	.set _ZL33flash_attn_stream_k_fixup_uniformILi128ELi16ELi4EEvPfPK15HIP_vector_typeIfLj2EEiiiiiiS1_IjLj3EES5_S5_.has_recursion, 0
	.set _ZL33flash_attn_stream_k_fixup_uniformILi128ELi16ELi4EEvPfPK15HIP_vector_typeIfLj2EEiiiiiiS1_IjLj3EES5_S5_.has_indirect_call, 0
	.section	.AMDGPU.csdata,"",@progbits
; Kernel info:
; codeLenInByte = 860
; TotalNumSgprs: 24
; NumVgprs: 17
; ScratchSize: 0
; MemoryBound: 0
; FloatMode: 240
; IeeeMode: 1
; LDSByteSize: 0 bytes/workgroup (compile time only)
; SGPRBlocks: 2
; VGPRBlocks: 4
; NumSGPRsForWavesPerEU: 24
; NumVGPRsForWavesPerEU: 17
; Occupancy: 10
; WaveLimiterHint : 0
; COMPUTE_PGM_RSRC2:SCRATCH_EN: 0
; COMPUTE_PGM_RSRC2:USER_SGPR: 6
; COMPUTE_PGM_RSRC2:TRAP_HANDLER: 0
; COMPUTE_PGM_RSRC2:TGID_X_EN: 1
; COMPUTE_PGM_RSRC2:TGID_Y_EN: 1
; COMPUTE_PGM_RSRC2:TGID_Z_EN: 1
; COMPUTE_PGM_RSRC2:TIDIG_COMP_CNT: 0
	.section	.text._ZL33flash_attn_stream_k_fixup_generalILi128ELi16ELi4EEvPfPK15HIP_vector_typeIfLj2EEiiiiS1_IjLj3EES5_S5_S5_,"axG",@progbits,_ZL33flash_attn_stream_k_fixup_generalILi128ELi16ELi4EEvPfPK15HIP_vector_typeIfLj2EEiiiiS1_IjLj3EES5_S5_S5_,comdat
	.globl	_ZL33flash_attn_stream_k_fixup_generalILi128ELi16ELi4EEvPfPK15HIP_vector_typeIfLj2EEiiiiS1_IjLj3EES5_S5_S5_ ; -- Begin function _ZL33flash_attn_stream_k_fixup_generalILi128ELi16ELi4EEvPfPK15HIP_vector_typeIfLj2EEiiiiS1_IjLj3EES5_S5_S5_
	.p2align	8
	.type	_ZL33flash_attn_stream_k_fixup_generalILi128ELi16ELi4EEvPfPK15HIP_vector_typeIfLj2EEiiiiS1_IjLj3EES5_S5_S5_,@function
_ZL33flash_attn_stream_k_fixup_generalILi128ELi16ELi4EEvPfPK15HIP_vector_typeIfLj2EEiiiiS1_IjLj3EES5_S5_S5_: ; @_ZL33flash_attn_stream_k_fixup_generalILi128ELi16ELi4EEvPfPK15HIP_vector_typeIfLj2EEiiiiS1_IjLj3EES5_S5_S5_
; %bb.0:
	s_load_dwordx4 s[0:3], s[4:5], 0x10
	s_load_dword s22, s[4:5], 0x50
	s_mov_b32 s12, 0
	s_waitcnt lgkmcnt(0)
	s_mul_hi_i32 s13, s3, s6
	s_cmp_lg_u64 s[12:13], 0
	s_mul_i32 s9, s3, s6
	s_cbranch_scc0 .LBB20_20
; %bb.1:
	s_add_u32 s10, s22, 0
	s_addc_u32 s11, 0, 0
	s_xor_b64 s[10:11], s[10:11], 0
	v_cvt_f32_u32_e32 v1, s10
	v_cvt_f32_u32_e32 v2, s11
	s_sub_u32 s12, 0, s10
	s_subb_u32 s18, 0, s11
	v_madmk_f32 v1, v2, 0x4f800000, v1
	v_rcp_f32_e32 v1, v1
	v_mul_f32_e32 v1, 0x5f7ffffc, v1
	v_mul_f32_e32 v2, 0x2f800000, v1
	v_trunc_f32_e32 v2, v2
	v_madmk_f32 v1, v2, 0xcf800000, v1
	v_cvt_u32_f32_e32 v2, v2
	v_cvt_u32_f32_e32 v1, v1
	v_readfirstlane_b32 s19, v2
	v_readfirstlane_b32 s14, v1
	s_mul_i32 s15, s12, s19
	s_mul_hi_u32 s21, s12, s14
	s_mul_i32 s20, s18, s14
	s_add_i32 s15, s21, s15
	s_add_i32 s15, s15, s20
	s_mul_i32 s23, s12, s14
	s_mul_i32 s21, s14, s15
	s_mul_hi_u32 s24, s14, s23
	s_mul_hi_u32 s20, s14, s15
	s_add_u32 s21, s24, s21
	s_addc_u32 s20, 0, s20
	s_mul_hi_u32 s25, s19, s23
	s_mul_i32 s23, s19, s23
	s_add_u32 s21, s21, s23
	s_mul_hi_u32 s24, s19, s15
	s_addc_u32 s20, s20, s25
	s_addc_u32 s21, s24, 0
	s_mul_i32 s15, s19, s15
	s_add_u32 s15, s20, s15
	s_addc_u32 s20, 0, s21
	s_add_u32 s21, s14, s15
	s_cselect_b64 s[14:15], -1, 0
	s_cmp_lg_u64 s[14:15], 0
	s_addc_u32 s19, s19, s20
	s_mul_i32 s14, s12, s19
	s_mul_hi_u32 s15, s12, s21
	s_add_i32 s14, s15, s14
	s_mul_i32 s18, s18, s21
	s_add_i32 s14, s14, s18
	s_mul_i32 s12, s12, s21
	s_mul_hi_u32 s18, s19, s12
	s_mul_i32 s20, s19, s12
	s_mul_i32 s24, s21, s14
	s_mul_hi_u32 s12, s21, s12
	s_mul_hi_u32 s23, s21, s14
	s_add_u32 s12, s12, s24
	s_addc_u32 s23, 0, s23
	s_add_u32 s12, s12, s20
	s_mul_hi_u32 s15, s19, s14
	s_addc_u32 s12, s23, s18
	s_addc_u32 s15, s15, 0
	s_mul_i32 s14, s19, s14
	s_add_u32 s12, s12, s14
	s_addc_u32 s18, 0, s15
	s_add_u32 s20, s21, s12
	s_cselect_b64 s[14:15], -1, 0
	s_cmp_lg_u64 s[14:15], 0
	s_addc_u32 s18, s19, s18
	s_ashr_i32 s14, s13, 31
	s_add_u32 s12, s9, s14
	s_mov_b32 s15, s14
	s_addc_u32 s13, s13, s14
	s_xor_b64 s[12:13], s[12:13], s[14:15]
	s_mul_i32 s21, s12, s18
	s_mul_hi_u32 s23, s12, s20
	s_mul_hi_u32 s19, s12, s18
	s_add_u32 s21, s23, s21
	s_addc_u32 s19, 0, s19
	s_mul_hi_u32 s24, s13, s20
	s_mul_i32 s20, s13, s20
	s_add_u32 s20, s21, s20
	s_mul_hi_u32 s23, s13, s18
	s_addc_u32 s19, s19, s24
	s_addc_u32 s20, s23, 0
	s_mul_i32 s18, s13, s18
	s_add_u32 s23, s19, s18
	s_addc_u32 s24, 0, s20
	s_mul_i32 s18, s10, s24
	s_mul_hi_u32 s19, s10, s23
	s_add_i32 s18, s19, s18
	s_mul_i32 s19, s11, s23
	s_add_i32 s25, s18, s19
	s_sub_i32 s20, s13, s25
	s_mul_i32 s18, s10, s23
	s_sub_u32 s12, s12, s18
	s_cselect_b64 s[18:19], -1, 0
	s_cmp_lg_u64 s[18:19], 0
	s_subb_u32 s26, s20, s11
	s_sub_u32 s27, s12, s10
	s_cselect_b64 s[20:21], -1, 0
	s_cmp_lg_u64 s[20:21], 0
	s_subb_u32 s20, s26, 0
	s_cmp_ge_u32 s20, s11
	s_cselect_b32 s21, -1, 0
	s_cmp_ge_u32 s27, s10
	s_cselect_b32 s26, -1, 0
	s_cmp_eq_u32 s20, s11
	s_cselect_b32 s20, s26, s21
	s_add_u32 s21, s23, 1
	s_addc_u32 s26, s24, 0
	s_add_u32 s27, s23, 2
	s_addc_u32 s28, s24, 0
	s_cmp_lg_u32 s20, 0
	s_cselect_b32 s20, s27, s21
	s_cselect_b32 s21, s28, s26
	s_cmp_lg_u64 s[18:19], 0
	s_subb_u32 s13, s13, s25
	s_cmp_ge_u32 s13, s11
	s_cselect_b32 s18, -1, 0
	s_cmp_ge_u32 s12, s10
	s_cselect_b32 s10, -1, 0
	s_cmp_eq_u32 s13, s11
	s_cselect_b32 s10, s10, s18
	s_cmp_lg_u32 s10, 0
	s_cselect_b32 s11, s21, s24
	s_cselect_b32 s10, s20, s23
	s_xor_b64 s[12:13], s[14:15], 0
	s_xor_b64 s[10:11], s[10:11], s[12:13]
	s_sub_u32 s10, s10, s12
	s_load_dwordx4 s[12:15], s[4:5], 0x44
	s_cbranch_execnz .LBB20_3
.LBB20_2:
	v_cvt_f32_u32_e32 v1, s22
	s_sub_i32 s10, 0, s22
	v_rcp_iflag_f32_e32 v1, v1
	v_mul_f32_e32 v1, 0x4f7ffffe, v1
	v_cvt_u32_f32_e32 v1, v1
	v_readfirstlane_b32 s11, v1
	s_mul_i32 s10, s10, s11
	s_mul_hi_u32 s10, s11, s10
	s_add_i32 s11, s11, s10
	s_mul_hi_u32 s10, s9, s11
	s_waitcnt lgkmcnt(0)
	s_mul_i32 s15, s10, s22
	s_sub_i32 s9, s9, s15
	s_add_i32 s11, s10, 1
	s_sub_i32 s15, s9, s22
	s_cmp_ge_u32 s9, s22
	s_cselect_b32 s10, s11, s10
	s_cselect_b32 s9, s15, s9
	s_add_i32 s11, s10, 1
	s_cmp_ge_u32 s9, s22
	s_cselect_b32 s10, s11, s10
.LBB20_3:
	s_add_i32 s9, s6, 1
	s_mul_hi_i32 s21, s3, s9
	s_mov_b32 s20, 0
	s_cmp_lg_u64 s[20:21], 0
	s_mul_i32 s9, s3, s9
	s_cbranch_scc0 .LBB20_21
; %bb.4:
	s_add_u32 s16, s22, 0
	s_addc_u32 s17, 0, 0
	s_xor_b64 s[18:19], s[16:17], 0
	v_cvt_f32_u32_e32 v1, s18
	v_cvt_f32_u32_e32 v2, s19
	s_sub_u32 s11, 0, s18
	s_waitcnt lgkmcnt(0)
	s_subb_u32 s15, 0, s19
	v_madmk_f32 v1, v2, 0x4f800000, v1
	v_rcp_f32_e32 v1, v1
	v_mul_f32_e32 v1, 0x5f7ffffc, v1
	v_mul_f32_e32 v2, 0x2f800000, v1
	v_trunc_f32_e32 v2, v2
	v_madmk_f32 v1, v2, 0xcf800000, v1
	v_cvt_u32_f32_e32 v2, v2
	v_cvt_u32_f32_e32 v1, v1
	v_readfirstlane_b32 s20, v2
	v_readfirstlane_b32 s23, v1
	s_mul_i32 s24, s11, s20
	s_mul_hi_u32 s26, s11, s23
	s_mul_i32 s25, s15, s23
	s_add_i32 s24, s26, s24
	s_add_i32 s24, s24, s25
	s_mul_i32 s27, s11, s23
	s_mul_i32 s26, s23, s24
	s_mul_hi_u32 s28, s23, s27
	s_mul_hi_u32 s25, s23, s24
	s_add_u32 s26, s28, s26
	s_addc_u32 s25, 0, s25
	s_mul_hi_u32 s29, s20, s27
	s_mul_i32 s27, s20, s27
	s_add_u32 s26, s26, s27
	s_mul_hi_u32 s28, s20, s24
	s_addc_u32 s25, s25, s29
	s_addc_u32 s26, s28, 0
	s_mul_i32 s24, s20, s24
	s_add_u32 s24, s25, s24
	s_addc_u32 s26, 0, s26
	s_add_u32 s23, s23, s24
	s_cselect_b64 s[24:25], -1, 0
	s_cmp_lg_u64 s[24:25], 0
	s_addc_u32 s20, s20, s26
	s_mul_i32 s24, s11, s20
	s_mul_hi_u32 s25, s11, s23
	s_add_i32 s24, s25, s24
	s_mul_i32 s15, s15, s23
	s_add_i32 s24, s24, s15
	s_mul_i32 s11, s11, s23
	s_mul_hi_u32 s25, s20, s11
	s_mul_i32 s26, s20, s11
	s_mul_i32 s28, s23, s24
	s_mul_hi_u32 s11, s23, s11
	s_mul_hi_u32 s27, s23, s24
	s_add_u32 s11, s11, s28
	s_addc_u32 s27, 0, s27
	s_add_u32 s11, s11, s26
	s_mul_hi_u32 s15, s20, s24
	s_addc_u32 s11, s27, s25
	s_addc_u32 s15, s15, 0
	s_mul_i32 s24, s20, s24
	s_add_u32 s11, s11, s24
	s_addc_u32 s15, 0, s15
	s_add_u32 s11, s23, s11
	s_cselect_b64 s[24:25], -1, 0
	s_cmp_lg_u64 s[24:25], 0
	s_addc_u32 s15, s20, s15
	s_ashr_i32 s24, s21, 31
	s_add_u32 s20, s9, s24
	s_mov_b32 s25, s24
	s_addc_u32 s21, s21, s24
	s_xor_b64 s[20:21], s[20:21], s[24:25]
	s_mul_i32 s26, s20, s15
	s_mul_hi_u32 s27, s20, s11
	s_mul_hi_u32 s23, s20, s15
	s_add_u32 s26, s27, s26
	s_addc_u32 s23, 0, s23
	s_mul_hi_u32 s28, s21, s11
	s_mul_i32 s11, s21, s11
	s_add_u32 s11, s26, s11
	s_mul_hi_u32 s27, s21, s15
	s_addc_u32 s11, s23, s28
	s_addc_u32 s23, s27, 0
	s_mul_i32 s15, s21, s15
	s_add_u32 s11, s11, s15
	s_addc_u32 s15, 0, s23
	s_mul_i32 s23, s18, s15
	s_mul_hi_u32 s26, s18, s11
	s_add_i32 s23, s26, s23
	s_mul_i32 s26, s19, s11
	s_add_i32 s23, s23, s26
	s_sub_i32 s28, s21, s23
	s_mul_i32 s26, s18, s11
	s_sub_u32 s20, s20, s26
	s_cselect_b64 s[26:27], -1, 0
	s_cmp_lg_u64 s[26:27], 0
	s_subb_u32 s30, s28, s19
	s_sub_u32 s31, s20, s18
	s_cselect_b64 s[28:29], -1, 0
	s_cmp_lg_u64 s[28:29], 0
	s_subb_u32 s28, s30, 0
	s_cmp_ge_u32 s28, s19
	s_cselect_b32 s29, -1, 0
	s_cmp_ge_u32 s31, s18
	s_cselect_b32 s30, -1, 0
	s_cmp_eq_u32 s28, s19
	s_cselect_b32 s28, s30, s29
	s_add_u32 s29, s11, 1
	s_addc_u32 s30, s15, 0
	s_add_u32 s31, s11, 2
	s_addc_u32 s33, s15, 0
	s_cmp_lg_u32 s28, 0
	s_cselect_b32 s28, s31, s29
	s_cselect_b32 s29, s33, s30
	s_cmp_lg_u64 s[26:27], 0
	s_subb_u32 s21, s21, s23
	s_cmp_ge_u32 s21, s19
	s_cselect_b32 s23, -1, 0
	s_cmp_ge_u32 s20, s18
	s_cselect_b32 s18, -1, 0
	s_cmp_eq_u32 s21, s19
	s_cselect_b32 s18, s18, s23
	s_cmp_lg_u32 s18, 0
	s_cselect_b32 s19, s29, s15
	s_cselect_b32 s18, s28, s11
	s_xor_b64 s[20:21], s[24:25], 0
	s_xor_b64 s[18:19], s[18:19], s[20:21]
	s_sub_u32 s18, s18, s20
	s_cbranch_execnz .LBB20_6
.LBB20_5:
	v_cvt_f32_u32_e32 v1, s22
	s_sub_i32 s11, 0, s22
	v_rcp_iflag_f32_e32 v1, v1
	v_mul_f32_e32 v1, 0x4f7ffffe, v1
	v_cvt_u32_f32_e32 v1, v1
	s_waitcnt lgkmcnt(0)
	v_readfirstlane_b32 s15, v1
	s_mul_i32 s11, s11, s15
	s_mul_hi_u32 s11, s15, s11
	s_add_i32 s15, s15, s11
	s_mul_hi_u32 s11, s9, s15
	s_mul_i32 s16, s11, s22
	s_sub_i32 s9, s9, s16
	s_add_i32 s15, s11, 1
	s_sub_i32 s16, s9, s22
	s_cmp_ge_u32 s9, s22
	s_cselect_b32 s11, s15, s11
	s_cselect_b32 s9, s16, s9
	s_add_i32 s15, s11, 1
	s_cmp_ge_u32 s9, s22
	s_cselect_b32 s18, s15, s11
.LBB20_6:
	s_cmp_eq_u32 s10, s18
	s_waitcnt lgkmcnt(0)
	s_mul_hi_u32 s9, s10, s12
	s_cselect_b64 s[16:17], -1, 0
	s_add_i32 s9, s9, s10
	s_lshr_b32 s11, s9, s13
	s_mul_i32 s9, s11, s14
	s_cmp_eq_u32 s9, s10
	s_mul_hi_u32 s9, s18, s12
	s_cselect_b64 s[20:21], -1, 0
	s_add_i32 s9, s9, s18
	s_lshr_b32 s9, s9, s13
	s_cmp_eq_u32 s11, s9
	s_mul_i32 s9, s9, s14
	s_cselect_b64 s[24:25], -1, 0
	s_cmp_lg_u32 s9, s18
	s_cselect_b64 s[18:19], -1, 0
	s_and_b64 s[18:19], s[24:25], s[18:19]
	s_or_b64 s[16:17], s[16:17], s[20:21]
	s_or_b64 s[16:17], s[16:17], s[18:19]
	s_and_b64 vcc, exec, s[16:17]
	s_cbranch_vccnz .LBB20_23
; %bb.7:
	s_load_dwordx8 s[24:31], s[4:5], 0x20
	s_load_dword s15, s[4:5], 0x40
	s_waitcnt lgkmcnt(0)
	s_mul_hi_u32 s9, s10, s24
	s_add_i32 s9, s9, s10
	s_lshr_b32 s9, s9, s25
	s_mul_i32 s16, s9, s26
	s_sub_i32 s16, s10, s16
	s_mul_hi_u32 s17, s16, s27
	s_add_i32 s17, s16, s17
	s_lshr_b32 s23, s17, s28
	s_mul_i32 s17, s23, s29
	s_sub_i32 s16, s16, s17
	;; [unrolled: 5-line block ×3, first 2 shown]
	s_mul_hi_u32 s16, s15, s12
	s_add_i32 s15, s15, s16
	s_lshr_b32 s25, s15, s13
	s_lshl_b32 s15, s25, 4
	s_lshl_b32 s24, s17, 2
	s_add_i32 s15, s15, s7
	s_cmp_lt_i32 s15, s0
	s_cselect_b64 s[16:17], -1, 0
	s_add_i32 s15, s24, s8
	s_cmp_lt_i32 s15, s2
	s_cselect_b64 s[18:19], -1, 0
	s_and_b64 s[16:17], s[16:17], s[18:19]
	s_andn2_b64 vcc, exec, s[16:17]
	s_cbranch_vccnz .LBB20_23
; %bb.8:
	s_load_dwordx4 s[16:19], s[4:5], 0x0
	s_mov_b32 s4, 0
	s_lshl_b32 s15, s7, 2
	s_lshl_b32 s20, s22, 8
	s_mov_b32 s21, s4
	s_add_i32 s15, s15, s8
	s_lshl_b64 s[20:21], s[20:21], 2
	s_waitcnt lgkmcnt(0)
	s_add_u32 s20, s18, s20
	s_mul_i32 s0, s9, s0
	s_addc_u32 s21, s19, s21
	s_add_i32 s0, s0, s7
	s_mul_i32 s0, s0, s1
	s_mul_i32 s23, s23, s2
	s_add_i32 s0, s0, s8
	s_add_i32 s0, s0, s23
	s_mul_i32 s2, s1, s25
	s_add_i32 s0, s0, s24
	s_lshl_b32 s2, s2, 11
	s_lshl_b32 s0, s0, 7
	s_add_i32 s2, s2, s0
	v_or_b32_e32 v1, s2, v0
	v_ashrrev_i32_e32 v2, 31, v1
	v_lshlrev_b64 v[1:2], 2, v[1:2]
	v_mov_b32_e32 v3, s17
	v_add_co_u32_e32 v1, vcc, s16, v1
	v_addc_co_u32_e32 v2, vcc, v3, v2, vcc
	global_load_dword v3, v[1:2], off
	v_cvt_f32_u32_e32 v4, s22
	s_lshl_b32 s0, s6, 6
	s_add_i32 s0, s15, s0
	s_ashr_i32 s1, s0, 31
	s_lshl_b64 s[0:1], s[0:1], 3
	v_rcp_iflag_f32_e32 v4, v4
	s_add_u32 s0, s18, s0
	s_addc_u32 s1, s19, s1
	s_load_dwordx2 s[0:1], s[0:1], 0x0
	v_mul_f32_e32 v4, 0x4f7ffffe, v4
	v_cvt_u32_f32_e32 v4, v4
	s_add_i32 s24, s6, -1
	v_lshl_or_b32 v0, s15, 7, v0
	s_waitcnt lgkmcnt(0)
	v_mov_b32_e32 v6, s1
	v_mov_b32_e32 v7, s0
	s_mov_b32 s2, 0x3fb8aa3b
	s_mov_b32 s16, 0xc2ce8ed0
	;; [unrolled: 1-line block ×4, first 2 shown]
	v_mov_b32_e32 v5, 0x7f800000
	s_mul_hi_i32 s5, s24, s3
	s_cmp_lg_u64 s[4:5], 0
	s_mul_i32 s8, s24, s3
	s_cbranch_scc0 .LBB20_19
.LBB20_9:
	s_add_u32 s0, s22, 0
	s_addc_u32 s1, 0, 0
	s_xor_b64 s[0:1], s[0:1], 0
	v_cvt_f32_u32_e32 v8, s0
	v_cvt_f32_u32_e32 v9, s1
	s_sub_u32 s9, 0, s0
	s_subb_u32 s25, 0, s1
	v_mac_f32_e32 v8, 0x4f800000, v9
	v_rcp_f32_e32 v8, v8
	v_mul_f32_e32 v8, 0x5f7ffffc, v8
	v_mul_f32_e32 v9, 0x2f800000, v8
	v_trunc_f32_e32 v9, v9
	v_mac_f32_e32 v8, 0xcf800000, v9
	v_cvt_u32_f32_e32 v9, v9
	v_cvt_u32_f32_e32 v8, v8
	v_readfirstlane_b32 s26, v9
	v_readfirstlane_b32 s6, v8
	s_mul_i32 s7, s9, s26
	s_mul_hi_u32 s28, s9, s6
	s_mul_i32 s27, s25, s6
	s_add_i32 s7, s28, s7
	s_mul_i32 s29, s9, s6
	s_add_i32 s7, s7, s27
	s_mul_i32 s28, s6, s7
	s_mul_hi_u32 s30, s6, s29
	s_mul_hi_u32 s27, s6, s7
	s_add_u32 s28, s30, s28
	s_addc_u32 s27, 0, s27
	s_mul_hi_u32 s31, s26, s29
	s_mul_i32 s29, s26, s29
	s_add_u32 s28, s28, s29
	s_mul_hi_u32 s30, s26, s7
	s_addc_u32 s27, s27, s31
	s_addc_u32 s28, s30, 0
	s_mul_i32 s7, s26, s7
	s_add_u32 s7, s27, s7
	s_addc_u32 s27, 0, s28
	s_add_u32 s28, s6, s7
	s_cselect_b64 s[6:7], -1, 0
	s_cmp_lg_u64 s[6:7], 0
	s_addc_u32 s26, s26, s27
	s_mul_i32 s6, s9, s26
	s_mul_hi_u32 s7, s9, s28
	s_add_i32 s6, s7, s6
	s_mul_i32 s25, s25, s28
	s_add_i32 s6, s6, s25
	s_mul_i32 s9, s9, s28
	s_mul_hi_u32 s25, s26, s9
	s_mul_i32 s27, s26, s9
	s_mul_i32 s30, s28, s6
	s_mul_hi_u32 s9, s28, s9
	s_mul_hi_u32 s29, s28, s6
	s_add_u32 s9, s9, s30
	s_addc_u32 s29, 0, s29
	s_add_u32 s9, s9, s27
	s_mul_hi_u32 s7, s26, s6
	s_addc_u32 s9, s29, s25
	s_addc_u32 s7, s7, 0
	s_mul_i32 s6, s26, s6
	s_add_u32 s6, s9, s6
	s_addc_u32 s9, 0, s7
	s_add_u32 s25, s28, s6
	s_cselect_b64 s[6:7], -1, 0
	s_cmp_lg_u64 s[6:7], 0
	s_addc_u32 s9, s26, s9
	s_ashr_i32 s6, s5, 31
	s_add_u32 s26, s8, s6
	s_mov_b32 s7, s6
	s_addc_u32 s27, s5, s6
	s_xor_b64 s[26:27], s[26:27], s[6:7]
	s_mul_i32 s28, s26, s9
	s_mul_hi_u32 s29, s26, s25
	s_mul_hi_u32 s5, s26, s9
	s_add_u32 s28, s29, s28
	s_addc_u32 s5, 0, s5
	s_mul_hi_u32 s30, s27, s25
	s_mul_i32 s25, s27, s25
	s_add_u32 s25, s28, s25
	s_mul_hi_u32 s29, s27, s9
	s_addc_u32 s5, s5, s30
	s_addc_u32 s25, s29, 0
	s_mul_i32 s9, s27, s9
	s_add_u32 s5, s5, s9
	s_addc_u32 s9, 0, s25
	s_mul_i32 s25, s0, s9
	s_mul_hi_u32 s28, s0, s5
	s_add_i32 s25, s28, s25
	s_mul_i32 s28, s1, s5
	s_add_i32 s25, s25, s28
	s_sub_i32 s30, s27, s25
	s_mul_i32 s28, s0, s5
	s_sub_u32 s26, s26, s28
	s_cselect_b64 s[28:29], -1, 0
	s_cmp_lg_u64 s[28:29], 0
	s_subb_u32 s33, s30, s1
	s_sub_u32 s34, s26, s0
	s_cselect_b64 s[30:31], -1, 0
	s_cmp_lg_u64 s[30:31], 0
	s_subb_u32 s30, s33, 0
	s_cmp_ge_u32 s30, s1
	s_cselect_b32 s31, -1, 0
	s_cmp_ge_u32 s34, s0
	s_cselect_b32 s33, -1, 0
	s_cmp_eq_u32 s30, s1
	s_cselect_b32 s30, s33, s31
	s_add_u32 s31, s5, 1
	s_addc_u32 s33, s9, 0
	s_add_u32 s34, s5, 2
	s_addc_u32 s35, s9, 0
	s_cmp_lg_u32 s30, 0
	s_cselect_b32 s30, s34, s31
	s_cselect_b32 s31, s35, s33
	s_cmp_lg_u64 s[28:29], 0
	s_subb_u32 s25, s27, s25
	s_cmp_ge_u32 s25, s1
	s_cselect_b32 s27, -1, 0
	s_cmp_ge_u32 s26, s0
	s_cselect_b32 s0, -1, 0
	s_cmp_eq_u32 s25, s1
	s_cselect_b32 s0, s0, s27
	s_cmp_lg_u32 s0, 0
	s_cselect_b32 s1, s31, s9
	s_cselect_b32 s0, s30, s5
	s_xor_b64 s[6:7], s[6:7], 0
	s_xor_b64 s[0:1], s[0:1], s[6:7]
	s_sub_u32 s6, s0, s6
	s_cbranch_execnz .LBB20_11
.LBB20_10:
	s_sub_i32 s0, 0, s22
	v_readfirstlane_b32 s1, v4
	s_mul_i32 s0, s0, s1
	s_mul_hi_u32 s0, s1, s0
	s_add_i32 s1, s1, s0
	s_mul_hi_u32 s0, s8, s1
	s_mul_i32 s5, s0, s22
	s_sub_i32 s5, s8, s5
	s_add_i32 s1, s0, 1
	s_sub_i32 s6, s5, s22
	s_cmp_ge_u32 s5, s22
	s_cselect_b32 s0, s1, s0
	s_cselect_b32 s5, s6, s5
	s_add_i32 s1, s0, 1
	s_cmp_ge_u32 s5, s22
	s_cselect_b32 s6, s1, s0
.LBB20_11:
	s_cmp_lg_u32 s10, s6
	s_mov_b64 s[8:9], -1
                                        ; implicit-def: $sgpr0_sgpr1
                                        ; implicit-def: $vgpr10
                                        ; implicit-def: $vgpr8
                                        ; implicit-def: $vgpr9
                                        ; implicit-def: $sgpr5
                                        ; implicit-def: $sgpr7
	s_cbranch_scc1 .LBB20_14
; %bb.12:
	s_andn2_b64 vcc, exec, s[8:9]
	s_cbranch_vccz .LBB20_17
.LBB20_13:
	s_andn2_b64 vcc, exec, s[0:1]
	s_cbranch_vccnz .LBB20_18
	s_branch .LBB20_22
.LBB20_14:
	s_add_i32 s0, s24, s22
	s_lshl_b32 s0, s0, 6
	s_add_i32 s0, s0, s15
	s_mov_b32 s1, s4
	s_lshl_b64 s[0:1], s[0:1], 3
	s_add_u32 s8, s18, s0
	s_mul_hi_u32 s0, s6, s12
	s_addc_u32 s9, s19, s1
	s_add_i32 s0, s0, s6
	s_lshr_b32 s5, s0, s13
	s_mul_i32 s0, s5, s14
	s_cmp_eq_u32 s0, s6
	s_cselect_b64 s[0:1], -1, 0
	s_cmp_lt_u32 s5, s11
	s_cselect_b64 s[26:27], -1, 0
	s_or_b64 s[26:27], s[26:27], s[0:1]
	s_mov_b64 s[0:1], -1
	s_and_b64 vcc, exec, s[26:27]
	s_mov_b32 s5, s24
	s_mov_b32 s7, s10
	s_cbranch_vccnz .LBB20_16
; %bb.15:
	s_add_i32 s5, s24, -1
	s_mov_b64 s[0:1], 0
	s_mov_b32 s7, s6
.LBB20_16:
	v_lshl_add_u32 v8, s24, 13, v0
	v_ashrrev_i32_e32 v9, 31, v8
	v_lshlrev_b64 v[8:9], 2, v[8:9]
	v_mov_b32_e32 v10, s21
	v_add_co_u32_e32 v8, vcc, s20, v8
	v_addc_co_u32_e32 v9, vcc, v10, v9, vcc
	global_load_dword v10, v[8:9], off
	s_load_dwordx2 s[8:9], s[8:9], 0x0
	v_max_f32_e32 v8, v7, v7
	s_waitcnt lgkmcnt(0)
	v_max_f32_e64 v9, s8, s8
	v_max_f32_e32 v8, v8, v9
	v_sub_f32_e32 v9, v7, v8
	v_sub_f32_e32 v11, s8, v8
	v_mul_f32_e32 v12, 0x3fb8aa3b, v9
	v_mul_f32_e32 v13, 0x3fb8aa3b, v11
	v_fma_f32 v14, v9, s2, -v12
	v_rndne_f32_e32 v15, v12
	v_fma_f32 v16, v11, s2, -v13
	v_rndne_f32_e32 v17, v13
	v_fmac_f32_e32 v14, 0x32a5705f, v9
	v_sub_f32_e32 v12, v12, v15
	v_fmac_f32_e32 v16, 0x32a5705f, v11
	v_sub_f32_e32 v13, v13, v17
	v_add_f32_e32 v12, v12, v14
	v_cvt_i32_f32_e32 v15, v15
	v_add_f32_e32 v13, v13, v16
	v_exp_f32_e32 v12, v12
	v_cvt_i32_f32_e32 v17, v17
	v_exp_f32_e32 v13, v13
	v_cmp_ngt_f32_e32 vcc, s16, v9
	v_ldexp_f32 v12, v12, v15
	v_cndmask_b32_e32 v12, 0, v12, vcc
	v_ldexp_f32 v13, v13, v17
	v_cmp_ngt_f32_e32 vcc, s16, v11
	v_cndmask_b32_e32 v13, 0, v13, vcc
	v_cmp_nlt_f32_e32 vcc, s17, v9
	v_cndmask_b32_e32 v12, v5, v12, vcc
	v_cmp_nlt_f32_e32 vcc, s17, v11
	v_cndmask_b32_e32 v13, v5, v13, vcc
	v_cmp_le_f32_e32 vcc, s23, v9
	v_cndmask_b32_e32 v12, 0, v12, vcc
	v_cmp_le_f32_e32 vcc, s23, v11
	v_cndmask_b32_e32 v11, 0, v13, vcc
	v_mul_f32_e32 v9, s9, v11
	v_fmac_f32_e32 v9, v6, v12
	s_waitcnt vmcnt(0)
	v_mul_f32_e32 v10, v10, v11
	v_fmac_f32_e32 v10, v3, v12
	s_cbranch_execnz .LBB20_13
.LBB20_17:
	s_add_i32 s5, s24, -1
	s_mov_b32 s7, s10
	v_mov_b32_e32 v9, v6
	v_mov_b32_e32 v8, v7
	s_waitcnt vmcnt(0)
	v_mov_b32_e32 v10, v3
	s_cbranch_execz .LBB20_22
.LBB20_18:
	s_mov_b32 s10, s7
	s_mov_b32 s24, s5
	v_mov_b32_e32 v6, v9
	v_mov_b32_e32 v7, v8
	s_waitcnt vmcnt(0)
	v_mov_b32_e32 v3, v10
	s_mul_hi_i32 s5, s24, s3
	s_cmp_lg_u64 s[4:5], 0
	s_mul_i32 s8, s24, s3
	s_cbranch_scc1 .LBB20_9
.LBB20_19:
                                        ; implicit-def: $sgpr6_sgpr7
	s_branch .LBB20_10
.LBB20_20:
                                        ; implicit-def: $sgpr10_sgpr11
	s_load_dwordx4 s[12:15], s[4:5], 0x44
	s_branch .LBB20_2
.LBB20_21:
                                        ; implicit-def: $sgpr18_sgpr19
	s_branch .LBB20_5
.LBB20_22:
	v_div_scale_f32 v0, s[0:1], v9, v9, v10
	s_waitcnt vmcnt(0)
	v_div_scale_f32 v3, vcc, v10, v9, v10
	v_rcp_f32_e32 v4, v0
	v_fma_f32 v5, -v0, v4, 1.0
	v_fmac_f32_e32 v4, v5, v4
	v_mul_f32_e32 v5, v3, v4
	v_fma_f32 v6, -v0, v5, v3
	v_fmac_f32_e32 v5, v6, v4
	v_fma_f32 v0, -v0, v5, v3
	v_div_fmas_f32 v0, v0, v4, v5
	v_div_fixup_f32 v0, v0, v9, v10
	global_store_dword v[1:2], v0, off
.LBB20_23:
	s_endpgm
	.section	.rodata,"a",@progbits
	.p2align	6, 0x0
	.amdhsa_kernel _ZL33flash_attn_stream_k_fixup_generalILi128ELi16ELi4EEvPfPK15HIP_vector_typeIfLj2EEiiiiS1_IjLj3EES5_S5_S5_
		.amdhsa_group_segment_fixed_size 0
		.amdhsa_private_segment_fixed_size 0
		.amdhsa_kernarg_size 336
		.amdhsa_user_sgpr_count 6
		.amdhsa_user_sgpr_private_segment_buffer 1
		.amdhsa_user_sgpr_dispatch_ptr 0
		.amdhsa_user_sgpr_queue_ptr 0
		.amdhsa_user_sgpr_kernarg_segment_ptr 1
		.amdhsa_user_sgpr_dispatch_id 0
		.amdhsa_user_sgpr_flat_scratch_init 0
		.amdhsa_user_sgpr_private_segment_size 0
		.amdhsa_uses_dynamic_stack 0
		.amdhsa_system_sgpr_private_segment_wavefront_offset 0
		.amdhsa_system_sgpr_workgroup_id_x 1
		.amdhsa_system_sgpr_workgroup_id_y 1
		.amdhsa_system_sgpr_workgroup_id_z 1
		.amdhsa_system_sgpr_workgroup_info 0
		.amdhsa_system_vgpr_workitem_id 0
		.amdhsa_next_free_vgpr 18
		.amdhsa_next_free_sgpr 36
		.amdhsa_reserve_vcc 1
		.amdhsa_reserve_flat_scratch 0
		.amdhsa_float_round_mode_32 0
		.amdhsa_float_round_mode_16_64 0
		.amdhsa_float_denorm_mode_32 3
		.amdhsa_float_denorm_mode_16_64 3
		.amdhsa_dx10_clamp 1
		.amdhsa_ieee_mode 1
		.amdhsa_fp16_overflow 0
		.amdhsa_exception_fp_ieee_invalid_op 0
		.amdhsa_exception_fp_denorm_src 0
		.amdhsa_exception_fp_ieee_div_zero 0
		.amdhsa_exception_fp_ieee_overflow 0
		.amdhsa_exception_fp_ieee_underflow 0
		.amdhsa_exception_fp_ieee_inexact 0
		.amdhsa_exception_int_div_zero 0
	.end_amdhsa_kernel
	.section	.text._ZL33flash_attn_stream_k_fixup_generalILi128ELi16ELi4EEvPfPK15HIP_vector_typeIfLj2EEiiiiS1_IjLj3EES5_S5_S5_,"axG",@progbits,_ZL33flash_attn_stream_k_fixup_generalILi128ELi16ELi4EEvPfPK15HIP_vector_typeIfLj2EEiiiiS1_IjLj3EES5_S5_S5_,comdat
.Lfunc_end20:
	.size	_ZL33flash_attn_stream_k_fixup_generalILi128ELi16ELi4EEvPfPK15HIP_vector_typeIfLj2EEiiiiS1_IjLj3EES5_S5_S5_, .Lfunc_end20-_ZL33flash_attn_stream_k_fixup_generalILi128ELi16ELi4EEvPfPK15HIP_vector_typeIfLj2EEiiiiS1_IjLj3EES5_S5_S5_
                                        ; -- End function
	.set _ZL33flash_attn_stream_k_fixup_generalILi128ELi16ELi4EEvPfPK15HIP_vector_typeIfLj2EEiiiiS1_IjLj3EES5_S5_S5_.num_vgpr, 18
	.set _ZL33flash_attn_stream_k_fixup_generalILi128ELi16ELi4EEvPfPK15HIP_vector_typeIfLj2EEiiiiS1_IjLj3EES5_S5_S5_.num_agpr, 0
	.set _ZL33flash_attn_stream_k_fixup_generalILi128ELi16ELi4EEvPfPK15HIP_vector_typeIfLj2EEiiiiS1_IjLj3EES5_S5_S5_.numbered_sgpr, 36
	.set _ZL33flash_attn_stream_k_fixup_generalILi128ELi16ELi4EEvPfPK15HIP_vector_typeIfLj2EEiiiiS1_IjLj3EES5_S5_S5_.num_named_barrier, 0
	.set _ZL33flash_attn_stream_k_fixup_generalILi128ELi16ELi4EEvPfPK15HIP_vector_typeIfLj2EEiiiiS1_IjLj3EES5_S5_S5_.private_seg_size, 0
	.set _ZL33flash_attn_stream_k_fixup_generalILi128ELi16ELi4EEvPfPK15HIP_vector_typeIfLj2EEiiiiS1_IjLj3EES5_S5_S5_.uses_vcc, 1
	.set _ZL33flash_attn_stream_k_fixup_generalILi128ELi16ELi4EEvPfPK15HIP_vector_typeIfLj2EEiiiiS1_IjLj3EES5_S5_S5_.uses_flat_scratch, 0
	.set _ZL33flash_attn_stream_k_fixup_generalILi128ELi16ELi4EEvPfPK15HIP_vector_typeIfLj2EEiiiiS1_IjLj3EES5_S5_S5_.has_dyn_sized_stack, 0
	.set _ZL33flash_attn_stream_k_fixup_generalILi128ELi16ELi4EEvPfPK15HIP_vector_typeIfLj2EEiiiiS1_IjLj3EES5_S5_S5_.has_recursion, 0
	.set _ZL33flash_attn_stream_k_fixup_generalILi128ELi16ELi4EEvPfPK15HIP_vector_typeIfLj2EEiiiiS1_IjLj3EES5_S5_S5_.has_indirect_call, 0
	.section	.AMDGPU.csdata,"",@progbits
; Kernel info:
; codeLenInByte = 2940
; TotalNumSgprs: 40
; NumVgprs: 18
; ScratchSize: 0
; MemoryBound: 0
; FloatMode: 240
; IeeeMode: 1
; LDSByteSize: 0 bytes/workgroup (compile time only)
; SGPRBlocks: 4
; VGPRBlocks: 4
; NumSGPRsForWavesPerEU: 40
; NumVGPRsForWavesPerEU: 18
; Occupancy: 10
; WaveLimiterHint : 0
; COMPUTE_PGM_RSRC2:SCRATCH_EN: 0
; COMPUTE_PGM_RSRC2:USER_SGPR: 6
; COMPUTE_PGM_RSRC2:TRAP_HANDLER: 0
; COMPUTE_PGM_RSRC2:TGID_X_EN: 1
; COMPUTE_PGM_RSRC2:TGID_Y_EN: 1
; COMPUTE_PGM_RSRC2:TGID_Z_EN: 1
; COMPUTE_PGM_RSRC2:TIDIG_COMP_CNT: 0
	.section	.text._ZL15flash_attn_tileILi128ELi128ELi8ELi4ELb0EEvPKcS1_S1_S1_S1_PKiPfP15HIP_vector_typeIfLj2EEffffjfiS5_IjLj3EEiiiiiiiiiiiliiliiiiil,"axG",@progbits,_ZL15flash_attn_tileILi128ELi128ELi8ELi4ELb0EEvPKcS1_S1_S1_S1_PKiPfP15HIP_vector_typeIfLj2EEffffjfiS5_IjLj3EEiiiiiiiiiiiliiliiiiil,comdat
	.globl	_ZL15flash_attn_tileILi128ELi128ELi8ELi4ELb0EEvPKcS1_S1_S1_S1_PKiPfP15HIP_vector_typeIfLj2EEffffjfiS5_IjLj3EEiiiiiiiiiiiliiliiiiil ; -- Begin function _ZL15flash_attn_tileILi128ELi128ELi8ELi4ELb0EEvPKcS1_S1_S1_S1_PKiPfP15HIP_vector_typeIfLj2EEffffjfiS5_IjLj3EEiiiiiiiiiiiliiliiiiil
	.p2align	8
	.type	_ZL15flash_attn_tileILi128ELi128ELi8ELi4ELb0EEvPKcS1_S1_S1_S1_PKiPfP15HIP_vector_typeIfLj2EEffffjfiS5_IjLj3EEiiiiiiiiiiiliiliiiiil,@function
_ZL15flash_attn_tileILi128ELi128ELi8ELi4ELb0EEvPKcS1_S1_S1_S1_PKiPfP15HIP_vector_typeIfLj2EEffffjfiS5_IjLj3EEiiiiiiiiiiiliiliiiiil: ; @_ZL15flash_attn_tileILi128ELi128ELi8ELi4ELb0EEvPKcS1_S1_S1_S1_PKiPfP15HIP_vector_typeIfLj2EEffffjfiS5_IjLj3EEiiiiiiiiiiiliiliiiiil
; %bb.0:
	s_load_dwordx4 s[24:27], s[4:5], 0x5c
	s_load_dwordx2 s[30:31], s[4:5], 0x80
	s_mov_b64 s[54:55], s[2:3]
	s_mov_b64 s[52:53], s[0:1]
	s_add_u32 s52, s52, s9
	s_addc_u32 s53, s53, 0
	s_waitcnt lgkmcnt(0)
	s_ashr_i32 s0, s27, 31
	s_lshr_b32 s0, s0, 30
	s_add_i32 s0, s27, s0
	s_ashr_i32 s0, s0, 2
	v_cvt_f32_u32_e32 v2, s0
	s_sub_i32 s1, 0, s0
	s_load_dwordx16 s[36:51], s[4:5], 0x0
	v_mov_b32_e32 v42, v0
	v_rcp_iflag_f32_e32 v2, v2
	s_mov_b64 s[34:35], 0
	v_mul_f32_e32 v2, 0x4f7ffffe, v2
	v_cvt_u32_f32_e32 v2, v2
	v_readfirstlane_b32 s2, v2
	s_mul_i32 s1, s1, s2
	s_mul_hi_u32 s1, s2, s1
	s_add_i32 s2, s2, s1
	s_mul_hi_u32 s1, s8, s2
	s_mul_i32 s2, s1, s0
	s_sub_i32 s2, s8, s2
	s_add_i32 s3, s1, 1
	s_sub_i32 s9, s2, s0
	s_cmp_ge_u32 s2, s0
	s_cselect_b32 s1, s3, s1
	s_cselect_b32 s2, s9, s2
	s_add_i32 s3, s1, 1
	s_cmp_ge_u32 s2, s0
	s_cselect_b32 s33, s3, s1
	s_abs_i32 s0, s31
	v_cvt_f32_u32_e32 v2, s0
	s_lshl_b32 s1, s8, 2
	s_mul_i32 s8, s33, s27
	s_sub_i32 s9, 0, s0
	v_rcp_iflag_f32_e32 v2, v2
	s_sub_i32 s28, s1, s8
	s_abs_i32 s3, s27
	s_xor_b32 s2, s27, s31
	v_mul_f32_e32 v2, 0x4f7ffffe, v2
	v_cvt_u32_f32_e32 v2, v2
	s_ashr_i32 s2, s2, 31
	v_readfirstlane_b32 s1, v2
	s_mul_i32 s9, s9, s1
	s_mul_hi_u32 s8, s1, s9
	s_add_i32 s1, s1, s8
	s_mul_hi_u32 s1, s3, s1
	s_mul_i32 s8, s1, s0
	s_sub_i32 s3, s3, s8
	s_add_i32 s9, s1, 1
	s_sub_i32 s8, s3, s0
	s_cmp_ge_u32 s3, s0
	s_cselect_b32 s1, s9, s1
	s_cselect_b32 s3, s8, s3
	s_add_i32 s8, s1, 1
	s_cmp_ge_u32 s3, s0
	s_cselect_b32 s0, s8, s1
	s_xor_b32 s0, s0, s2
	s_sub_i32 s11, s0, s2
	s_abs_i32 s10, s11
	v_cvt_f32_u32_e32 v2, s10
	s_load_dwordx2 s[8:9], s[4:5], 0xb8
	s_waitcnt lgkmcnt(0)
	s_cmp_eq_u64 s[42:43], 0
	v_rcp_iflag_f32_e32 v2, v2
	v_mul_f32_e32 v2, 0x4f7ffffe, v2
	v_cvt_u32_f32_e32 v2, v2
	v_readfirstlane_b32 s12, v2
	s_cbranch_scc1 .LBB21_2
; %bb.1:
	s_abs_i32 s2, s8
	v_cvt_f32_u32_e32 v2, s2
	s_sub_i32 s13, 0, s2
	s_abs_i32 s8, s33
	s_ashr_i32 s3, s33, 31
	v_rcp_iflag_f32_e32 v2, v2
	s_load_dwordx2 s[0:1], s[4:5], 0xc8
	v_mul_f32_e32 v2, 0x4f7ffffe, v2
	v_cvt_u32_f32_e32 v2, v2
	v_readfirstlane_b32 s14, v2
	s_mul_i32 s13, s13, s14
	s_mul_hi_u32 s13, s14, s13
	s_add_i32 s14, s14, s13
	s_mul_hi_u32 s13, s8, s14
	s_mul_i32 s13, s13, s2
	s_sub_i32 s8, s8, s13
	s_sub_i32 s13, s8, s2
	s_cmp_ge_u32 s8, s2
	s_cselect_b32 s8, s13, s8
	s_sub_i32 s13, s8, s2
	s_cmp_ge_u32 s8, s2
	s_cselect_b32 s2, s13, s8
	s_xor_b32 s2, s2, s3
	s_sub_i32 s2, s2, s3
	s_ashr_i32 s3, s2, 31
	s_waitcnt lgkmcnt(0)
	s_mul_hi_u32 s8, s0, s2
	s_mul_i32 s3, s0, s3
	s_mul_i32 s1, s1, s2
	s_add_i32 s3, s8, s3
	s_add_i32 s3, s3, s1
	s_mul_i32 s0, s0, s2
	s_add_u32 s34, s42, s0
	s_addc_u32 s35, s43, s3
.LBB21_2:
	s_load_dwordx4 s[0:3], s[4:5], 0x70
	v_lshl_add_u32 v43, s6, 3, v1
	v_mul_hi_u32 v2, s24, v43
	v_mov_b32_e32 v19, 0x2400
	v_lshlrev_b32_e32 v72, 3, v42
	s_waitcnt lgkmcnt(0)
	s_mul_i32 s2, s33, s2
	v_add_u32_e32 v2, v43, v2
	s_ashr_i32 s8, s2, 31
	v_lshrrev_b32_e32 v2, s25, v2
	s_mul_i32 s3, s28, s1
	s_add_u32 s2, s36, s2
	v_mul_lo_u32 v2, v2, s26
	s_addc_u32 s8, s37, s8
	s_ashr_i32 s13, s3, 31
	s_add_u32 s16, s2, s3
	s_addc_u32 s8, s8, s13
	s_ashr_i32 s3, s0, 31
	s_mov_b32 s2, s0
	v_sub_u32_e32 v2, v43, v2
	s_lshr_b64 s[14:15], s[2:3], 2
	v_mad_u64_u32 v[3:4], s[14:15], s14, v2, 0
	s_lshr_b32 s0, s3, 2
	v_lshl_add_u32 v53, v1, 10, v19
	v_mad_u64_u32 v[4:5], s[2:3], s0, v2, v[4:5]
	v_mov_b32_e32 v5, s8
	s_ashr_i32 s3, s1, 31
	v_lshlrev_b64 v[3:4], 2, v[3:4]
	s_mov_b32 s2, s1
	v_add_co_u32_e32 v3, vcc, s16, v3
	v_addc_co_u32_e32 v4, vcc, v5, v4, vcc
	v_lshlrev_b32_e32 v5, 4, v42
	v_add_co_u32_e32 v15, vcc, v3, v5
	v_addc_co_u32_e32 v16, vcc, 0, v4, vcc
	s_and_b32 s0, s1, -4
	s_lshr_b64 s[14:15], s[2:3], 2
	v_mov_b32_e32 v8, s3
	v_add_co_u32_e32 v7, vcc, s0, v15
	v_addc_co_u32_e32 v8, vcc, v16, v8, vcc
	s_lshl_b64 s[0:1], s[14:15], 3
	v_mov_b32_e32 v12, s1
	v_add_co_u32_e32 v11, vcc, s0, v15
	global_load_dwordx4 v[3:6], v[15:16], off
	v_addc_co_u32_e32 v12, vcc, v16, v12, vcc
	v_mad_u64_u32 v[15:16], s[0:1], s14, 12, v[15:16]
	global_load_dwordx4 v[7:10], v[7:8], off
	v_add_u32_e32 v19, v53, v72
	v_mad_u64_u32 v[16:17], s[0:1], s3, 12, v[16:17]
	global_load_dwordx4 v[11:14], v[11:12], off
	s_load_dword s0, s[4:5], 0x40
	global_load_dwordx4 v[15:18], v[15:16], off
	s_cmp_eq_u64 s[46:47], 0
	s_waitcnt vmcnt(3) lgkmcnt(0)
	v_fma_mixlo_f16 v3, s0, v3, 0
	v_fma_mixlo_f16 v4, s0, v4, 0
	;; [unrolled: 1-line block ×4, first 2 shown]
	v_lshlrev_b32_e32 v4, 16, v4
	v_and_b32_e32 v3, 0xffff, v3
	v_lshlrev_b32_e32 v6, 16, v6
	v_and_b32_e32 v5, 0xffff, v5
	s_waitcnt vmcnt(2)
	v_fma_mixlo_f16 v7, s0, v7, 0
	v_fma_mixlo_f16 v8, s0, v8, 0
	v_fma_mixlo_f16 v9, s0, v9, 0
	v_fma_mixlo_f16 v10, s0, v10, 0
	v_or_b32_e32 v3, v4, v3
	v_or3_b32 v4, v6, v5, 0
	v_lshlrev_b32_e32 v5, 16, v8
	v_and_b32_e32 v6, 0xffff, v7
	v_lshlrev_b32_e32 v7, 16, v10
	v_and_b32_e32 v8, 0xffff, v9
	v_or_b32_e32 v5, v5, v6
	v_or3_b32 v3, 0, 0, v3
	v_or3_b32 v6, v7, v8, 0
	;; [unrolled: 1-line block ×3, first 2 shown]
	s_waitcnt vmcnt(1)
	v_fma_mixlo_f16 v11, s0, v11, 0
	v_fma_mixlo_f16 v12, s0, v12, 0
	ds_write2_b64 v19, v[3:4], v[5:6] offset1:32
	s_waitcnt vmcnt(0)
	v_fma_mixlo_f16 v3, s0, v15, 0
	v_fma_mixlo_f16 v4, s0, v16, 0
	;; [unrolled: 1-line block ×4, first 2 shown]
	v_lshlrev_b32_e32 v9, 16, v12
	v_and_b32_e32 v10, 0xffff, v11
	v_fma_mixlo_f16 v5, s0, v17, 0
	v_fma_mixlo_f16 v6, s0, v18, 0
	v_lshlrev_b32_e32 v4, 16, v4
	v_and_b32_e32 v3, 0xffff, v3
	v_lshlrev_b32_e32 v11, 16, v14
	v_and_b32_e32 v12, 0xffff, v13
	v_or_b32_e32 v7, v9, v10
	v_lshlrev_b32_e32 v6, 16, v6
	v_and_b32_e32 v5, 0xffff, v5
	v_or_b32_e32 v3, v4, v3
	v_or3_b32 v8, v11, v12, 0
	v_or3_b32 v7, 0, 0, v7
	;; [unrolled: 1-line block ×4, first 2 shown]
	ds_write2_b64 v19, v[7:8], v[3:4] offset0:64 offset1:96
	s_waitcnt lgkmcnt(0)
	s_barrier
	s_cbranch_scc1 .LBB21_4
; %bb.3:
	s_load_dword s0, s[4:5], 0xd0
	s_mov_b32 s1, 0
	s_waitcnt lgkmcnt(0)
	s_mul_i32 s0, s0, s33
	s_add_i32 s0, s0, s6
	s_lshl_b64 s[0:1], s[0:1], 2
	s_add_u32 s0, s46, s0
	s_addc_u32 s1, s47, s1
	s_load_dword s30, s[0:1], 0x0
.LBB21_4:
	s_lshl_b32 s6, s7, 6
	s_waitcnt lgkmcnt(0)
	s_cmp_lt_i32 s6, s30
	v_mbcnt_lo_u32_b32 v3, -1, 0
	s_cbranch_scc1 .LBB21_7
; %bb.5:
	v_mbcnt_hi_u32_b32 v54, -1, v3
	v_and_b32_e32 v4, 0x60, v54
	v_add_u32_e32 v55, 32, v4
	v_xor_b32_e32 v52, 16, v54
	v_xor_b32_e32 v60, 8, v54
	;; [unrolled: 1-line block ×5, first 2 shown]
	v_lshlrev_b32_e32 v44, 2, v42
	s_cbranch_execz .LBB21_8
; %bb.6:
	v_mov_b32_e32 v13, 0
	v_mov_b32_e32 v77, 0
	;; [unrolled: 1-line block ×16, first 2 shown]
	s_branch .LBB21_11
.LBB21_7:
                                        ; implicit-def: $vgpr54
                                        ; implicit-def: $vgpr55
                                        ; implicit-def: $vgpr52
                                        ; implicit-def: $vgpr60
                                        ; implicit-def: $vgpr59
                                        ; implicit-def: $vgpr57
                                        ; implicit-def: $vgpr58
	v_lshlrev_b32_e32 v44, 2, v42
.LBB21_8:
	s_sub_i32 s0, 0, s10
	s_mul_i32 s0, s0, s12
	buffer_store_dword v43, off, s[52:55], 0 offset:76 ; 4-byte Folded Spill
	s_mul_hi_u32 s0, s12, s0
	s_add_i32 s14, s12, s0
	s_load_dwordx2 s[12:13], s[4:5], 0x8c
	s_load_dwordx4 s[0:3], s[4:5], 0x98
	s_abs_i32 s8, s28
	s_ashr_i32 s17, s28, 31
	s_ashr_i32 s11, s11, 31
	s_waitcnt lgkmcnt(0)
	s_ashr_i32 s31, s12, 2
	s_ashr_i32 s29, s2, 2
	s_ashr_i32 s2, s9, 1
	s_ashr_i32 s9, s33, 31
	s_mul_hi_u32 s12, s0, s33
	s_mul_i32 s18, s0, s9
	s_add_i32 s12, s12, s18
	s_mul_i32 s1, s1, s33
	s_add_i32 s12, s12, s1
	s_mul_i32 s0, s0, s33
	s_mul_hi_u32 s16, s8, s14
	s_add_u32 s0, s38, s0
	s_addc_u32 s1, s39, s12
	s_mul_i32 s12, s16, s10
	s_sub_i32 s8, s8, s12
	s_xor_b32 s11, s17, s11
	s_add_i32 s12, s16, 1
	s_sub_i32 s17, s8, s10
	s_cmp_ge_u32 s8, s10
	s_cselect_b32 s12, s12, s16
	s_cselect_b32 s8, s17, s8
	s_add_i32 s16, s12, 1
	s_cmp_ge_u32 s8, s10
	s_cselect_b32 s8, s16, s12
	s_load_dwordx2 s[14:15], s[4:5], 0xa8
	s_xor_b32 s8, s8, s11
	s_sub_i32 s8, s8, s11
	s_mul_i32 s10, s8, s13
	s_ashr_i32 s11, s10, 31
	s_add_u32 s38, s0, s10
	s_addc_u32 s39, s1, s11
	s_waitcnt lgkmcnt(0)
	s_mul_hi_u32 s0, s14, s33
	s_mul_i32 s1, s14, s9
	s_add_i32 s0, s0, s1
	s_mul_i32 s1, s15, s33
	s_add_i32 s0, s0, s1
	s_mul_i32 s1, s14, s33
	s_add_u32 s1, s40, s1
	s_mul_i32 s8, s8, s3
	s_addc_u32 s0, s41, s0
	s_ashr_i32 s3, s8, 31
	s_add_u32 s40, s1, s8
	v_lshrrev_b32_e32 v4, 3, v42
	v_and_b32_e32 v12, 28, v44
	s_addc_u32 s41, s0, s3
	v_lshl_add_u32 v5, v1, 2, v4
	v_lshlrev_b32_e32 v6, 2, v12
	s_movk_i32 s0, 0x90
	v_mad_u32_u24 v0, v5, s0, v6
	v_mad_u64_u32 v[8:9], s[0:1], v2, s2, v[42:43]
	buffer_store_dword v0, off, s[52:55], 0 ; 4-byte Folded Spill
	v_add_u32_e32 v0, 0x1200, v0
	buffer_store_dword v0, off, s[52:55], 0 offset:4 ; 4-byte Folded Spill
	v_mov_b32_e32 v2, 0x4400
	v_mov_b32_e32 v0, v42
	buffer_store_dword v8, off, s[52:55], 0 offset:8 ; 4-byte Folded Spill
	s_nop 0
	buffer_store_dword v9, off, s[52:55], 0 offset:12 ; 4-byte Folded Spill
	v_lshl_add_u32 v64, v1, 9, v2
	buffer_store_dword v0, off, s[52:55], 0 offset:68 ; 4-byte Folded Spill
	s_nop 0
	buffer_store_dword v1, off, s[52:55], 0 offset:72 ; 4-byte Folded Spill
	v_mul_lo_u32 v4, s31, v5
	v_lshrrev_b32_e32 v2, 4, v42
	buffer_store_dword v44, off, s[52:55], 0 offset:80 ; 4-byte Folded Spill
	v_mbcnt_hi_u32_b32 v54, -1, v3
	v_ashrrev_i32_e32 v5, 31, v4
	v_lshl_add_u32 v6, s31, 5, v4
	v_lshlrev_b64 v[4:5], 2, v[4:5]
	v_ashrrev_i32_e32 v7, 31, v6
	v_and_b32_e32 v3, 0x60, v54
	v_add_u32_e32 v55, 32, v3
	s_add_u32 s36, s4, 0xd0
	v_mov_b32_e32 v15, 0
	v_mul_u32_u24_e32 v63, 0x90, v42
	s_addc_u32 s37, s5, 0
	v_xor_b32_e32 v52, 16, v54
	v_xor_b32_e32 v60, 8, v54
	;; [unrolled: 1-line block ×5, first 2 shown]
	s_mov_b32 s42, 0xc2ce8ed0
	s_mov_b32 s43, 0x42b17218
	v_mov_b32_e32 v69, 0x7f800000
	s_mov_b32 s46, 0x10001
	v_mov_b32_e32 v16, 0
	v_mov_b32_e32 v17, 0
	;; [unrolled: 1-line block ×11, first 2 shown]
	v_lshl_add_u32 v1, v1, 1, v2
	v_and_b32_e32 v2, 60, v44
	v_lshlrev_b32_e32 v9, 2, v2
	v_mul_lo_u32 v8, s29, v1
	v_lshl_or_b32 v0, v1, 8, v9
	buffer_store_dword v0, off, s[52:55], 0 offset:16 ; 4-byte Folded Spill
	buffer_store_dword v4, off, s[52:55], 0 offset:20 ; 4-byte Folded Spill
	s_nop 0
	buffer_store_dword v5, off, s[52:55], 0 offset:24 ; 4-byte Folded Spill
	v_lshlrev_b64 v[4:5], 2, v[6:7]
	v_lshlrev_b32_e32 v0, 2, v12
	v_ashrrev_i32_e32 v9, 31, v8
	buffer_store_dword v0, off, s[52:55], 0 offset:28 ; 4-byte Folded Spill
	buffer_store_dword v4, off, s[52:55], 0 offset:32 ; 4-byte Folded Spill
	s_nop 0
	buffer_store_dword v5, off, s[52:55], 0 offset:36 ; 4-byte Folded Spill
	v_mov_b32_e32 v0, s35
	buffer_store_dword v0, off, s[52:55], 0 offset:40 ; 4-byte Folded Spill
	v_add_u32_e32 v0, v64, v72
	v_lshlrev_b64 v[3:4], 2, v[8:9]
	buffer_store_dword v0, off, s[52:55], 0 offset:44 ; 4-byte Folded Spill
	v_add_u32_e32 v0, 0x800, v72
	buffer_store_dword v3, off, s[52:55], 0 offset:60 ; 4-byte Folded Spill
	s_nop 0
	buffer_store_dword v4, off, s[52:55], 0 offset:64 ; 4-byte Folded Spill
	buffer_store_dword v0, off, s[52:55], 0 offset:48 ; 4-byte Folded Spill
	v_add_u32_e32 v0, 0x1000, v72
	buffer_store_dword v0, off, s[52:55], 0 offset:52 ; 4-byte Folded Spill
	v_add_u32_e32 v0, 0x1800, v72
	buffer_store_dword v0, off, s[52:55], 0 offset:56 ; 4-byte Folded Spill
	buffer_load_dword v56, off, s[52:55], 0 offset:16 ; 4-byte Folded Reload
	buffer_load_dword v73, off, s[52:55], 0 offset:48 ; 4-byte Folded Reload
	;; [unrolled: 1-line block ×4, first 2 shown]
	v_lshl_add_u32 v10, s29, 4, v8
	v_ashrrev_i32_e32 v11, 31, v10
	v_lshlrev_b64 v[48:49], 2, v[10:11]
	v_mov_b32_e32 v1, 0xfeffffff
	s_mov_b32 s35, 0x3fb8aa3b
	v_lshlrev_b32_e32 v71, 2, v2
	v_mov_b32_e32 v2, 0xfeffffff
	v_mov_b32_e32 v3, 0xfeffffff
	;; [unrolled: 1-line block ×3, first 2 shown]
.LBB21_9:                               ; =>This Inner Loop Header: Depth=1
	v_mov_b32_e32 v30, v1
	buffer_load_dword v0, off, s[52:55], 0 offset:8 ; 4-byte Folded Reload
	buffer_load_dword v1, off, s[52:55], 0 offset:12 ; 4-byte Folded Reload
	v_cmp_lt_i32_e32 vcc, v52, v55
	v_cndmask_b32_e32 v5, v54, v52, vcc
	v_cmp_lt_i32_e32 vcc, v60, v55
	v_cndmask_b32_e32 v6, v54, v60, vcc
	;; [unrolled: 2-line block ×4, first 2 shown]
	v_mov_b32_e32 v33, v76
	v_mov_b32_e32 v34, v77
	v_lshlrev_b32_e32 v77, 2, v7
	v_lshlrev_b32_e32 v76, 2, v8
	buffer_load_dword v7, off, s[52:55], 0 offset:20 ; 4-byte Folded Reload
	buffer_load_dword v8, off, s[52:55], 0 offset:24 ; 4-byte Folded Reload
	s_mul_hi_i32 s1, s6, s31
	s_mul_i32 s0, s6, s31
	v_mov_b32_e32 v29, v2
	s_lshl_b64 s[0:1], s[0:1], 2
	s_add_u32 s8, s38, s0
	v_cmp_lt_i32_e32 vcc, v58, v55
	s_addc_u32 s0, s39, s1
	v_cndmask_b32_e32 v9, v54, v58, vcc
	v_mov_b32_e32 v31, v3
	v_mov_b32_e32 v40, v78
	v_lshlrev_b32_e32 v79, 2, v5
	v_lshlrev_b32_e32 v78, 2, v6
	v_mov_b32_e32 v5, s0
	v_mov_b32_e32 v32, v4
	;; [unrolled: 1-line block ×3, first 2 shown]
	v_lshlrev_b32_e32 v75, 2, v9
	v_mov_b32_e32 v19, 0
	v_mov_b32_e32 v20, 0
	;; [unrolled: 1-line block ×8, first 2 shown]
	s_mul_hi_i32 s3, s6, s29
	s_mul_i32 s2, s6, s29
	s_lshl_b64 s[2:3], s[2:3], 2
	s_add_u32 s2, s40, s2
	s_addc_u32 s3, s41, s3
	s_waitcnt vmcnt(7)
	v_add_u32_e32 v65, 0x1000, v56
	s_waitcnt vmcnt(2)
	v_add_u32_e32 v1, s6, v0
	buffer_load_dword v0, off, s[52:55], 0 offset:40 ; 4-byte Folded Reload
	v_ashrrev_i32_e32 v2, 31, v1
	v_lshlrev_b64 v[1:2], 1, v[1:2]
	s_waitcnt vmcnt(2)
	v_add_co_u32_e32 v6, vcc, s8, v7
	v_mov_b32_e32 v7, s0
	v_add_co_u32_e64 v3, s[0:1], s34, v1
	s_waitcnt vmcnt(0)
	v_addc_co_u32_e64 v4, s[0:1], v0, v2, s[0:1]
	buffer_load_dword v1, off, s[52:55], 0 offset:32 ; 4-byte Folded Reload
	buffer_load_dword v2, off, s[52:55], 0 offset:36 ; 4-byte Folded Reload
	;; [unrolled: 1-line block ×5, first 2 shown]
	s_waitcnt vmcnt(4)
	v_add_co_u32_e64 v1, s[0:1], s8, v1
	s_waitcnt vmcnt(3)
	v_addc_co_u32_e64 v2, s[0:1], v7, v2, s[0:1]
	s_waitcnt vmcnt(2)
	v_add_co_u32_e64 v7, s[0:1], v1, v0
	v_addc_co_u32_e32 v1, vcc, v5, v8, vcc
	v_add_co_u32_e32 v9, vcc, v6, v0
	v_addc_co_u32_e32 v10, vcc, 0, v1, vcc
	v_addc_co_u32_e64 v8, vcc, 0, v2, s[0:1]
	global_load_dwordx4 v[80:83], v[9:10], off
	global_load_dwordx4 v[84:87], v[7:8], off
	buffer_load_dword v0, off, s[52:55], 0  ; 4-byte Folded Reload
	buffer_load_dword v41, off, s[52:55], 0 offset:4 ; 4-byte Folded Reload
	v_mov_b32_e32 v1, s3
	v_add_co_u32_e32 v2, vcc, s2, v48
	v_mov_b32_e32 v5, s3
	s_waitcnt vmcnt(5)
	v_add_co_u32_e64 v6, s[0:1], s2, v36
	v_addc_co_u32_e32 v11, vcc, v1, v49, vcc
	s_or_b32 s8, s6, 32
	v_add_co_u32_e32 v1, vcc, v2, v71
	s_waitcnt vmcnt(4)
	v_addc_co_u32_e64 v2, s[0:1], v5, v37, s[0:1]
	s_mul_hi_i32 s3, s8, s29
	s_mul_i32 s2, s8, s29
	v_add_co_u32_e64 v5, s[0:1], v6, v71
	s_lshl_b64 s[2:3], s[2:3], 2
	v_addc_co_u32_e64 v6, s[0:1], 0, v2, s[0:1]
	s_add_u32 s0, s40, s2
	v_addc_co_u32_e32 v2, vcc, 0, v11, vcc
	s_addc_u32 s1, s41, s3
	v_mov_b32_e32 v11, s1
	v_mov_b32_e32 v12, s1
	v_add_co_u32_e32 v35, vcc, s0, v48
	v_add_co_u32_e64 v36, s[0:1], s0, v36
	v_addc_co_u32_e64 v11, s[0:1], v11, v37, s[0:1]
	v_addc_co_u32_e32 v12, vcc, v12, v49, vcc
	v_add_co_u32_e32 v35, vcc, v35, v71
	v_add_co_u32_e64 v37, s[0:1], v36, v71
	v_addc_co_u32_e64 v38, s[0:1], 0, v11, s[0:1]
	v_addc_co_u32_e32 v36, vcc, 0, v12, vcc
	s_waitcnt vmcnt(1)
	ds_write_b128 v0, v[80:83]
	s_waitcnt vmcnt(0)
	ds_write_b128 v41, v[84:87]
	s_waitcnt lgkmcnt(0)
	s_barrier
	ds_read_b128 v[80:83], v53
	ds_read_b128 v[84:87], v63
	ds_read_b128 v[88:91], v63 offset:4608
	ds_read_b128 v[92:95], v53 offset:256
	;; [unrolled: 1-line block ×4, first 2 shown]
	s_waitcnt lgkmcnt(4)
	;;#ASMSTART
	v_dot2_f32_f16 v19, v84, v80, v19
	;;#ASMEND
	;;#ASMSTART
	v_dot2_f32_f16 v19, v85, v81, v19
	;;#ASMEND
	;;#ASMSTART
	v_dot2_f32_f16 v19, v86, v82, v19
	;;#ASMEND
	;;#ASMSTART
	v_dot2_f32_f16 v19, v87, v83, v19
	;;#ASMEND
	s_waitcnt lgkmcnt(2)
	;;#ASMSTART
	v_dot2_f32_f16 v20, v84, v92, v20
	;;#ASMEND
	;;#ASMSTART
	v_dot2_f32_f16 v20, v85, v93, v20
	;;#ASMEND
	;;#ASMSTART
	v_dot2_f32_f16 v20, v86, v94, v20
	;;#ASMEND
	;;#ASMSTART
	v_dot2_f32_f16 v20, v87, v95, v20
	;;#ASMEND
	;; [unrolled: 13-line block ×4, first 2 shown]
	;;#ASMSTART
	v_dot2_f32_f16 v23, v88, v80, v23
	;;#ASMEND
	;;#ASMSTART
	v_dot2_f32_f16 v23, v89, v81, v23
	;;#ASMEND
	;; [unrolled: 3-line block ×16, first 2 shown]
	ds_read_b128 v[80:83], v53 offset:16
	ds_read_b128 v[84:87], v63 offset:16
	;; [unrolled: 1-line block ×6, first 2 shown]
	s_waitcnt lgkmcnt(4)
	;;#ASMSTART
	v_dot2_f32_f16 v19, v84, v80, v19
	;;#ASMEND
	;;#ASMSTART
	v_dot2_f32_f16 v19, v85, v81, v19
	;;#ASMEND
	;;#ASMSTART
	v_dot2_f32_f16 v19, v86, v82, v19
	;;#ASMEND
	;;#ASMSTART
	v_dot2_f32_f16 v19, v87, v83, v19
	;;#ASMEND
	s_waitcnt lgkmcnt(2)
	;;#ASMSTART
	v_dot2_f32_f16 v20, v84, v92, v20
	;;#ASMEND
	;;#ASMSTART
	v_dot2_f32_f16 v20, v85, v93, v20
	;;#ASMEND
	;;#ASMSTART
	v_dot2_f32_f16 v20, v86, v94, v20
	;;#ASMEND
	;;#ASMSTART
	v_dot2_f32_f16 v20, v87, v95, v20
	;;#ASMEND
	;; [unrolled: 13-line block ×4, first 2 shown]
	;;#ASMSTART
	v_dot2_f32_f16 v23, v88, v80, v23
	;;#ASMEND
	;;#ASMSTART
	v_dot2_f32_f16 v23, v89, v81, v23
	;;#ASMEND
	;; [unrolled: 3-line block ×16, first 2 shown]
	ds_read_b128 v[80:83], v53 offset:32
	ds_read_b128 v[84:87], v63 offset:32
	;; [unrolled: 1-line block ×6, first 2 shown]
	s_waitcnt lgkmcnt(4)
	;;#ASMSTART
	v_dot2_f32_f16 v19, v84, v80, v19
	;;#ASMEND
	;;#ASMSTART
	v_dot2_f32_f16 v19, v85, v81, v19
	;;#ASMEND
	;;#ASMSTART
	v_dot2_f32_f16 v19, v86, v82, v19
	;;#ASMEND
	;;#ASMSTART
	v_dot2_f32_f16 v19, v87, v83, v19
	;;#ASMEND
	s_waitcnt lgkmcnt(2)
	;;#ASMSTART
	v_dot2_f32_f16 v20, v84, v92, v20
	;;#ASMEND
	;;#ASMSTART
	v_dot2_f32_f16 v20, v85, v93, v20
	;;#ASMEND
	;;#ASMSTART
	v_dot2_f32_f16 v20, v86, v94, v20
	;;#ASMEND
	;;#ASMSTART
	v_dot2_f32_f16 v20, v87, v95, v20
	;;#ASMEND
	;; [unrolled: 13-line block ×4, first 2 shown]
	;;#ASMSTART
	v_dot2_f32_f16 v23, v88, v80, v23
	;;#ASMEND
	;;#ASMSTART
	v_dot2_f32_f16 v23, v89, v81, v23
	;;#ASMEND
	;;#ASMSTART
	v_dot2_f32_f16 v23, v90, v82, v23
	;;#ASMEND
	;;#ASMSTART
	v_dot2_f32_f16 v23, v91, v83, v23
	;;#ASMEND
	;;#ASMSTART
	v_dot2_f32_f16 v24, v88, v92, v24
	;;#ASMEND
	;;#ASMSTART
	v_dot2_f32_f16 v24, v89, v93, v24
	;;#ASMEND
	;;#ASMSTART
	v_dot2_f32_f16 v24, v90, v94, v24
	;;#ASMEND
	;;#ASMSTART
	v_dot2_f32_f16 v24, v91, v95, v24
	;;#ASMEND
	;;#ASMSTART
	v_dot2_f32_f16 v25, v88, v96, v25
	;;#ASMEND
	;;#ASMSTART
	v_dot2_f32_f16 v25, v89, v97, v25
	;;#ASMEND
	;;#ASMSTART
	v_dot2_f32_f16 v25, v90, v98, v25
	;;#ASMEND
	;;#ASMSTART
	v_dot2_f32_f16 v25, v91, v99, v25
	;;#ASMEND
	;;#ASMSTART
	v_dot2_f32_f16 v26, v88, v100, v26
	;;#ASMEND
	;;#ASMSTART
	v_dot2_f32_f16 v26, v89, v101, v26
	;;#ASMEND
	;;#ASMSTART
	v_dot2_f32_f16 v26, v90, v102, v26
	;;#ASMEND
	;;#ASMSTART
	v_dot2_f32_f16 v26, v91, v103, v26
	;;#ASMEND
	ds_read_b128 v[80:83], v53 offset:48
	ds_read_b128 v[84:87], v63 offset:48
	ds_read_b128 v[88:91], v63 offset:4656
	ds_read_b128 v[92:95], v53 offset:304
	ds_read_b128 v[96:99], v53 offset:560
	ds_read_b128 v[100:103], v53 offset:816
	s_waitcnt lgkmcnt(4)
	;;#ASMSTART
	v_dot2_f32_f16 v19, v84, v80, v19
	;;#ASMEND
	;;#ASMSTART
	v_dot2_f32_f16 v19, v85, v81, v19
	;;#ASMEND
	;;#ASMSTART
	v_dot2_f32_f16 v19, v86, v82, v19
	;;#ASMEND
	;;#ASMSTART
	v_dot2_f32_f16 v19, v87, v83, v19
	;;#ASMEND
	s_waitcnt lgkmcnt(2)
	;;#ASMSTART
	v_dot2_f32_f16 v20, v84, v92, v20
	;;#ASMEND
	;;#ASMSTART
	v_dot2_f32_f16 v20, v85, v93, v20
	;;#ASMEND
	;;#ASMSTART
	v_dot2_f32_f16 v20, v86, v94, v20
	;;#ASMEND
	;;#ASMSTART
	v_dot2_f32_f16 v20, v87, v95, v20
	;;#ASMEND
	;; [unrolled: 13-line block ×4, first 2 shown]
	;;#ASMSTART
	v_dot2_f32_f16 v23, v88, v80, v23
	;;#ASMEND
	;;#ASMSTART
	v_dot2_f32_f16 v23, v89, v81, v23
	;;#ASMEND
	;; [unrolled: 3-line block ×16, first 2 shown]
	ds_read_b128 v[80:83], v53 offset:64
	ds_read_b128 v[84:87], v63 offset:64
	;; [unrolled: 1-line block ×6, first 2 shown]
	s_waitcnt lgkmcnt(4)
	;;#ASMSTART
	v_dot2_f32_f16 v19, v84, v80, v19
	;;#ASMEND
	;;#ASMSTART
	v_dot2_f32_f16 v19, v85, v81, v19
	;;#ASMEND
	;;#ASMSTART
	v_dot2_f32_f16 v19, v86, v82, v19
	;;#ASMEND
	;;#ASMSTART
	v_dot2_f32_f16 v19, v87, v83, v19
	;;#ASMEND
	s_waitcnt lgkmcnt(2)
	;;#ASMSTART
	v_dot2_f32_f16 v20, v84, v92, v20
	;;#ASMEND
	;;#ASMSTART
	v_dot2_f32_f16 v20, v85, v93, v20
	;;#ASMEND
	;;#ASMSTART
	v_dot2_f32_f16 v20, v86, v94, v20
	;;#ASMEND
	;;#ASMSTART
	v_dot2_f32_f16 v20, v87, v95, v20
	;;#ASMEND
	;; [unrolled: 13-line block ×4, first 2 shown]
	;;#ASMSTART
	v_dot2_f32_f16 v23, v88, v80, v23
	;;#ASMEND
	;;#ASMSTART
	v_dot2_f32_f16 v23, v89, v81, v23
	;;#ASMEND
	;; [unrolled: 3-line block ×16, first 2 shown]
	ds_read_b128 v[80:83], v53 offset:80
	ds_read_b128 v[84:87], v63 offset:80
	;; [unrolled: 1-line block ×6, first 2 shown]
	s_waitcnt lgkmcnt(4)
	;;#ASMSTART
	v_dot2_f32_f16 v19, v84, v80, v19
	;;#ASMEND
	;;#ASMSTART
	v_dot2_f32_f16 v19, v85, v81, v19
	;;#ASMEND
	;;#ASMSTART
	v_dot2_f32_f16 v19, v86, v82, v19
	;;#ASMEND
	;;#ASMSTART
	v_dot2_f32_f16 v19, v87, v83, v19
	;;#ASMEND
	s_waitcnt lgkmcnt(2)
	;;#ASMSTART
	v_dot2_f32_f16 v20, v84, v92, v20
	;;#ASMEND
	;;#ASMSTART
	v_dot2_f32_f16 v20, v85, v93, v20
	;;#ASMEND
	;;#ASMSTART
	v_dot2_f32_f16 v20, v86, v94, v20
	;;#ASMEND
	;;#ASMSTART
	v_dot2_f32_f16 v20, v87, v95, v20
	;;#ASMEND
	;; [unrolled: 13-line block ×4, first 2 shown]
	;;#ASMSTART
	v_dot2_f32_f16 v23, v88, v80, v23
	;;#ASMEND
	;;#ASMSTART
	v_dot2_f32_f16 v23, v89, v81, v23
	;;#ASMEND
	;; [unrolled: 3-line block ×16, first 2 shown]
	ds_read_b128 v[80:83], v53 offset:96
	ds_read_b128 v[84:87], v63 offset:96
	;; [unrolled: 1-line block ×6, first 2 shown]
	s_waitcnt lgkmcnt(4)
	;;#ASMSTART
	v_dot2_f32_f16 v19, v84, v80, v19
	;;#ASMEND
	;;#ASMSTART
	v_dot2_f32_f16 v19, v85, v81, v19
	;;#ASMEND
	;;#ASMSTART
	v_dot2_f32_f16 v19, v86, v82, v19
	;;#ASMEND
	;;#ASMSTART
	v_dot2_f32_f16 v19, v87, v83, v19
	;;#ASMEND
	s_waitcnt lgkmcnt(2)
	;;#ASMSTART
	v_dot2_f32_f16 v20, v84, v92, v20
	;;#ASMEND
	;;#ASMSTART
	v_dot2_f32_f16 v20, v85, v93, v20
	;;#ASMEND
	;;#ASMSTART
	v_dot2_f32_f16 v20, v86, v94, v20
	;;#ASMEND
	;;#ASMSTART
	v_dot2_f32_f16 v20, v87, v95, v20
	;;#ASMEND
	;; [unrolled: 13-line block ×4, first 2 shown]
	;;#ASMSTART
	v_dot2_f32_f16 v23, v88, v80, v23
	;;#ASMEND
	;;#ASMSTART
	v_dot2_f32_f16 v23, v89, v81, v23
	;;#ASMEND
	;; [unrolled: 3-line block ×16, first 2 shown]
	ds_read_b128 v[80:83], v53 offset:112
	ds_read_b128 v[84:87], v63 offset:112
	;; [unrolled: 1-line block ×6, first 2 shown]
	s_waitcnt lgkmcnt(4)
	;;#ASMSTART
	v_dot2_f32_f16 v19, v84, v80, v19
	;;#ASMEND
	;;#ASMSTART
	v_dot2_f32_f16 v19, v85, v81, v19
	;;#ASMEND
	;;#ASMSTART
	v_dot2_f32_f16 v19, v86, v82, v19
	;;#ASMEND
	;;#ASMSTART
	v_dot2_f32_f16 v19, v87, v83, v19
	;;#ASMEND
	s_waitcnt lgkmcnt(2)
	;;#ASMSTART
	v_dot2_f32_f16 v20, v84, v92, v20
	;;#ASMEND
	;;#ASMSTART
	v_dot2_f32_f16 v20, v85, v93, v20
	;;#ASMEND
	;;#ASMSTART
	v_dot2_f32_f16 v20, v86, v94, v20
	;;#ASMEND
	;;#ASMSTART
	v_dot2_f32_f16 v20, v87, v95, v20
	;;#ASMEND
	;; [unrolled: 13-line block ×4, first 2 shown]
	;;#ASMSTART
	v_dot2_f32_f16 v23, v88, v80, v23
	;;#ASMEND
	;;#ASMSTART
	v_dot2_f32_f16 v23, v89, v81, v23
	;;#ASMEND
	;; [unrolled: 3-line block ×16, first 2 shown]
	s_barrier
	global_load_dwordx4 v[9:12], v[9:10], off offset:128
	s_nop 0
	global_load_dwordx4 v[80:83], v[7:8], off offset:128
	s_waitcnt vmcnt(1)
	ds_write_b128 v0, v[9:12]
	s_waitcnt vmcnt(0)
	ds_write_b128 v41, v[80:83]
	s_waitcnt lgkmcnt(0)
	s_barrier
	ds_read_b128 v[7:10], v53 offset:128
	ds_read_b128 v[80:83], v63
	ds_read_b128 v[84:87], v63 offset:4608
	ds_read_b128 v[88:91], v53 offset:384
	ds_read_b128 v[92:95], v53 offset:640
	ds_read_b128 v[96:99], v53 offset:896
	s_waitcnt lgkmcnt(4)
	;;#ASMSTART
	v_dot2_f32_f16 v19, v80, v7, v19
	;;#ASMEND
	;;#ASMSTART
	v_dot2_f32_f16 v19, v81, v8, v19
	;;#ASMEND
	;;#ASMSTART
	v_dot2_f32_f16 v19, v82, v9, v19
	;;#ASMEND
	;;#ASMSTART
	v_dot2_f32_f16 v19, v83, v10, v19
	;;#ASMEND
	s_waitcnt lgkmcnt(2)
	;;#ASMSTART
	v_dot2_f32_f16 v20, v80, v88, v20
	;;#ASMEND
	;;#ASMSTART
	v_dot2_f32_f16 v20, v81, v89, v20
	;;#ASMEND
	;;#ASMSTART
	v_dot2_f32_f16 v20, v82, v90, v20
	;;#ASMEND
	;;#ASMSTART
	v_dot2_f32_f16 v20, v83, v91, v20
	;;#ASMEND
	;; [unrolled: 13-line block ×4, first 2 shown]
	;;#ASMSTART
	v_dot2_f32_f16 v23, v84, v7, v23
	;;#ASMEND
	;;#ASMSTART
	v_dot2_f32_f16 v23, v85, v8, v23
	;;#ASMEND
	;;#ASMSTART
	v_dot2_f32_f16 v23, v86, v9, v23
	;;#ASMEND
	;;#ASMSTART
	v_dot2_f32_f16 v23, v87, v10, v23
	;;#ASMEND
	;;#ASMSTART
	v_dot2_f32_f16 v24, v84, v88, v24
	;;#ASMEND
	;;#ASMSTART
	v_dot2_f32_f16 v24, v85, v89, v24
	;;#ASMEND
	;;#ASMSTART
	v_dot2_f32_f16 v24, v86, v90, v24
	;;#ASMEND
	;;#ASMSTART
	v_dot2_f32_f16 v24, v87, v91, v24
	;;#ASMEND
	;;#ASMSTART
	v_dot2_f32_f16 v25, v84, v92, v25
	;;#ASMEND
	;;#ASMSTART
	v_dot2_f32_f16 v25, v85, v93, v25
	;;#ASMEND
	;;#ASMSTART
	v_dot2_f32_f16 v25, v86, v94, v25
	;;#ASMEND
	;;#ASMSTART
	v_dot2_f32_f16 v25, v87, v95, v25
	;;#ASMEND
	;;#ASMSTART
	v_dot2_f32_f16 v26, v84, v96, v26
	;;#ASMEND
	;;#ASMSTART
	v_dot2_f32_f16 v26, v85, v97, v26
	;;#ASMEND
	;;#ASMSTART
	v_dot2_f32_f16 v26, v86, v98, v26
	;;#ASMEND
	;;#ASMSTART
	v_dot2_f32_f16 v26, v87, v99, v26
	;;#ASMEND
	ds_read_b128 v[7:10], v53 offset:144
	ds_read_b128 v[80:83], v63 offset:16
	ds_read_b128 v[84:87], v63 offset:4624
	ds_read_b128 v[88:91], v53 offset:400
	ds_read_b128 v[92:95], v53 offset:656
	ds_read_b128 v[96:99], v53 offset:912
	s_waitcnt lgkmcnt(4)
	;;#ASMSTART
	v_dot2_f32_f16 v19, v80, v7, v19
	;;#ASMEND
	;;#ASMSTART
	v_dot2_f32_f16 v19, v81, v8, v19
	;;#ASMEND
	;;#ASMSTART
	v_dot2_f32_f16 v19, v82, v9, v19
	;;#ASMEND
	;;#ASMSTART
	v_dot2_f32_f16 v19, v83, v10, v19
	;;#ASMEND
	s_waitcnt lgkmcnt(2)
	;;#ASMSTART
	v_dot2_f32_f16 v20, v80, v88, v20
	;;#ASMEND
	;;#ASMSTART
	v_dot2_f32_f16 v20, v81, v89, v20
	;;#ASMEND
	;;#ASMSTART
	v_dot2_f32_f16 v20, v82, v90, v20
	;;#ASMEND
	;;#ASMSTART
	v_dot2_f32_f16 v20, v83, v91, v20
	;;#ASMEND
	s_waitcnt lgkmcnt(1)
	;;#ASMSTART
	v_dot2_f32_f16 v21, v80, v92, v21
	;;#ASMEND
	;;#ASMSTART
	v_dot2_f32_f16 v21, v81, v93, v21
	;;#ASMEND
	;;#ASMSTART
	v_dot2_f32_f16 v21, v82, v94, v21
	;;#ASMEND
	;;#ASMSTART
	v_dot2_f32_f16 v21, v83, v95, v21
	;;#ASMEND
	s_waitcnt lgkmcnt(0)
	;;#ASMSTART
	v_dot2_f32_f16 v22, v80, v96, v22
	;;#ASMEND
	;;#ASMSTART
	v_dot2_f32_f16 v22, v81, v97, v22
	;;#ASMEND
	;;#ASMSTART
	v_dot2_f32_f16 v22, v82, v98, v22
	;;#ASMEND
	;;#ASMSTART
	v_dot2_f32_f16 v22, v83, v99, v22
	;;#ASMEND
	;;#ASMSTART
	v_dot2_f32_f16 v23, v84, v7, v23
	;;#ASMEND
	;;#ASMSTART
	v_dot2_f32_f16 v23, v85, v8, v23
	;;#ASMEND
	;; [unrolled: 3-line block ×16, first 2 shown]
	ds_read_b128 v[7:10], v53 offset:160
	ds_read_b128 v[80:83], v63 offset:32
	;; [unrolled: 1-line block ×6, first 2 shown]
	s_waitcnt lgkmcnt(4)
	;;#ASMSTART
	v_dot2_f32_f16 v19, v80, v7, v19
	;;#ASMEND
	;;#ASMSTART
	v_dot2_f32_f16 v19, v81, v8, v19
	;;#ASMEND
	;;#ASMSTART
	v_dot2_f32_f16 v19, v82, v9, v19
	;;#ASMEND
	;;#ASMSTART
	v_dot2_f32_f16 v19, v83, v10, v19
	;;#ASMEND
	s_waitcnt lgkmcnt(2)
	;;#ASMSTART
	v_dot2_f32_f16 v20, v80, v88, v20
	;;#ASMEND
	;;#ASMSTART
	v_dot2_f32_f16 v20, v81, v89, v20
	;;#ASMEND
	;;#ASMSTART
	v_dot2_f32_f16 v20, v82, v90, v20
	;;#ASMEND
	;;#ASMSTART
	v_dot2_f32_f16 v20, v83, v91, v20
	;;#ASMEND
	;; [unrolled: 13-line block ×4, first 2 shown]
	;;#ASMSTART
	v_dot2_f32_f16 v23, v84, v7, v23
	;;#ASMEND
	;;#ASMSTART
	v_dot2_f32_f16 v23, v85, v8, v23
	;;#ASMEND
	;;#ASMSTART
	v_dot2_f32_f16 v23, v86, v9, v23
	;;#ASMEND
	;;#ASMSTART
	v_dot2_f32_f16 v23, v87, v10, v23
	;;#ASMEND
	;;#ASMSTART
	v_dot2_f32_f16 v24, v84, v88, v24
	;;#ASMEND
	;;#ASMSTART
	v_dot2_f32_f16 v24, v85, v89, v24
	;;#ASMEND
	;;#ASMSTART
	v_dot2_f32_f16 v24, v86, v90, v24
	;;#ASMEND
	;;#ASMSTART
	v_dot2_f32_f16 v24, v87, v91, v24
	;;#ASMEND
	;;#ASMSTART
	v_dot2_f32_f16 v25, v84, v92, v25
	;;#ASMEND
	;;#ASMSTART
	v_dot2_f32_f16 v25, v85, v93, v25
	;;#ASMEND
	;;#ASMSTART
	v_dot2_f32_f16 v25, v86, v94, v25
	;;#ASMEND
	;;#ASMSTART
	v_dot2_f32_f16 v25, v87, v95, v25
	;;#ASMEND
	;;#ASMSTART
	v_dot2_f32_f16 v26, v84, v96, v26
	;;#ASMEND
	;;#ASMSTART
	v_dot2_f32_f16 v26, v85, v97, v26
	;;#ASMEND
	;;#ASMSTART
	v_dot2_f32_f16 v26, v86, v98, v26
	;;#ASMEND
	;;#ASMSTART
	v_dot2_f32_f16 v26, v87, v99, v26
	;;#ASMEND
	ds_read_b128 v[7:10], v53 offset:176
	ds_read_b128 v[80:83], v63 offset:48
	;; [unrolled: 1-line block ×6, first 2 shown]
	s_waitcnt lgkmcnt(4)
	;;#ASMSTART
	v_dot2_f32_f16 v19, v80, v7, v19
	;;#ASMEND
	;;#ASMSTART
	v_dot2_f32_f16 v19, v81, v8, v19
	;;#ASMEND
	;;#ASMSTART
	v_dot2_f32_f16 v19, v82, v9, v19
	;;#ASMEND
	;;#ASMSTART
	v_dot2_f32_f16 v19, v83, v10, v19
	;;#ASMEND
	s_waitcnt lgkmcnt(2)
	;;#ASMSTART
	v_dot2_f32_f16 v20, v80, v88, v20
	;;#ASMEND
	;;#ASMSTART
	v_dot2_f32_f16 v20, v81, v89, v20
	;;#ASMEND
	;;#ASMSTART
	v_dot2_f32_f16 v20, v82, v90, v20
	;;#ASMEND
	;;#ASMSTART
	v_dot2_f32_f16 v20, v83, v91, v20
	;;#ASMEND
	;; [unrolled: 13-line block ×4, first 2 shown]
	;;#ASMSTART
	v_dot2_f32_f16 v23, v84, v7, v23
	;;#ASMEND
	;;#ASMSTART
	v_dot2_f32_f16 v23, v85, v8, v23
	;;#ASMEND
	;;#ASMSTART
	v_dot2_f32_f16 v23, v86, v9, v23
	;;#ASMEND
	;;#ASMSTART
	v_dot2_f32_f16 v23, v87, v10, v23
	;;#ASMEND
	;;#ASMSTART
	v_dot2_f32_f16 v24, v84, v88, v24
	;;#ASMEND
	;;#ASMSTART
	v_dot2_f32_f16 v24, v85, v89, v24
	;;#ASMEND
	;;#ASMSTART
	v_dot2_f32_f16 v24, v86, v90, v24
	;;#ASMEND
	;;#ASMSTART
	v_dot2_f32_f16 v24, v87, v91, v24
	;;#ASMEND
	;;#ASMSTART
	v_dot2_f32_f16 v25, v84, v92, v25
	;;#ASMEND
	;;#ASMSTART
	v_dot2_f32_f16 v25, v85, v93, v25
	;;#ASMEND
	;;#ASMSTART
	v_dot2_f32_f16 v25, v86, v94, v25
	;;#ASMEND
	;;#ASMSTART
	v_dot2_f32_f16 v25, v87, v95, v25
	;;#ASMEND
	;;#ASMSTART
	v_dot2_f32_f16 v26, v84, v96, v26
	;;#ASMEND
	;;#ASMSTART
	v_dot2_f32_f16 v26, v85, v97, v26
	;;#ASMEND
	;;#ASMSTART
	v_dot2_f32_f16 v26, v86, v98, v26
	;;#ASMEND
	;;#ASMSTART
	v_dot2_f32_f16 v26, v87, v99, v26
	;;#ASMEND
	ds_read_b128 v[7:10], v53 offset:192
	ds_read_b128 v[80:83], v63 offset:64
	;; [unrolled: 1-line block ×6, first 2 shown]
	s_waitcnt lgkmcnt(4)
	;;#ASMSTART
	v_dot2_f32_f16 v19, v80, v7, v19
	;;#ASMEND
	;;#ASMSTART
	v_dot2_f32_f16 v19, v81, v8, v19
	;;#ASMEND
	;;#ASMSTART
	v_dot2_f32_f16 v19, v82, v9, v19
	;;#ASMEND
	;;#ASMSTART
	v_dot2_f32_f16 v19, v83, v10, v19
	;;#ASMEND
	s_waitcnt lgkmcnt(2)
	;;#ASMSTART
	v_dot2_f32_f16 v20, v80, v88, v20
	;;#ASMEND
	;;#ASMSTART
	v_dot2_f32_f16 v20, v81, v89, v20
	;;#ASMEND
	;;#ASMSTART
	v_dot2_f32_f16 v20, v82, v90, v20
	;;#ASMEND
	;;#ASMSTART
	v_dot2_f32_f16 v20, v83, v91, v20
	;;#ASMEND
	;; [unrolled: 13-line block ×4, first 2 shown]
	;;#ASMSTART
	v_dot2_f32_f16 v23, v84, v7, v23
	;;#ASMEND
	;;#ASMSTART
	v_dot2_f32_f16 v23, v85, v8, v23
	;;#ASMEND
	;; [unrolled: 3-line block ×16, first 2 shown]
	ds_read_b128 v[7:10], v53 offset:208
	ds_read_b128 v[80:83], v63 offset:80
	;; [unrolled: 1-line block ×6, first 2 shown]
	s_waitcnt lgkmcnt(4)
	;;#ASMSTART
	v_dot2_f32_f16 v19, v80, v7, v19
	;;#ASMEND
	;;#ASMSTART
	v_dot2_f32_f16 v19, v81, v8, v19
	;;#ASMEND
	;;#ASMSTART
	v_dot2_f32_f16 v19, v82, v9, v19
	;;#ASMEND
	;;#ASMSTART
	v_dot2_f32_f16 v19, v83, v10, v19
	;;#ASMEND
	s_waitcnt lgkmcnt(2)
	;;#ASMSTART
	v_dot2_f32_f16 v20, v80, v88, v20
	;;#ASMEND
	;;#ASMSTART
	v_dot2_f32_f16 v20, v81, v89, v20
	;;#ASMEND
	;;#ASMSTART
	v_dot2_f32_f16 v20, v82, v90, v20
	;;#ASMEND
	;;#ASMSTART
	v_dot2_f32_f16 v20, v83, v91, v20
	;;#ASMEND
	;; [unrolled: 13-line block ×4, first 2 shown]
	;;#ASMSTART
	v_dot2_f32_f16 v23, v84, v7, v23
	;;#ASMEND
	;;#ASMSTART
	v_dot2_f32_f16 v23, v85, v8, v23
	;;#ASMEND
	;; [unrolled: 3-line block ×16, first 2 shown]
	ds_read_b128 v[7:10], v53 offset:224
	ds_read_b128 v[80:83], v63 offset:96
	;; [unrolled: 1-line block ×6, first 2 shown]
	s_waitcnt lgkmcnt(4)
	;;#ASMSTART
	v_dot2_f32_f16 v19, v80, v7, v19
	;;#ASMEND
	;;#ASMSTART
	v_dot2_f32_f16 v19, v81, v8, v19
	;;#ASMEND
	;;#ASMSTART
	v_dot2_f32_f16 v19, v82, v9, v19
	;;#ASMEND
	;;#ASMSTART
	v_dot2_f32_f16 v19, v83, v10, v19
	;;#ASMEND
	s_waitcnt lgkmcnt(2)
	;;#ASMSTART
	v_dot2_f32_f16 v20, v80, v88, v20
	;;#ASMEND
	;;#ASMSTART
	v_dot2_f32_f16 v20, v81, v89, v20
	;;#ASMEND
	;;#ASMSTART
	v_dot2_f32_f16 v20, v82, v90, v20
	;;#ASMEND
	;;#ASMSTART
	v_dot2_f32_f16 v20, v83, v91, v20
	;;#ASMEND
	;; [unrolled: 13-line block ×4, first 2 shown]
	;;#ASMSTART
	v_dot2_f32_f16 v23, v84, v7, v23
	;;#ASMEND
	;;#ASMSTART
	v_dot2_f32_f16 v23, v85, v8, v23
	;;#ASMEND
	;; [unrolled: 3-line block ×16, first 2 shown]
	ds_read_b128 v[7:10], v53 offset:240
	ds_read_b128 v[80:83], v63 offset:112
	;; [unrolled: 1-line block ×6, first 2 shown]
	s_waitcnt lgkmcnt(4)
	;;#ASMSTART
	v_dot2_f32_f16 v19, v80, v7, v19
	;;#ASMEND
	;;#ASMSTART
	v_dot2_f32_f16 v19, v81, v8, v19
	;;#ASMEND
	;;#ASMSTART
	v_dot2_f32_f16 v19, v82, v9, v19
	;;#ASMEND
	;;#ASMSTART
	v_dot2_f32_f16 v19, v83, v10, v19
	;;#ASMEND
	s_waitcnt lgkmcnt(2)
	;;#ASMSTART
	v_dot2_f32_f16 v20, v80, v88, v20
	;;#ASMEND
	;;#ASMSTART
	v_dot2_f32_f16 v20, v81, v89, v20
	;;#ASMEND
	;;#ASMSTART
	v_dot2_f32_f16 v20, v82, v90, v20
	;;#ASMEND
	;;#ASMSTART
	v_dot2_f32_f16 v20, v83, v91, v20
	;;#ASMEND
	;; [unrolled: 13-line block ×4, first 2 shown]
	;;#ASMSTART
	v_dot2_f32_f16 v23, v84, v7, v23
	;;#ASMEND
	;;#ASMSTART
	v_dot2_f32_f16 v23, v85, v8, v23
	;;#ASMEND
	;; [unrolled: 3-line block ×16, first 2 shown]
	global_load_ushort v80, v[3:4], off
	s_nop 0
	global_load_ushort v3, v[3:4], off offset:64
	s_waitcnt vmcnt(0)
	s_barrier
	global_load_dwordx4 v[5:8], v[5:6], off
	s_nop 0
	global_load_dwordx4 v[9:12], v[1:2], off
	buffer_load_dword v0, off, s[52:55], 0 offset:44 ; 4-byte Folded Reload
	v_cvt_f32_f16_e32 v1, v80
	v_cvt_f32_f16_e32 v2, v3
	v_add_f32_e32 v19, v19, v1
	v_add_f32_e32 v23, v23, v2
	;; [unrolled: 1-line block ×16, first 2 shown]
	v_max3_f32 v1, v30, v1, v2
	v_max3_f32 v2, v29, v3, v4
	;; [unrolled: 1-line block ×4, first 2 shown]
	ds_bpermute_b32 v80, v79, v1
	ds_bpermute_b32 v81, v79, v2
	ds_bpermute_b32 v82, v79, v3
	ds_bpermute_b32 v79, v79, v4
	s_waitcnt lgkmcnt(3)
	v_max_f32_e32 v80, v80, v80
	s_waitcnt lgkmcnt(2)
	v_max_f32_e32 v81, v81, v81
	s_waitcnt lgkmcnt(1)
	v_max_f32_e32 v82, v82, v82
	s_waitcnt lgkmcnt(0)
	v_max_f32_e32 v79, v79, v79
	v_max_f32_e32 v1, v1, v80
	v_max_f32_e32 v2, v2, v81
	v_max_f32_e32 v3, v3, v82
	v_max_f32_e32 v4, v4, v79
	ds_bpermute_b32 v79, v78, v1
	ds_bpermute_b32 v80, v78, v2
	ds_bpermute_b32 v81, v78, v3
	ds_bpermute_b32 v78, v78, v4
	s_waitcnt lgkmcnt(3)
	v_max_f32_e32 v79, v79, v79
	s_waitcnt lgkmcnt(2)
	v_max_f32_e32 v80, v80, v80
	s_waitcnt lgkmcnt(1)
	v_max_f32_e32 v81, v81, v81
	s_waitcnt lgkmcnt(0)
	v_max_f32_e32 v78, v78, v78
	v_max_f32_e32 v1, v1, v79
	v_max_f32_e32 v2, v2, v80
	v_max_f32_e32 v3, v3, v81
	v_max_f32_e32 v4, v4, v78
	;; [unrolled: 16-line block ×5, first 2 shown]
	v_sub_f32_e32 v30, v30, v1
	v_sub_f32_e32 v19, v19, v1
	;; [unrolled: 1-line block ×12, first 2 shown]
	v_mul_f32_e32 v75, 0x3fb8aa3b, v19
	v_mul_f32_e32 v76, 0x3fb8aa3b, v23
	;; [unrolled: 1-line block ×12, first 2 shown]
	v_fma_f32 v87, v19, s35, -v75
	v_fma_f32 v88, v23, s35, -v76
	;; [unrolled: 1-line block ×12, first 2 shown]
	v_rndne_f32_e32 v99, v75
	v_rndne_f32_e32 v100, v76
	;; [unrolled: 1-line block ×12, first 2 shown]
	v_fmac_f32_e32 v87, 0x32a5705f, v19
	v_fmac_f32_e32 v88, 0x32a5705f, v23
	;; [unrolled: 1-line block ×12, first 2 shown]
	v_sub_f32_e32 v75, v75, v99
	v_sub_f32_e32 v76, v76, v100
	;; [unrolled: 1-line block ×12, first 2 shown]
	v_add_f32_e32 v75, v75, v87
	v_add_f32_e32 v76, v76, v88
	;; [unrolled: 1-line block ×12, first 2 shown]
	v_cvt_i32_f32_e32 v99, v99
	v_cvt_i32_f32_e32 v100, v100
	;; [unrolled: 1-line block ×12, first 2 shown]
	v_exp_f32_e32 v75, v75
	v_exp_f32_e32 v76, v76
	;; [unrolled: 1-line block ×12, first 2 shown]
	v_ldexp_f32 v77, v77, v101
	v_cmp_ngt_f32_e32 vcc, s42, v30
	v_ldexp_f32 v75, v75, v99
	v_cmp_ngt_f32_e64 s[0:1], s42, v19
	v_ldexp_f32 v78, v78, v102
	v_cmp_ngt_f32_e64 s[2:3], s42, v20
	;; [unrolled: 2-line block ×11, first 2 shown]
	v_cndmask_b32_e64 v76, 0, v76, s[24:25]
	v_cmp_nlt_f32_e64 s[24:25], s43, v23
	v_cndmask_b32_e32 v23, 0, v77, vcc
	v_cmp_nlt_f32_e32 vcc, s43, v30
	v_cndmask_b32_e64 v30, 0, v78, s[2:3]
	v_cmp_nlt_f32_e64 s[2:3], s43, v20
	v_cndmask_b32_e64 v20, 0, v79, s[8:9]
	v_cmp_nlt_f32_e64 s[8:9], s43, v24
	;; [unrolled: 2-line block ×10, first 2 shown]
	v_cndmask_b32_e64 v19, v69, v32, s[0:1]
	v_cndmask_b32_e64 v32, v69, v76, s[24:25]
	v_cndmask_b32_e32 v23, v69, v23, vcc
	v_cndmask_b32_e64 v30, v69, v30, s[2:3]
	v_cndmask_b32_e64 v20, v69, v20, s[8:9]
	;; [unrolled: 1-line block ×9, first 2 shown]
	v_add_f32_e32 v78, v19, v32
	v_add_f32_e32 v75, v30, v20
	;; [unrolled: 1-line block ×4, first 2 shown]
	v_cvt_f16_f32_e32 v19, v19
	v_cvt_f16_f32_e32 v32, v32
	;; [unrolled: 1-line block ×12, first 2 shown]
	v_fmac_f32_e32 v78, v40, v23
	v_mul_u32_u24_e32 v30, 0x10001, v79
	v_mul_u32_u24_e32 v31, 0x10001, v20
	;; [unrolled: 1-line block ×4, first 2 shown]
	v_pack_b32_f16 v20, v82, v83
	v_pack_b32_f16 v19, v19, v80
	;; [unrolled: 1-line block ×4, first 2 shown]
	v_fmac_f32_e32 v75, v39, v24
	v_fmac_f32_e32 v76, v33, v25
	;; [unrolled: 1-line block ×3, first 2 shown]
	v_pk_mul_f16 v32, v14, v30
	v_pk_mul_f16 v14, v18, v31
	s_waitcnt vmcnt(0)
	ds_write2_b64 v0, v[19:20], v[21:22] offset1:32
	ds_write_b128 v56, v[5:8]
	ds_write_b128 v65, v[9:12]
	s_waitcnt lgkmcnt(0)
	s_barrier
	v_pk_mul_f16 v34, v17, v29
	v_pk_mul_f16 v33, v16, v23
	;; [unrolled: 1-line block ×3, first 2 shown]
	ds_read2_b64 v[19:22], v72 offset1:32
	ds_read_b128 v[23:26], v64
	ds_read_b128 v[79:82], v64 offset:16
	ds_read2_b64 v[15:18], v72 offset0:64 offset1:96
	ds_read_b128 v[83:86], v64 offset:32
	ds_read_b128 v[88:91], v64 offset:48
	ds_read2_b64 v[9:12], v72 offset0:128 offset1:160
	ds_read2_b64 v[5:8], v72 offset0:192 offset1:224
	ds_read_b128 v[94:97], v64 offset:64
	ds_read_b128 v[98:101], v64 offset:80
	s_waitcnt lgkmcnt(8)
	v_mul_u32_u24_sdwa v87, v23, s46 dst_sel:DWORD dst_unused:UNUSED_PAD src0_sel:WORD_0 src1_sel:DWORD
	v_mul_u32_u24_sdwa v92, v23, s46 dst_sel:DWORD dst_unused:UNUSED_PAD src0_sel:WORD_1 src1_sel:DWORD
	v_mul_u32_u24_sdwa v104, v24, s46 dst_sel:DWORD dst_unused:UNUSED_PAD src0_sel:WORD_1 src1_sel:DWORD
	s_waitcnt lgkmcnt(7)
	v_mul_u32_u24_sdwa v110, v79, s46 dst_sel:DWORD dst_unused:UNUSED_PAD src0_sel:WORD_0 src1_sel:DWORD
	v_mul_u32_u24_sdwa v112, v79, s46 dst_sel:DWORD dst_unused:UNUSED_PAD src0_sel:WORD_1 src1_sel:DWORD
	v_mul_u32_u24_sdwa v119, v82, s46 dst_sel:DWORD dst_unused:UNUSED_PAD src0_sel:WORD_0 src1_sel:DWORD
	v_mul_u32_u24_sdwa v51, v82, s46 dst_sel:DWORD dst_unused:UNUSED_PAD src0_sel:WORD_1 src1_sel:DWORD
	v_pk_fma_f16 v79, v20, v87, v32
	v_pk_mul_f16 v32, v19, v87
	v_pk_fma_f16 v82, v19, v104, v33
	v_pk_mul_f16 v33, v19, v92
	v_pk_fma_f16 v13, v13, v30, v32
	v_pk_fma_f16 v28, v28, v31, v33
	ds_read_b128 v[30:33], v64 offset:96
	ds_read_b128 v[124:127], v64 offset:112
	v_mul_u32_u24_sdwa v103, v24, s46 dst_sel:DWORD dst_unused:UNUSED_PAD src0_sel:WORD_0 src1_sel:DWORD
	v_pk_mul_f16 v19, v19, v103
	v_mul_u32_u24_sdwa v105, v25, s46 dst_sel:DWORD dst_unused:UNUSED_PAD src0_sel:WORD_0 src1_sel:DWORD
	v_mul_u32_u24_sdwa v106, v25, s46 dst_sel:DWORD dst_unused:UNUSED_PAD src0_sel:WORD_1 src1_sel:DWORD
	v_mul_u32_u24_sdwa v107, v26, s46 dst_sel:DWORD dst_unused:UNUSED_PAD src0_sel:WORD_0 src1_sel:DWORD
	v_mul_u32_u24_sdwa v108, v26, s46 dst_sel:DWORD dst_unused:UNUSED_PAD src0_sel:WORD_1 src1_sel:DWORD
	v_pk_fma_f16 v40, v20, v104, v40
	v_pk_fma_f16 v14, v20, v92, v14
	;; [unrolled: 1-line block ×4, first 2 shown]
	v_mul_u32_u24_sdwa v113, v80, s46 dst_sel:DWORD dst_unused:UNUSED_PAD src0_sel:WORD_0 src1_sel:DWORD
	v_mul_u32_u24_sdwa v80, v80, s46 dst_sel:DWORD dst_unused:UNUSED_PAD src0_sel:WORD_1 src1_sel:DWORD
	v_pk_fma_f16 v27, v21, v108, v82
	v_pk_fma_f16 v29, v22, v108, v40
	;; [unrolled: 1-line block ×8, first 2 shown]
	v_mul_u32_u24_sdwa v115, v81, s46 dst_sel:DWORD dst_unused:UNUSED_PAD src0_sel:WORD_0 src1_sel:DWORD
	v_mul_u32_u24_sdwa v118, v81, s46 dst_sel:DWORD dst_unused:UNUSED_PAD src0_sel:WORD_1 src1_sel:DWORD
	s_waitcnt lgkmcnt(1)
	v_mul_u32_u24_sdwa v103, v31, s46 dst_sel:DWORD dst_unused:UNUSED_PAD src0_sel:WORD_0 src1_sel:DWORD
	v_mul_u32_u24_sdwa v117, v31, s46 dst_sel:DWORD dst_unused:UNUSED_PAD src0_sel:WORD_1 src1_sel:DWORD
	v_mul_u32_u24_sdwa v104, v32, s46 dst_sel:DWORD dst_unused:UNUSED_PAD src0_sel:WORD_0 src1_sel:DWORD
	v_mul_u32_u24_sdwa v82, v32, s46 dst_sel:DWORD dst_unused:UNUSED_PAD src0_sel:WORD_1 src1_sel:DWORD
	;; [unrolled: 2-line block ×3, first 2 shown]
	v_pk_fma_f16 v21, v15, v80, v27
	v_pk_fma_f16 v22, v16, v80, v29
	;; [unrolled: 1-line block ×16, first 2 shown]
	ds_read_b128 v[17:20], v64 offset:128
	v_mul_u32_u24_sdwa v0, v84, s46 dst_sel:DWORD dst_unused:UNUSED_PAD src0_sel:WORD_0 src1_sel:DWORD
	v_mul_u32_u24_sdwa v84, v84, s46 dst_sel:DWORD dst_unused:UNUSED_PAD src0_sel:WORD_1 src1_sel:DWORD
	ds_read2_b64 v[23:26], v73 offset1:32
	v_mul_u32_u24_sdwa v50, v83, s46 dst_sel:DWORD dst_unused:UNUSED_PAD src0_sel:WORD_0 src1_sel:DWORD
	v_mul_u32_u24_sdwa v70, v83, s46 dst_sel:DWORD dst_unused:UNUSED_PAD src0_sel:WORD_1 src1_sel:DWORD
	v_mul_u32_u24_sdwa v68, v86, s46 dst_sel:DWORD dst_unused:UNUSED_PAD src0_sel:WORD_1 src1_sel:DWORD
	v_pk_fma_f16 v21, v9, v84, v21
	v_mul_u32_u24_sdwa v62, v85, s46 dst_sel:DWORD dst_unused:UNUSED_PAD src0_sel:WORD_0 src1_sel:DWORD
	v_mul_u32_u24_sdwa v66, v85, s46 dst_sel:DWORD dst_unused:UNUSED_PAD src0_sel:WORD_1 src1_sel:DWORD
	v_mul_u32_u24_sdwa v41, v86, s46 dst_sel:DWORD dst_unused:UNUSED_PAD src0_sel:WORD_0 src1_sel:DWORD
	v_mul_u32_u24_sdwa v44, v89, s46 dst_sel:DWORD dst_unused:UNUSED_PAD src0_sel:WORD_1 src1_sel:DWORD
	v_pk_fma_f16 v22, v10, v84, v22
	v_pk_fma_f16 v31, v10, v50, v31
	;; [unrolled: 1-line block ×8, first 2 shown]
	v_mul_u32_u24_sdwa v42, v88, s46 dst_sel:DWORD dst_unused:UNUSED_PAD src0_sel:WORD_0 src1_sel:DWORD
	v_mul_u32_u24_sdwa v43, v88, s46 dst_sel:DWORD dst_unused:UNUSED_PAD src0_sel:WORD_1 src1_sel:DWORD
	v_mul_u32_u24_sdwa v67, v89, s46 dst_sel:DWORD dst_unused:UNUSED_PAD src0_sel:WORD_0 src1_sel:DWORD
	v_mul_u32_u24_sdwa v61, v91, s46 dst_sel:DWORD dst_unused:UNUSED_PAD src0_sel:WORD_1 src1_sel:DWORD
	v_pk_fma_f16 v21, v12, v68, v22
	v_pk_fma_f16 v22, v12, v62, v31
	v_pk_fma_f16 v50, v11, v62, v33
	v_pk_fma_f16 v51, v12, v66, v32
	v_pk_fma_f16 v62, v11, v66, v34
	v_pk_fma_f16 v10, v12, v41, v10
	v_pk_fma_f16 v0, v11, v41, v0
	v_pk_fma_f16 v9, v5, v44, v9
	v_mul_u32_u24_sdwa v45, v90, s46 dst_sel:DWORD dst_unused:UNUSED_PAD src0_sel:WORD_0 src1_sel:DWORD
	v_mul_u32_u24_sdwa v93, v90, s46 dst_sel:DWORD dst_unused:UNUSED_PAD src0_sel:WORD_1 src1_sel:DWORD
	v_mul_u32_u24_sdwa v90, v91, s46 dst_sel:DWORD dst_unused:UNUSED_PAD src0_sel:WORD_0 src1_sel:DWORD
	v_mul_u32_u24_sdwa v123, v95, s46 dst_sel:DWORD dst_unused:UNUSED_PAD src0_sel:WORD_1 src1_sel:DWORD
	;; [unrolled: 2-line block ×4, first 2 shown]
	s_waitcnt lgkmcnt(2)
	v_mul_u32_u24_sdwa v92, v124, s46 dst_sel:DWORD dst_unused:UNUSED_PAD src0_sel:WORD_0 src1_sel:DWORD
	v_mul_u32_u24_sdwa v97, v124, s46 dst_sel:DWORD dst_unused:UNUSED_PAD src0_sel:WORD_1 src1_sel:DWORD
	v_mul_u32_u24_sdwa v107, v125, s46 dst_sel:DWORD dst_unused:UNUSED_PAD src0_sel:WORD_0 src1_sel:DWORD
	v_mul_u32_u24_sdwa v119, v125, s46 dst_sel:DWORD dst_unused:UNUSED_PAD src0_sel:WORD_1 src1_sel:DWORD
	;; [unrolled: 2-line block ×4, first 2 shown]
	ds_read_b128 v[124:127], v64 offset:144
	s_waitcnt lgkmcnt(2)
	v_mul_u32_u24_sdwa v89, v17, s46 dst_sel:DWORD dst_unused:UNUSED_PAD src0_sel:WORD_0 src1_sel:DWORD
	v_mul_u32_u24_sdwa v96, v17, s46 dst_sel:DWORD dst_unused:UNUSED_PAD src0_sel:WORD_1 src1_sel:DWORD
	v_mul_u32_u24_sdwa v105, v18, s46 dst_sel:DWORD dst_unused:UNUSED_PAD src0_sel:WORD_0 src1_sel:DWORD
	v_mul_u32_u24_sdwa v118, v18, s46 dst_sel:DWORD dst_unused:UNUSED_PAD src0_sel:WORD_1 src1_sel:DWORD
	;; [unrolled: 2-line block ×4, first 2 shown]
	v_pk_fma_f16 v11, v6, v44, v21
	v_pk_fma_f16 v17, v6, v42, v22
	;; [unrolled: 1-line block ×8, first 2 shown]
	v_mul_u32_u24_sdwa v120, v95, s46 dst_sel:DWORD dst_unused:UNUSED_PAD src0_sel:WORD_0 src1_sel:DWORD
	v_mul_u32_u24_sdwa v88, v30, s46 dst_sel:DWORD dst_unused:UNUSED_PAD src0_sel:WORD_0 src1_sel:DWORD
	v_mul_u32_u24_sdwa v95, v30, s46 dst_sel:DWORD dst_unused:UNUSED_PAD src0_sel:WORD_1 src1_sel:DWORD
	ds_read2_b64 v[27:30], v73 offset0:64 offset1:96
	v_pk_fma_f16 v41, v8, v61, v11
	v_pk_fma_f16 v17, v8, v45, v17
	;; [unrolled: 1-line block ×7, first 2 shown]
	s_waitcnt lgkmcnt(2)
	v_pk_fma_f16 v43, v23, v123, v5
	ds_read_b128 v[5:8], v64 offset:160
	ds_read2_b64 v[13:16], v73 offset0:128 offset1:160
	v_mul_u32_u24_sdwa v102, v94, s46 dst_sel:DWORD dst_unused:UNUSED_PAD src0_sel:WORD_0 src1_sel:DWORD
	v_mul_u32_u24_sdwa v116, v94, s46 dst_sel:DWORD dst_unused:UNUSED_PAD src0_sel:WORD_1 src1_sel:DWORD
	v_mul_u32_u24_sdwa v114, v99, s46 dst_sel:DWORD dst_unused:UNUSED_PAD src0_sel:WORD_1 src1_sel:DWORD
	ds_read2_b64 v[31:34], v73 offset0:192 offset1:224
	v_pk_fma_f16 v41, v24, v123, v41
	v_pk_fma_f16 v17, v24, v102, v17
	;; [unrolled: 1-line block ×8, first 2 shown]
	v_mul_u32_u24_sdwa v91, v98, s46 dst_sel:DWORD dst_unused:UNUSED_PAD src0_sel:WORD_0 src1_sel:DWORD
	v_mul_u32_u24_sdwa v94, v98, s46 dst_sel:DWORD dst_unused:UNUSED_PAD src0_sel:WORD_1 src1_sel:DWORD
	v_mul_u32_u24_sdwa v98, v99, s46 dst_sel:DWORD dst_unused:UNUSED_PAD src0_sel:WORD_0 src1_sel:DWORD
	v_mul_u32_u24_sdwa v99, v100, s46 dst_sel:DWORD dst_unused:UNUSED_PAD src0_sel:WORD_0 src1_sel:DWORD
	v_mul_u32_u24_sdwa v81, v100, s46 dst_sel:DWORD dst_unused:UNUSED_PAD src0_sel:WORD_1 src1_sel:DWORD
	v_mul_u32_u24_sdwa v109, v101, s46 dst_sel:DWORD dst_unused:UNUSED_PAD src0_sel:WORD_1 src1_sel:DWORD
	s_waitcnt lgkmcnt(4)
	v_mul_u32_u24_sdwa v87, v124, s46 dst_sel:DWORD dst_unused:UNUSED_PAD src0_sel:WORD_0 src1_sel:DWORD
	v_mul_u32_u24_sdwa v93, v124, s46 dst_sel:DWORD dst_unused:UNUSED_PAD src0_sel:WORD_1 src1_sel:DWORD
	v_mul_u32_u24_sdwa v100, v125, s46 dst_sel:DWORD dst_unused:UNUSED_PAD src0_sel:WORD_0 src1_sel:DWORD
	v_mul_u32_u24_sdwa v115, v125, s46 dst_sel:DWORD dst_unused:UNUSED_PAD src0_sel:WORD_1 src1_sel:DWORD
	v_pk_fma_f16 v41, v26, v122, v41
	ds_read_b128 v[122:125], v64 offset:176
	v_pk_fma_f16 v44, v26, v121, v17
	v_pk_fma_f16 v45, v25, v121, v19
	s_waitcnt lgkmcnt(3)
	v_mul_u32_u24_sdwa v23, v5, s46 dst_sel:DWORD dst_unused:UNUSED_PAD src0_sel:WORD_0 src1_sel:DWORD
	v_pk_fma_f16 v50, v26, v86, v18
	v_pk_fma_f16 v51, v25, v86, v20
	v_mul_u32_u24_sdwa v24, v5, s46 dst_sel:DWORD dst_unused:UNUSED_PAD src0_sel:WORD_1 src1_sel:DWORD
	v_pk_fma_f16 v5, v26, v85, v42
	v_pk_fma_f16 v0, v25, v85, v0
	v_mul_u32_u24_sdwa v86, v6, s46 dst_sel:DWORD dst_unused:UNUSED_PAD src0_sel:WORD_0 src1_sel:DWORD
	v_mul_u32_u24_sdwa v102, v6, s46 dst_sel:DWORD dst_unused:UNUSED_PAD src0_sel:WORD_1 src1_sel:DWORD
	v_pk_fma_f16 v6, v27, v114, v43
	v_mul_u32_u24_sdwa v39, v101, s46 dst_sel:DWORD dst_unused:UNUSED_PAD src0_sel:WORD_0 src1_sel:DWORD
	ds_read2_b64 v[9:12], v74 offset1:32
	v_mul_u32_u24_sdwa v25, v7, s46 dst_sel:DWORD dst_unused:UNUSED_PAD src0_sel:WORD_0 src1_sel:DWORD
	v_mul_u32_u24_sdwa v26, v7, s46 dst_sel:DWORD dst_unused:UNUSED_PAD src0_sel:WORD_1 src1_sel:DWORD
	v_pk_fma_f16 v7, v28, v114, v41
	v_pk_fma_f16 v41, v28, v91, v44
	;; [unrolled: 1-line block ×15, first 2 shown]
	s_waitcnt lgkmcnt(3)
	v_pk_fma_f16 v45, v13, v117, v45
	v_pk_fma_f16 v50, v14, v117, v50
	;; [unrolled: 1-line block ×16, first 2 shown]
	s_waitcnt lgkmcnt(2)
	v_pk_fma_f16 v88, v31, v119, v13
	v_pk_fma_f16 v45, v32, v119, v45
	;; [unrolled: 1-line block ×9, first 2 shown]
	ds_read2_b64 v[17:20], v74 offset0:64 offset1:96
	v_pk_fma_f16 v45, v34, v113, v45
	v_pk_fma_f16 v41, v34, v108, v41
	;; [unrolled: 1-line block ×7, first 2 shown]
	s_waitcnt lgkmcnt(1)
	v_pk_fma_f16 v94, v9, v118, v31
	ds_read_b128 v[31:34], v64 offset:224
	v_mul_u32_u24_sdwa v85, v8, s46 dst_sel:DWORD dst_unused:UNUSED_PAD src0_sel:WORD_0 src1_sel:DWORD
	v_mul_u32_u24_sdwa v90, v8, s46 dst_sel:DWORD dst_unused:UNUSED_PAD src0_sel:WORD_1 src1_sel:DWORD
	ds_read2_b64 v[5:8], v74 offset0:128 offset1:160
	v_mul_u32_u24_sdwa v27, v122, s46 dst_sel:DWORD dst_unused:UNUSED_PAD src0_sel:WORD_0 src1_sel:DWORD
	v_mul_u32_u24_sdwa v28, v122, s46 dst_sel:DWORD dst_unused:UNUSED_PAD src0_sel:WORD_1 src1_sel:DWORD
	v_mul_u32_u24_sdwa v81, v123, s46 dst_sel:DWORD dst_unused:UNUSED_PAD src0_sel:WORD_0 src1_sel:DWORD
	v_mul_u32_u24_sdwa v61, v123, s46 dst_sel:DWORD dst_unused:UNUSED_PAD src0_sel:WORD_1 src1_sel:DWORD
	ds_read_b128 v[120:123], v64 offset:192
	v_pk_fma_f16 v45, v10, v118, v45
	v_pk_fma_f16 v41, v10, v89, v41
	;; [unrolled: 1-line block ×13, first 2 shown]
	v_mul_u32_u24_sdwa v101, v126, s46 dst_sel:DWORD dst_unused:UNUSED_PAD src0_sel:WORD_0 src1_sel:DWORD
	v_mul_u32_u24_sdwa v22, v126, s46 dst_sel:DWORD dst_unused:UNUSED_PAD src0_sel:WORD_1 src1_sel:DWORD
	v_mul_u32_u24_sdwa v110, v127, s46 dst_sel:DWORD dst_unused:UNUSED_PAD src0_sel:WORD_1 src1_sel:DWORD
	ds_read_b128 v[94:97], v64 offset:240
	s_waitcnt lgkmcnt(3)
	v_mul_u32_u24_sdwa v88, v31, s46 dst_sel:DWORD dst_unused:UNUSED_PAD src0_sel:WORD_0 src1_sel:DWORD
	v_mul_u32_u24_sdwa v84, v31, s46 dst_sel:DWORD dst_unused:UNUSED_PAD src0_sel:WORD_1 src1_sel:DWORD
	v_pk_fma_f16 v31, v12, v40, v10
	v_pk_fma_f16 v0, v11, v40, v0
	v_mul_u32_u24_sdwa v40, v32, s46 dst_sel:DWORD dst_unused:UNUSED_PAD src0_sel:WORD_0 src1_sel:DWORD
	v_mul_u32_u24_sdwa v89, v32, s46 dst_sel:DWORD dst_unused:UNUSED_PAD src0_sel:WORD_1 src1_sel:DWORD
	v_mul_u32_u24_sdwa v105, v33, s46 dst_sel:DWORD dst_unused:UNUSED_PAD src0_sel:WORD_0 src1_sel:DWORD
	v_mul_u32_u24_sdwa v106, v33, s46 dst_sel:DWORD dst_unused:UNUSED_PAD src0_sel:WORD_1 src1_sel:DWORD
	v_pk_fma_f16 v32, v17, v115, v9
	v_pk_fma_f16 v33, v18, v115, v45
	;; [unrolled: 1-line block ×6, first 2 shown]
	v_mul_u32_u24_sdwa v21, v127, s46 dst_sel:DWORD dst_unused:UNUSED_PAD src0_sel:WORD_0 src1_sel:DWORD
	v_pk_fma_f16 v18, v18, v100, v31
	v_pk_fma_f16 v0, v17, v100, v0
	;; [unrolled: 1-line block ×8, first 2 shown]
	v_mul_u32_u24_sdwa v29, v124, s46 dst_sel:DWORD dst_unused:UNUSED_PAD src0_sel:WORD_0 src1_sel:DWORD
	v_mul_u32_u24_sdwa v30, v124, s46 dst_sel:DWORD dst_unused:UNUSED_PAD src0_sel:WORD_1 src1_sel:DWORD
	v_mul_u32_u24_sdwa v39, v125, s46 dst_sel:DWORD dst_unused:UNUSED_PAD src0_sel:WORD_0 src1_sel:DWORD
	v_mul_u32_u24_sdwa v91, v125, s46 dst_sel:DWORD dst_unused:UNUSED_PAD src0_sel:WORD_1 src1_sel:DWORD
	ds_read_b128 v[124:127], v64 offset:208
	s_waitcnt lgkmcnt(2)
	v_mul_u32_u24_sdwa v50, v120, s46 dst_sel:DWORD dst_unused:UNUSED_PAD src0_sel:WORD_0 src1_sel:DWORD
	v_mul_u32_u24_sdwa v51, v120, s46 dst_sel:DWORD dst_unused:UNUSED_PAD src0_sel:WORD_1 src1_sel:DWORD
	v_mul_u32_u24_sdwa v66, v121, s46 dst_sel:DWORD dst_unused:UNUSED_PAD src0_sel:WORD_0 src1_sel:DWORD
	v_mul_u32_u24_sdwa v67, v121, s46 dst_sel:DWORD dst_unused:UNUSED_PAD src0_sel:WORD_1 src1_sel:DWORD
	;; [unrolled: 2-line block ×3, first 2 shown]
	ds_read2_b64 v[13:16], v74 offset0:192 offset1:224
	ds_read2_b64 v[119:122], v46 offset1:32
	v_mul_u32_u24_sdwa v107, v34, s46 dst_sel:DWORD dst_unused:UNUSED_PAD src0_sel:WORD_0 src1_sel:DWORD
	v_mul_u32_u24_sdwa v108, v34, s46 dst_sel:DWORD dst_unused:UNUSED_PAD src0_sel:WORD_1 src1_sel:DWORD
	ds_read2_b64 v[9:12], v46 offset0:64 offset1:96
	ds_read2_b64 v[31:34], v46 offset0:128 offset1:160
	v_pk_fma_f16 v93, v20, v21, v18
	v_pk_fma_f16 v0, v19, v21, v0
	v_pk_fma_f16 v109, v5, v102, v17
	v_pk_fma_f16 v45, v6, v102, v45
	ds_read2_b64 v[17:20], v46 offset0:192 offset1:224
	s_waitcnt lgkmcnt(0)
	s_barrier
	v_pk_fma_f16 v41, v6, v23, v41
	v_pk_fma_f16 v42, v6, v24, v42
	;; [unrolled: 1-line block ×4, first 2 shown]
	global_load_dwordx4 v[21:24], v[37:38], off
	v_pk_fma_f16 v6, v6, v86, v93
	global_load_dwordx4 v[35:38], v[35:36], off
	v_pk_fma_f16 v0, v5, v86, v0
	v_pk_fma_f16 v5, v7, v90, v109
	;; [unrolled: 1-line block ×25, first 2 shown]
	v_mul_u32_u24_sdwa v79, v123, s46 dst_sel:DWORD dst_unused:UNUSED_PAD src0_sel:WORD_0 src1_sel:DWORD
	v_mul_u32_u24_sdwa v82, v123, s46 dst_sel:DWORD dst_unused:UNUSED_PAD src0_sel:WORD_1 src1_sel:DWORD
	v_pk_fma_f16 v5, v119, v67, v5
	v_pk_fma_f16 v7, v120, v67, v7
	;; [unrolled: 1-line block ×8, first 2 shown]
	v_mul_u32_u24_sdwa v62, v124, s46 dst_sel:DWORD dst_unused:UNUSED_PAD src0_sel:WORD_0 src1_sel:DWORD
	v_mul_u32_u24_sdwa v83, v124, s46 dst_sel:DWORD dst_unused:UNUSED_PAD src0_sel:WORD_1 src1_sel:DWORD
	v_mul_u32_u24_sdwa v80, v125, s46 dst_sel:DWORD dst_unused:UNUSED_PAD src0_sel:WORD_0 src1_sel:DWORD
	v_mul_u32_u24_sdwa v92, v125, s46 dst_sel:DWORD dst_unused:UNUSED_PAD src0_sel:WORD_1 src1_sel:DWORD
	v_pk_fma_f16 v5, v121, v82, v5
	v_pk_fma_f16 v7, v122, v82, v7
	;; [unrolled: 1-line block ×8, first 2 shown]
	v_mul_u32_u24_sdwa v98, v126, s46 dst_sel:DWORD dst_unused:UNUSED_PAD src0_sel:WORD_0 src1_sel:DWORD
	v_mul_u32_u24_sdwa v99, v126, s46 dst_sel:DWORD dst_unused:UNUSED_PAD src0_sel:WORD_1 src1_sel:DWORD
	v_mul_u32_u24_sdwa v103, v127, s46 dst_sel:DWORD dst_unused:UNUSED_PAD src0_sel:WORD_0 src1_sel:DWORD
	v_mul_u32_u24_sdwa v104, v127, s46 dst_sel:DWORD dst_unused:UNUSED_PAD src0_sel:WORD_1 src1_sel:DWORD
	v_pk_fma_f16 v5, v9, v92, v5
	v_pk_fma_f16 v7, v10, v92, v7
	;; [unrolled: 1-line block ×24, first 2 shown]
	v_mul_u32_u24_sdwa v87, v94, s46 dst_sel:DWORD dst_unused:UNUSED_PAD src0_sel:WORD_0 src1_sel:DWORD
	v_mul_u32_u24_sdwa v44, v94, s46 dst_sel:DWORD dst_unused:UNUSED_PAD src0_sel:WORD_1 src1_sel:DWORD
	v_mul_u32_u24_sdwa v94, v95, s46 dst_sel:DWORD dst_unused:UNUSED_PAD src0_sel:WORD_0 src1_sel:DWORD
	v_mul_u32_u24_sdwa v95, v95, s46 dst_sel:DWORD dst_unused:UNUSED_PAD src0_sel:WORD_1 src1_sel:DWORD
	v_pk_fma_f16 v5, v33, v108, v5
	v_pk_fma_f16 v7, v34, v108, v7
	;; [unrolled: 1-line block ×8, first 2 shown]
	v_mul_u32_u24_sdwa v100, v96, s46 dst_sel:DWORD dst_unused:UNUSED_PAD src0_sel:WORD_0 src1_sel:DWORD
	v_mul_u32_u24_sdwa v96, v96, s46 dst_sel:DWORD dst_unused:UNUSED_PAD src0_sel:WORD_1 src1_sel:DWORD
	v_mul_u32_u24_sdwa v101, v97, s46 dst_sel:DWORD dst_unused:UNUSED_PAD src0_sel:WORD_0 src1_sel:DWORD
	v_mul_u32_u24_sdwa v97, v97, s46 dst_sel:DWORD dst_unused:UNUSED_PAD src0_sel:WORD_1 src1_sel:DWORD
	v_pk_fma_f16 v5, v17, v95, v5
	v_pk_fma_f16 v9, v18, v87, v9
	;; [unrolled: 1-line block ×16, first 2 shown]
	s_waitcnt vmcnt(1)
	ds_write_b128 v56, v[21:24]
	s_waitcnt vmcnt(0)
	ds_write_b128 v65, v[35:38]
	s_waitcnt lgkmcnt(0)
	s_barrier
	ds_read_b128 v[29:32], v64 offset:256
	ds_read_b128 v[9:12], v64 offset:272
	ds_read2_b64 v[21:24], v72 offset1:32
	ds_read2_b64 v[13:16], v72 offset0:64 offset1:96
	ds_read_b128 v[33:36], v64 offset:288
	ds_read_b128 v[37:40], v64 offset:304
	ds_read2_b64 v[25:28], v72 offset0:128 offset1:160
	ds_read2_b64 v[5:8], v72 offset0:192 offset1:224
	ds_read_b128 v[91:94], v64 offset:320
	ds_read_b128 v[115:118], v64 offset:336
	ds_read2_b64 v[17:20], v73 offset1:32
	ds_read_b128 v[119:122], v64 offset:352
	s_waitcnt lgkmcnt(11)
	v_mul_u32_u24_sdwa v0, v29, s46 dst_sel:DWORD dst_unused:UNUSED_PAD src0_sel:WORD_0 src1_sel:DWORD
	v_mul_u32_u24_sdwa v41, v29, s46 dst_sel:DWORD dst_unused:UNUSED_PAD src0_sel:WORD_1 src1_sel:DWORD
	v_mul_u32_u24_sdwa v42, v30, s46 dst_sel:DWORD dst_unused:UNUSED_PAD src0_sel:WORD_0 src1_sel:DWORD
	v_mul_u32_u24_sdwa v30, v30, s46 dst_sel:DWORD dst_unused:UNUSED_PAD src0_sel:WORD_1 src1_sel:DWORD
	;; [unrolled: 2-line block ×4, first 2 shown]
	s_waitcnt lgkmcnt(7)
	v_mul_u32_u24_sdwa v113, v34, s46 dst_sel:DWORD dst_unused:UNUSED_PAD src0_sel:WORD_0 src1_sel:DWORD
	v_mul_u32_u24_sdwa v123, v34, s46 dst_sel:DWORD dst_unused:UNUSED_PAD src0_sel:WORD_1 src1_sel:DWORD
	v_mul_u32_u24_sdwa v124, v35, s46 dst_sel:DWORD dst_unused:UNUSED_PAD src0_sel:WORD_0 src1_sel:DWORD
	v_mul_u32_u24_sdwa v125, v35, s46 dst_sel:DWORD dst_unused:UNUSED_PAD src0_sel:WORD_1 src1_sel:DWORD
	s_waitcnt lgkmcnt(6)
	v_mul_u32_u24_sdwa v110, v38, s46 dst_sel:DWORD dst_unused:UNUSED_PAD src0_sel:WORD_0 src1_sel:DWORD
	v_mul_u32_u24_sdwa v111, v38, s46 dst_sel:DWORD dst_unused:UNUSED_PAD src0_sel:WORD_1 src1_sel:DWORD
	v_mul_u32_u24_sdwa v108, v39, s46 dst_sel:DWORD dst_unused:UNUSED_PAD src0_sel:WORD_0 src1_sel:DWORD
	v_mul_u32_u24_sdwa v99, v39, s46 dst_sel:DWORD dst_unused:UNUSED_PAD src0_sel:WORD_1 src1_sel:DWORD
	;; [unrolled: 2-line block ×3, first 2 shown]
	v_pk_fma_f16 v34, v21, v0, v90
	v_pk_fma_f16 v0, v22, v0, v89
	v_pk_fma_f16 v35, v21, v41, v87
	v_pk_fma_f16 v38, v21, v42, v88
	v_pk_fma_f16 v21, v21, v30, v79
	v_pk_fma_f16 v39, v22, v41, v81
	v_pk_fma_f16 v40, v22, v42, v85
	v_pk_fma_f16 v22, v22, v30, v86
	v_mul_u32_u24_sdwa v45, v9, s46 dst_sel:DWORD dst_unused:UNUSED_PAD src0_sel:WORD_0 src1_sel:DWORD
	v_mul_u32_u24_sdwa v50, v9, s46 dst_sel:DWORD dst_unused:UNUSED_PAD src0_sel:WORD_1 src1_sel:DWORD
	v_mul_u32_u24_sdwa v51, v10, s46 dst_sel:DWORD dst_unused:UNUSED_PAD src0_sel:WORD_0 src1_sel:DWORD
	v_mul_u32_u24_sdwa v61, v10, s46 dst_sel:DWORD dst_unused:UNUSED_PAD src0_sel:WORD_1 src1_sel:DWORD
	v_pk_fma_f16 v41, v23, v43, v34
	v_pk_fma_f16 v0, v24, v43, v0
	;; [unrolled: 1-line block ×8, first 2 shown]
	v_mul_u32_u24_sdwa v62, v11, s46 dst_sel:DWORD dst_unused:UNUSED_PAD src0_sel:WORD_0 src1_sel:DWORD
	v_mul_u32_u24_sdwa v66, v11, s46 dst_sel:DWORD dst_unused:UNUSED_PAD src0_sel:WORD_1 src1_sel:DWORD
	v_mul_u32_u24_sdwa v67, v12, s46 dst_sel:DWORD dst_unused:UNUSED_PAD src0_sel:WORD_0 src1_sel:DWORD
	v_mul_u32_u24_sdwa v68, v12, s46 dst_sel:DWORD dst_unused:UNUSED_PAD src0_sel:WORD_1 src1_sel:DWORD
	v_pk_fma_f16 v41, v13, v45, v41
	v_pk_fma_f16 v0, v14, v45, v0
	;; [unrolled: 1-line block ×8, first 2 shown]
	v_mul_u32_u24_sdwa v70, v33, s46 dst_sel:DWORD dst_unused:UNUSED_PAD src0_sel:WORD_0 src1_sel:DWORD
	v_mul_u32_u24_sdwa v97, v33, s46 dst_sel:DWORD dst_unused:UNUSED_PAD src0_sel:WORD_1 src1_sel:DWORD
	v_pk_fma_f16 v32, v15, v62, v41
	v_pk_fma_f16 v0, v16, v62, v0
	;; [unrolled: 1-line block ×8, first 2 shown]
	v_mul_u32_u24_sdwa v126, v36, s46 dst_sel:DWORD dst_unused:UNUSED_PAD src0_sel:WORD_0 src1_sel:DWORD
	v_mul_u32_u24_sdwa v36, v36, s46 dst_sel:DWORD dst_unused:UNUSED_PAD src0_sel:WORD_1 src1_sel:DWORD
	v_mul_u32_u24_sdwa v127, v37, s46 dst_sel:DWORD dst_unused:UNUSED_PAD src0_sel:WORD_0 src1_sel:DWORD
	v_mul_u32_u24_sdwa v109, v37, s46 dst_sel:DWORD dst_unused:UNUSED_PAD src0_sel:WORD_1 src1_sel:DWORD
	s_waitcnt lgkmcnt(3)
	v_mul_u32_u24_sdwa v107, v91, s46 dst_sel:DWORD dst_unused:UNUSED_PAD src0_sel:WORD_0 src1_sel:DWORD
	v_mul_u32_u24_sdwa v104, v91, s46 dst_sel:DWORD dst_unused:UNUSED_PAD src0_sel:WORD_1 src1_sel:DWORD
	v_mul_u32_u24_sdwa v105, v92, s46 dst_sel:DWORD dst_unused:UNUSED_PAD src0_sel:WORD_0 src1_sel:DWORD
	v_mul_u32_u24_sdwa v106, v92, s46 dst_sel:DWORD dst_unused:UNUSED_PAD src0_sel:WORD_1 src1_sel:DWORD
	s_waitcnt lgkmcnt(2)
	v_mul_u32_u24_sdwa v114, v115, s46 dst_sel:DWORD dst_unused:UNUSED_PAD src0_sel:WORD_0 src1_sel:DWORD
	v_mul_u32_u24_sdwa v82, v115, s46 dst_sel:DWORD dst_unused:UNUSED_PAD src0_sel:WORD_1 src1_sel:DWORD
	v_mul_u32_u24_sdwa v83, v116, s46 dst_sel:DWORD dst_unused:UNUSED_PAD src0_sel:WORD_0 src1_sel:DWORD
	v_mul_u32_u24_sdwa v84, v116, s46 dst_sel:DWORD dst_unused:UNUSED_PAD src0_sel:WORD_1 src1_sel:DWORD
	;; [unrolled: 2-line block ×4, first 2 shown]
	ds_read_b128 v[115:118], v64 offset:368
	s_waitcnt lgkmcnt(1)
	v_mul_u32_u24_sdwa v96, v119, s46 dst_sel:DWORD dst_unused:UNUSED_PAD src0_sel:WORD_0 src1_sel:DWORD
	v_mul_u32_u24_sdwa v85, v119, s46 dst_sel:DWORD dst_unused:UNUSED_PAD src0_sel:WORD_1 src1_sel:DWORD
	v_mul_u32_u24_sdwa v91, v120, s46 dst_sel:DWORD dst_unused:UNUSED_PAD src0_sel:WORD_0 src1_sel:DWORD
	v_mul_u32_u24_sdwa v92, v120, s46 dst_sel:DWORD dst_unused:UNUSED_PAD src0_sel:WORD_1 src1_sel:DWORD
	;; [unrolled: 2-line block ×4, first 2 shown]
	ds_read_b128 v[119:122], v64 offset:384
	v_pk_fma_f16 v32, v25, v70, v32
	v_pk_fma_f16 v0, v26, v70, v0
	;; [unrolled: 1-line block ×8, first 2 shown]
	ds_read2_b64 v[9:12], v73 offset0:64 offset1:96
	v_pk_fma_f16 v44, v27, v124, v32
	v_pk_fma_f16 v0, v28, v124, v0
	;; [unrolled: 1-line block ×16, first 2 shown]
	ds_read2_b64 v[21:24], v73 offset0:128 offset1:160
	v_pk_fma_f16 v44, v7, v108, v44
	v_pk_fma_f16 v0, v8, v108, v0
	;; [unrolled: 1-line block ×8, first 2 shown]
	v_mul_u32_u24_sdwa v103, v93, s46 dst_sel:DWORD dst_unused:UNUSED_PAD src0_sel:WORD_0 src1_sel:DWORD
	v_mul_u32_u24_sdwa v102, v93, s46 dst_sel:DWORD dst_unused:UNUSED_PAD src0_sel:WORD_1 src1_sel:DWORD
	v_mul_u32_u24_sdwa v101, v94, s46 dst_sel:DWORD dst_unused:UNUSED_PAD src0_sel:WORD_0 src1_sel:DWORD
	v_mul_u32_u24_sdwa v100, v94, s46 dst_sel:DWORD dst_unused:UNUSED_PAD src0_sel:WORD_1 src1_sel:DWORD
	v_pk_fma_f16 v44, v17, v107, v44
	v_pk_fma_f16 v0, v18, v107, v0
	;; [unrolled: 1-line block ×8, first 2 shown]
	s_waitcnt lgkmcnt(3)
	v_mul_u32_u24_sdwa v112, v115, s46 dst_sel:DWORD dst_unused:UNUSED_PAD src0_sel:WORD_0 src1_sel:DWORD
	v_mul_u32_u24_sdwa v79, v115, s46 dst_sel:DWORD dst_unused:UNUSED_PAD src0_sel:WORD_1 src1_sel:DWORD
	v_mul_u32_u24_sdwa v86, v116, s46 dst_sel:DWORD dst_unused:UNUSED_PAD src0_sel:WORD_0 src1_sel:DWORD
	v_mul_u32_u24_sdwa v87, v116, s46 dst_sel:DWORD dst_unused:UNUSED_PAD src0_sel:WORD_1 src1_sel:DWORD
	;; [unrolled: 2-line block ×4, first 2 shown]
	ds_read2_b64 v[13:16], v73 offset0:192 offset1:224
	ds_read_b128 v[115:118], v64 offset:400
	s_waitcnt lgkmcnt(4)
	v_mul_u32_u24_sdwa v97, v119, s46 dst_sel:DWORD dst_unused:UNUSED_PAD src0_sel:WORD_0 src1_sel:DWORD
	v_mul_u32_u24_sdwa v88, v119, s46 dst_sel:DWORD dst_unused:UNUSED_PAD src0_sel:WORD_1 src1_sel:DWORD
	v_mul_u32_u24_sdwa v93, v120, s46 dst_sel:DWORD dst_unused:UNUSED_PAD src0_sel:WORD_0 src1_sel:DWORD
	v_mul_u32_u24_sdwa v94, v120, s46 dst_sel:DWORD dst_unused:UNUSED_PAD src0_sel:WORD_1 src1_sel:DWORD
	v_mul_u32_u24_sdwa v90, v121, s46 dst_sel:DWORD dst_unused:UNUSED_PAD src0_sel:WORD_0 src1_sel:DWORD
	v_mul_u32_u24_sdwa v40, v121, s46 dst_sel:DWORD dst_unused:UNUSED_PAD src0_sel:WORD_1 src1_sel:DWORD
	v_mul_u32_u24_sdwa v36, v122, s46 dst_sel:DWORD dst_unused:UNUSED_PAD src0_sel:WORD_0 src1_sel:DWORD
	v_mul_u32_u24_sdwa v32, v122, s46 dst_sel:DWORD dst_unused:UNUSED_PAD src0_sel:WORD_1 src1_sel:DWORD
	ds_read_b128 v[119:122], v64 offset:416
	v_pk_fma_f16 v44, v19, v103, v44
	v_pk_fma_f16 v0, v20, v103, v0
	;; [unrolled: 1-line block ×8, first 2 shown]
	s_waitcnt lgkmcnt(4)
	v_pk_fma_f16 v44, v9, v114, v44
	v_pk_fma_f16 v0, v10, v114, v0
	;; [unrolled: 1-line block ×8, first 2 shown]
	ds_read2_b64 v[25:28], v74 offset1:32
	v_pk_fma_f16 v44, v11, v80, v44
	v_pk_fma_f16 v0, v12, v80, v0
	;; [unrolled: 1-line block ×8, first 2 shown]
	s_waitcnt lgkmcnt(4)
	v_pk_fma_f16 v44, v21, v96, v44
	v_pk_fma_f16 v0, v22, v96, v0
	;; [unrolled: 1-line block ×8, first 2 shown]
	ds_read2_b64 v[5:8], v74 offset0:64 offset1:96
	v_pk_fma_f16 v44, v23, v89, v44
	v_pk_fma_f16 v0, v24, v89, v0
	v_pk_fma_f16 v41, v23, v38, v41
	v_pk_fma_f16 v42, v24, v38, v42
	v_pk_fma_f16 v43, v23, v34, v43
	v_pk_fma_f16 v45, v24, v34, v45
	v_pk_fma_f16 v50, v23, v30, v21
	v_pk_fma_f16 v51, v24, v30, v22
	s_waitcnt lgkmcnt(3)
	v_mul_u32_u24_sdwa v113, v115, s46 dst_sel:DWORD dst_unused:UNUSED_PAD src0_sel:WORD_0 src1_sel:DWORD
	v_mul_u32_u24_sdwa v108, v115, s46 dst_sel:DWORD dst_unused:UNUSED_PAD src0_sel:WORD_1 src1_sel:DWORD
	v_mul_u32_u24_sdwa v110, v116, s46 dst_sel:DWORD dst_unused:UNUSED_PAD src0_sel:WORD_0 src1_sel:DWORD
	v_mul_u32_u24_sdwa v111, v116, s46 dst_sel:DWORD dst_unused:UNUSED_PAD src0_sel:WORD_1 src1_sel:DWORD
	;; [unrolled: 2-line block ×4, first 2 shown]
	ds_read_b128 v[115:118], v64 offset:432
	s_waitcnt lgkmcnt(3)
	v_mul_u32_u24_sdwa v104, v119, s46 dst_sel:DWORD dst_unused:UNUSED_PAD src0_sel:WORD_0 src1_sel:DWORD
	v_mul_u32_u24_sdwa v102, v119, s46 dst_sel:DWORD dst_unused:UNUSED_PAD src0_sel:WORD_1 src1_sel:DWORD
	v_mul_u32_u24_sdwa v106, v120, s46 dst_sel:DWORD dst_unused:UNUSED_PAD src0_sel:WORD_0 src1_sel:DWORD
	v_mul_u32_u24_sdwa v107, v120, s46 dst_sel:DWORD dst_unused:UNUSED_PAD src0_sel:WORD_1 src1_sel:DWORD
	;; [unrolled: 2-line block ×4, first 2 shown]
	ds_read_b128 v[119:122], v64 offset:448
	v_pk_fma_f16 v44, v13, v112, v44
	v_pk_fma_f16 v0, v14, v112, v0
	;; [unrolled: 1-line block ×8, first 2 shown]
	ds_read2_b64 v[17:20], v74 offset0:128 offset1:160
	v_pk_fma_f16 v44, v15, v81, v44
	v_pk_fma_f16 v0, v16, v81, v0
	;; [unrolled: 1-line block ×8, first 2 shown]
	s_waitcnt lgkmcnt(4)
	v_pk_fma_f16 v44, v25, v97, v44
	v_pk_fma_f16 v0, v26, v97, v0
	;; [unrolled: 1-line block ×8, first 2 shown]
	ds_read2_b64 v[9:12], v74 offset0:192 offset1:224
	v_pk_fma_f16 v31, v27, v90, v44
	v_pk_fma_f16 v0, v28, v90, v0
	;; [unrolled: 1-line block ×8, first 2 shown]
	s_waitcnt lgkmcnt(4)
	v_pk_fma_f16 v31, v5, v113, v31
	v_pk_fma_f16 v0, v6, v113, v0
	;; [unrolled: 1-line block ×8, first 2 shown]
	s_waitcnt lgkmcnt(2)
	v_mul_u32_u24_sdwa v38, v119, s46 dst_sel:DWORD dst_unused:UNUSED_PAD src0_sel:WORD_0 src1_sel:DWORD
	v_mul_u32_u24_sdwa v34, v119, s46 dst_sel:DWORD dst_unused:UNUSED_PAD src0_sel:WORD_1 src1_sel:DWORD
	v_mul_u32_u24_sdwa v30, v120, s46 dst_sel:DWORD dst_unused:UNUSED_PAD src0_sel:WORD_0 src1_sel:DWORD
	v_mul_u32_u24_sdwa v85, v120, s46 dst_sel:DWORD dst_unused:UNUSED_PAD src0_sel:WORD_1 src1_sel:DWORD
	;; [unrolled: 2-line block ×4, first 2 shown]
	ds_read2_b64 v[119:122], v46 offset1:32
	v_pk_fma_f16 v31, v7, v109, v31
	v_pk_fma_f16 v0, v8, v109, v0
	v_pk_fma_f16 v32, v7, v99, v41
	v_pk_fma_f16 v39, v8, v99, v39
	v_pk_fma_f16 v43, v7, v98, v43
	v_pk_fma_f16 v35, v8, v98, v35
	v_pk_fma_f16 v5, v7, v95, v5
	v_pk_fma_f16 v6, v8, v95, v6
	v_mul_u32_u24_sdwa v82, v115, s46 dst_sel:DWORD dst_unused:UNUSED_PAD src0_sel:WORD_0 src1_sel:DWORD
	v_mul_u32_u24_sdwa v37, v115, s46 dst_sel:DWORD dst_unused:UNUSED_PAD src0_sel:WORD_1 src1_sel:DWORD
	v_mul_u32_u24_sdwa v84, v116, s46 dst_sel:DWORD dst_unused:UNUSED_PAD src0_sel:WORD_0 src1_sel:DWORD
	v_mul_u32_u24_sdwa v114, v116, s46 dst_sel:DWORD dst_unused:UNUSED_PAD src0_sel:WORD_1 src1_sel:DWORD
	;; [unrolled: 2-line block ×4, first 2 shown]
	ds_read_b128 v[115:118], v64 offset:464
	ds_read_b128 v[123:126], v64 offset:480
	s_waitcnt lgkmcnt(4)
	v_pk_fma_f16 v31, v17, v104, v31
	v_pk_fma_f16 v0, v18, v104, v0
	;; [unrolled: 1-line block ×8, first 2 shown]
	ds_read2_b64 v[13:16], v46 offset0:64 offset1:96
	v_pk_fma_f16 v18, v19, v105, v31
	v_pk_fma_f16 v0, v20, v105, v0
	;; [unrolled: 1-line block ×8, first 2 shown]
	s_waitcnt lgkmcnt(4)
	v_pk_fma_f16 v18, v9, v82, v18
	v_pk_fma_f16 v0, v10, v82, v0
	;; [unrolled: 1-line block ×8, first 2 shown]
	ds_read2_b64 v[25:28], v46 offset0:128 offset1:160
	v_pk_fma_f16 v10, v11, v83, v18
	v_pk_fma_f16 v0, v12, v83, v0
	v_pk_fma_f16 v18, v11, v80, v19
	v_pk_fma_f16 v9, v12, v80, v9
	v_pk_fma_f16 v19, v11, v33, v20
	v_pk_fma_f16 v17, v12, v33, v17
	v_pk_fma_f16 v5, v11, v29, v5
	v_pk_fma_f16 v6, v12, v29, v6
	ds_read_b128 v[86:89], v64 offset:496
	ds_read2_b64 v[90:93], v46 offset0:192 offset1:224
	s_waitcnt lgkmcnt(0)
	s_barrier
	s_load_dword s0, s[36:37], 0x4
	v_pk_fma_f16 v10, v119, v38, v10
	v_pk_fma_f16 v0, v120, v38, v0
	v_pk_fma_f16 v11, v119, v34, v18
	v_pk_fma_f16 v12, v119, v30, v19
	v_pk_fma_f16 v5, v119, v85, v5
	v_pk_fma_f16 v9, v120, v34, v9
	v_pk_fma_f16 v17, v120, v30, v17
	v_pk_fma_f16 v6, v120, v85, v6
	v_mul_u32_u24_sdwa v42, v115, s46 dst_sel:DWORD dst_unused:UNUSED_PAD src0_sel:WORD_0 src1_sel:DWORD
	v_mul_u32_u24_sdwa v45, v115, s46 dst_sel:DWORD dst_unused:UNUSED_PAD src0_sel:WORD_1 src1_sel:DWORD
	v_mul_u32_u24_sdwa v51, v116, s46 dst_sel:DWORD dst_unused:UNUSED_PAD src0_sel:WORD_0 src1_sel:DWORD
	v_mul_u32_u24_sdwa v61, v116, s46 dst_sel:DWORD dst_unused:UNUSED_PAD src0_sel:WORD_1 src1_sel:DWORD
	v_pk_fma_f16 v10, v121, v24, v10
	v_pk_fma_f16 v0, v122, v24, v0
	v_pk_fma_f16 v11, v121, v23, v11
	v_pk_fma_f16 v9, v122, v23, v9
	v_pk_fma_f16 v12, v121, v22, v12
	v_pk_fma_f16 v17, v122, v22, v17
	v_pk_fma_f16 v5, v121, v21, v5
	v_pk_fma_f16 v6, v122, v21, v6
	v_mul_u32_u24_sdwa v62, v117, s46 dst_sel:DWORD dst_unused:UNUSED_PAD src0_sel:WORD_0 src1_sel:DWORD
	v_mul_u32_u24_sdwa v66, v117, s46 dst_sel:DWORD dst_unused:UNUSED_PAD src0_sel:WORD_1 src1_sel:DWORD
	v_mul_u32_u24_sdwa v67, v118, s46 dst_sel:DWORD dst_unused:UNUSED_PAD src0_sel:WORD_0 src1_sel:DWORD
	v_mul_u32_u24_sdwa v68, v118, s46 dst_sel:DWORD dst_unused:UNUSED_PAD src0_sel:WORD_1 src1_sel:DWORD
	;; [unrolled: 12-line block ×5, first 2 shown]
	s_waitcnt lgkmcnt(0)
	s_lshl_b32 s0, s0, 6
	v_pk_fma_f16 v10, v27, v79, v10
	v_pk_fma_f16 v11, v27, v81, v11
	;; [unrolled: 1-line block ×8, first 2 shown]
	v_mul_u32_u24_sdwa v86, v88, s46 dst_sel:DWORD dst_unused:UNUSED_PAD src0_sel:WORD_0 src1_sel:DWORD
	v_mul_u32_u24_sdwa v87, v88, s46 dst_sel:DWORD dst_unused:UNUSED_PAD src0_sel:WORD_1 src1_sel:DWORD
	v_mul_u32_u24_sdwa v88, v89, s46 dst_sel:DWORD dst_unused:UNUSED_PAD src0_sel:WORD_0 src1_sel:DWORD
	v_mul_u32_u24_sdwa v89, v89, s46 dst_sel:DWORD dst_unused:UNUSED_PAD src0_sel:WORD_1 src1_sel:DWORD
	s_add_i32 s6, s0, s6
	v_pk_fma_f16 v10, v90, v41, v10
	v_pk_fma_f16 v11, v90, v44, v11
	;; [unrolled: 1-line block ×8, first 2 shown]
	s_cmp_ge_i32 s6, s30
	v_pk_fma_f16 v13, v92, v86, v10
	v_pk_fma_f16 v28, v92, v87, v11
	;; [unrolled: 1-line block ×8, first 2 shown]
	s_cbranch_scc0 .LBB21_9
; %bb.10:
	buffer_load_dword v42, off, s[52:55], 0 offset:68 ; 4-byte Folded Reload
	buffer_load_dword v43, off, s[52:55], 0 offset:72 ; 4-byte Folded Reload
	;; [unrolled: 1-line block ×4, first 2 shown]
.LBB21_11:
	v_cmp_lt_i32_e32 vcc, v52, v55
	v_cndmask_b32_e32 v5, v54, v52, vcc
	v_lshlrev_b32_e32 v5, 2, v5
	ds_bpermute_b32 v6, v5, v78
	ds_bpermute_b32 v12, v5, v75
	ds_bpermute_b32 v19, v5, v76
	ds_bpermute_b32 v5, v5, v77
	v_cmp_lt_i32_e32 vcc, v60, v55
	v_cndmask_b32_e32 v7, v54, v60, vcc
	v_lshlrev_b32_e32 v7, 2, v7
	s_waitcnt lgkmcnt(3)
	v_add_f32_e32 v6, v78, v6
	s_waitcnt lgkmcnt(2)
	v_add_f32_e32 v12, v75, v12
	s_waitcnt lgkmcnt(1)
	v_add_f32_e32 v19, v76, v19
	s_waitcnt lgkmcnt(0)
	v_add_f32_e32 v5, v77, v5
	ds_bpermute_b32 v8, v7, v6
	ds_bpermute_b32 v20, v7, v12
	ds_bpermute_b32 v21, v7, v19
	ds_bpermute_b32 v7, v7, v5
	v_cmp_lt_i32_e32 vcc, v59, v55
	v_cndmask_b32_e32 v9, v54, v59, vcc
	v_lshlrev_b32_e32 v9, 2, v9
	s_waitcnt lgkmcnt(3)
	v_add_f32_e32 v6, v6, v8
	s_waitcnt lgkmcnt(2)
	v_add_f32_e32 v12, v12, v20
	s_waitcnt lgkmcnt(1)
	v_add_f32_e32 v19, v19, v21
	s_waitcnt lgkmcnt(0)
	v_add_f32_e32 v5, v5, v7
	;; [unrolled: 15-line block ×4, first 2 shown]
	ds_bpermute_b32 v8, v11, v6
	ds_bpermute_b32 v10, v11, v9
	;; [unrolled: 1-line block ×4, first 2 shown]
	s_cmp_lg_u64 s[44:45], 0
	s_cselect_b64 s[0:1], -1, 0
	s_cmp_eq_u32 s7, 0
	s_cselect_b64 s[2:3], -1, 0
	s_and_b64 s[0:1], s[2:3], s[0:1]
	s_waitcnt lgkmcnt(3)
	v_add_f32_e32 v5, v6, v8
	s_waitcnt lgkmcnt(2)
	v_add_f32_e32 v6, v9, v10
	;; [unrolled: 2-line block ×4, first 2 shown]
	s_and_b64 vcc, exec, s[0:1]
	s_cbranch_vccz .LBB21_14
; %bb.12:
	s_ashr_i32 s29, s28, 31
	s_lshl_b64 s[0:1], s[28:29], 2
	s_add_u32 s0, s44, s0
	s_addc_u32 s1, s45, s1
	v_mov_b32_e32 v0, 0
	global_load_dwordx4 v[9:12], v0, s[0:1]
	v_max_f32_e32 v0, v1, v1
	v_max_f32_e32 v20, v2, v2
	s_mov_b32 s2, 0x3fb8aa3b
	v_max_f32_e32 v21, v3, v3
	s_mov_b32 s1, 0xc2ce8ed0
	s_mov_b32 s0, 0x42b17218
	v_mov_b32_e32 v23, 0x7f800000
	s_waitcnt vmcnt(0)
	v_max_f32_e32 v19, v9, v9
	v_max_f32_e32 v19, v0, v19
	;; [unrolled: 1-line block ×3, first 2 shown]
	v_sub_f32_e32 v0, v1, v19
	v_max_f32_e32 v20, v20, v22
	v_sub_f32_e32 v1, v9, v19
	v_mul_f32_e32 v9, 0x3fb8aa3b, v0
	v_max_f32_e32 v24, v11, v11
	v_sub_f32_e32 v2, v2, v20
	v_mul_f32_e32 v22, 0x3fb8aa3b, v1
	v_fma_f32 v30, v0, s2, -v9
	v_rndne_f32_e32 v31, v9
	v_max_f32_e32 v21, v21, v24
	v_sub_f32_e32 v10, v10, v20
	v_mul_f32_e32 v24, 0x3fb8aa3b, v2
	v_fma_f32 v32, v1, s2, -v22
	v_rndne_f32_e32 v33, v22
	v_fmac_f32_e32 v30, 0x32a5705f, v0
	v_sub_f32_e32 v9, v9, v31
	v_mul_f32_e32 v25, 0x3fb8aa3b, v10
	v_fma_f32 v34, v2, s2, -v24
	v_rndne_f32_e32 v35, v24
	v_fmac_f32_e32 v32, 0x32a5705f, v1
	v_sub_f32_e32 v22, v22, v33
	v_add_f32_e32 v9, v9, v30
	v_fma_f32 v36, v10, s2, -v25
	v_rndne_f32_e32 v37, v25
	v_cvt_i32_f32_e32 v31, v31
	v_fmac_f32_e32 v34, 0x32a5705f, v2
	v_sub_f32_e32 v24, v24, v35
	v_add_f32_e32 v22, v22, v32
	v_exp_f32_e32 v9, v9
	v_cvt_i32_f32_e32 v33, v33
	v_fmac_f32_e32 v36, 0x32a5705f, v10
	v_sub_f32_e32 v25, v25, v37
	v_add_f32_e32 v24, v24, v34
	v_exp_f32_e32 v22, v22
	v_cvt_i32_f32_e32 v35, v35
	v_add_f32_e32 v25, v25, v36
	v_exp_f32_e32 v24, v24
	v_cvt_i32_f32_e32 v37, v37
	v_exp_f32_e32 v25, v25
	v_ldexp_f32 v9, v9, v31
	v_cmp_ngt_f32_e32 vcc, s1, v0
	v_ldexp_f32 v22, v22, v33
	v_cndmask_b32_e32 v9, 0, v9, vcc
	v_cmp_ngt_f32_e32 vcc, s1, v1
	v_sub_f32_e32 v3, v3, v21
	v_ldexp_f32 v24, v24, v35
	v_cndmask_b32_e32 v22, 0, v22, vcc
	v_cmp_ngt_f32_e32 vcc, s1, v2
	v_mul_f32_e32 v26, 0x3fb8aa3b, v3
	v_ldexp_f32 v25, v25, v37
	v_cndmask_b32_e32 v24, 0, v24, vcc
	v_cmp_ngt_f32_e32 vcc, s1, v10
	v_sub_f32_e32 v11, v11, v21
	v_fma_f32 v38, v3, s2, -v26
	v_rndne_f32_e32 v39, v26
	v_cndmask_b32_e32 v25, 0, v25, vcc
	v_cmp_nlt_f32_e32 vcc, s0, v0
	v_mul_f32_e32 v29, 0x3fb8aa3b, v11
	v_fmac_f32_e32 v38, 0x32a5705f, v3
	v_sub_f32_e32 v26, v26, v39
	v_cndmask_b32_e32 v0, v23, v9, vcc
	v_cmp_nlt_f32_e32 vcc, s0, v1
	v_fma_f32 v40, v11, s2, -v29
	v_rndne_f32_e32 v41, v29
	v_add_f32_e32 v26, v26, v38
	v_cndmask_b32_e32 v9, v23, v22, vcc
	v_cmp_nlt_f32_e32 vcc, s0, v2
	v_cvt_i32_f32_e32 v39, v39
	v_fmac_f32_e32 v40, 0x32a5705f, v11
	v_sub_f32_e32 v29, v29, v41
	v_exp_f32_e32 v26, v26
	v_cndmask_b32_e32 v1, v23, v24, vcc
	v_cvt_f16_f32_e32 v2, v0
	v_add_f32_e32 v29, v29, v40
	v_cvt_f16_f32_e32 v22, v1
	v_cvt_i32_f32_e32 v41, v41
	v_exp_f32_e32 v29, v29
	v_cmp_nlt_f32_e32 vcc, s0, v10
	v_ldexp_f32 v26, v26, v39
	v_cndmask_b32_e32 v10, v23, v25, vcc
	v_fmac_f32_e32 v9, v5, v0
	v_mul_u32_u24_e32 v0, 0x10001, v2
	v_cmp_ngt_f32_e32 vcc, s1, v3
	v_fmac_f32_e32 v10, v6, v1
	v_mul_u32_u24_e32 v1, 0x10001, v22
	v_pk_mul_f16 v13, v13, v0
	v_pk_mul_f16 v14, v14, v0
	v_cndmask_b32_e32 v0, 0, v26, vcc
	v_cmp_nlt_f32_e32 vcc, s0, v3
	v_pk_mul_f16 v28, v28, v1
	v_pk_mul_f16 v18, v18, v1
	v_cndmask_b32_e32 v0, v23, v0, vcc
	v_ldexp_f32 v1, v29, v41
	v_cmp_ngt_f32_e32 vcc, s1, v11
	v_cndmask_b32_e32 v1, 0, v1, vcc
	v_cmp_nlt_f32_e32 vcc, s0, v11
	v_cndmask_b32_e32 v11, v23, v1, vcc
	v_max_f32_e32 v1, v12, v12
	v_max_f32_e32 v2, v4, v4
	v_max_f32_e32 v22, v2, v1
	v_sub_f32_e32 v1, v4, v22
	v_mul_f32_e32 v2, 0x3fb8aa3b, v1
	v_fma_f32 v3, v1, s2, -v2
	v_rndne_f32_e32 v4, v2
	v_fmac_f32_e32 v3, 0x32a5705f, v1
	v_sub_f32_e32 v2, v2, v4
	v_fmac_f32_e32 v11, v7, v0
	v_cvt_f16_f32_e32 v0, v0
	v_add_f32_e32 v2, v2, v3
	v_exp_f32_e32 v2, v2
	v_cvt_i32_f32_e32 v3, v4
	v_mul_u32_u24_e32 v0, 0x10001, v0
	v_pk_mul_f16 v27, v27, v0
	v_pk_mul_f16 v17, v17, v0
	v_ldexp_f32 v0, v2, v3
	v_sub_f32_e32 v2, v12, v22
	v_mul_f32_e32 v3, 0x3fb8aa3b, v2
	v_fma_f32 v4, v2, s2, -v3
	v_rndne_f32_e32 v5, v3
	v_fmac_f32_e32 v4, 0x32a5705f, v2
	v_sub_f32_e32 v3, v3, v5
	v_add_f32_e32 v3, v3, v4
	v_exp_f32_e32 v3, v3
	v_cvt_i32_f32_e32 v4, v5
	v_cmp_ngt_f32_e32 vcc, s1, v1
	v_cndmask_b32_e32 v0, 0, v0, vcc
	v_cmp_nlt_f32_e32 vcc, s0, v1
	v_cndmask_b32_e32 v0, v23, v0, vcc
	v_ldexp_f32 v1, v3, v4
	v_cvt_f16_f32_e32 v3, v0
	v_cmp_ngt_f32_e32 vcc, s1, v2
	v_cndmask_b32_e32 v1, 0, v1, vcc
	v_cmp_nlt_f32_e32 vcc, s0, v2
	v_cndmask_b32_e32 v12, v23, v1, vcc
	v_fmac_f32_e32 v12, v8, v0
	v_mul_u32_u24_e32 v0, 0x10001, v3
	v_mov_b32_e32 v1, v19
	v_pk_mul_f16 v16, v16, v0
	v_pk_mul_f16 v15, v15, v0
	v_mov_b32_e32 v2, v20
	v_mov_b32_e32 v3, v21
	;; [unrolled: 1-line block ×7, first 2 shown]
	v_cmp_gt_i32_e32 vcc, s26, v43
	s_and_saveexec_b64 s[0:1], vcc
	s_cbranch_execnz .LBB21_15
.LBB21_13:
	s_endpgm
.LBB21_14:
	v_mov_b32_e32 v12, v8
	v_mov_b32_e32 v11, v7
	;; [unrolled: 1-line block ×4, first 2 shown]
	s_waitcnt vmcnt(1)
	v_cmp_gt_i32_e32 vcc, s26, v43
	s_and_saveexec_b64 s[0:1], vcc
	s_cbranch_execz .LBB21_13
.LBB21_15:
	s_load_dword s6, s[4:5], 0xd4
	v_mov_b32_e32 v19, 1.0
	s_waitcnt lgkmcnt(0)
	s_cmp_lg_u32 s6, 1
	s_cselect_b64 s[0:1], -1, 0
	s_cmp_eq_u32 s6, 1
	s_cselect_b64 s[4:5], -1, 0
	s_and_b64 vcc, exec, s[0:1]
	s_cbranch_vccnz .LBB21_17
; %bb.16:
	v_div_scale_f32 v0, s[2:3], v5, v5, 1.0
	v_div_scale_f32 v19, vcc, 1.0, v5, 1.0
	v_rcp_f32_e32 v20, v0
	v_fma_f32 v21, -v0, v20, 1.0
	v_fmac_f32_e32 v20, v21, v20
	v_mul_f32_e32 v21, v19, v20
	v_fma_f32 v22, -v0, v21, v19
	v_fmac_f32_e32 v21, v22, v20
	v_fma_f32 v0, -v0, v21, v19
	v_div_fmas_f32 v0, v0, v20, v21
	v_div_fixup_f32 v19, v0, v5, 1.0
.LBB21_17:
	s_mul_i32 s33, s33, s26
	v_add_u32_e32 v0, s33, v43
	v_mul_lo_u32 v0, v0, s27
	v_cvt_f32_f16_e32 v5, v13
	v_cvt_f32_f16_sdwa v21, v13 dst_sel:DWORD dst_unused:UNUSED_PAD src0_sel:WORD_1
	v_mov_b32_e32 v25, 0
	v_add_u32_e32 v0, s28, v0
	v_mul_lo_u32 v0, s6, v0
	v_cvt_f32_f16_e32 v22, v14
	v_cmp_eq_u32_e32 vcc, 0, v42
	s_and_b64 s[2:3], vcc, s[0:1]
	v_add_u32_e32 v13, s7, v0
	v_cvt_f32_f16_sdwa v0, v14 dst_sel:DWORD dst_unused:UNUSED_PAD src0_sel:WORD_1
	s_waitcnt vmcnt(0)
	v_lshl_add_u32 v24, v13, 7, v44
	v_lshlrev_b64 v[24:25], 2, v[24:25]
	v_mul_f32_e32 v20, v19, v5
	v_mul_f32_e32 v23, v19, v0
	v_mov_b32_e32 v0, s49
	v_add_co_u32_e32 v24, vcc, s48, v24
	v_mul_f32_e32 v21, v19, v21
	v_mul_f32_e32 v22, v19, v22
	v_addc_co_u32_e32 v25, vcc, v0, v25, vcc
	global_store_dwordx4 v[24:25], v[20:23], off
	s_and_saveexec_b64 s[0:1], s[2:3]
	s_cbranch_execz .LBB21_19
; %bb.18:
	v_ashrrev_i32_e32 v14, 31, v13
	v_lshlrev_b64 v[19:20], 3, v[13:14]
	v_mov_b32_e32 v0, s51
	v_add_co_u32_e32 v19, vcc, s50, v19
	v_addc_co_u32_e32 v20, vcc, v0, v20, vcc
	v_mov_b32_e32 v0, v1
	v_mov_b32_e32 v1, v9
	global_store_dwordx2 v[19:20], v[0:1], off
.LBB21_19:
	s_or_b64 exec, exec, s[0:1]
	v_cndmask_b32_e64 v0, 0, 1, s[4:5]
	v_cmp_ne_u32_e64 s[0:1], 1, v0
	s_andn2_b64 vcc, exec, s[4:5]
	v_mov_b32_e32 v1, 1.0
	s_cbranch_vccnz .LBB21_21
; %bb.20:
	v_div_scale_f32 v0, s[4:5], v6, v6, 1.0
	v_div_scale_f32 v1, vcc, 1.0, v6, 1.0
	v_rcp_f32_e32 v5, v0
	v_fma_f32 v9, -v0, v5, 1.0
	v_fmac_f32_e32 v5, v9, v5
	v_mul_f32_e32 v9, v1, v5
	v_fma_f32 v14, -v0, v9, v1
	v_fmac_f32_e32 v9, v14, v5
	v_fma_f32 v0, -v0, v9, v1
	v_div_fmas_f32 v0, v0, v5, v9
	v_div_fixup_f32 v1, v0, v6, 1.0
.LBB21_21:
	v_add_u32_e32 v0, s6, v13
	v_cvt_f32_f16_e32 v9, v28
	v_cvt_f32_f16_sdwa v13, v28 dst_sel:DWORD dst_unused:UNUSED_PAD src0_sel:WORD_1
	v_cvt_f32_f16_e32 v14, v18
	v_cvt_f32_f16_sdwa v21, v18 dst_sel:DWORD dst_unused:UNUSED_PAD src0_sel:WORD_1
	v_lshl_add_u32 v5, v0, 7, v44
	v_mov_b32_e32 v6, 0
	v_lshlrev_b64 v[5:6], 2, v[5:6]
	v_mul_f32_e32 v18, v1, v9
	v_mul_f32_e32 v19, v1, v13
	;; [unrolled: 1-line block ×4, first 2 shown]
	v_mov_b32_e32 v1, s49
	v_add_co_u32_e32 v5, vcc, s48, v5
	v_addc_co_u32_e32 v6, vcc, v1, v6, vcc
	global_store_dwordx4 v[5:6], v[18:21], off
	s_and_saveexec_b64 s[4:5], s[2:3]
	s_cbranch_execz .LBB21_23
; %bb.22:
	v_ashrrev_i32_e32 v1, 31, v0
	v_lshlrev_b64 v[5:6], 3, v[0:1]
	v_mov_b32_e32 v1, s51
	v_add_co_u32_e32 v5, vcc, s50, v5
	v_addc_co_u32_e32 v6, vcc, v1, v6, vcc
	v_mov_b32_e32 v9, v2
	global_store_dwordx2 v[5:6], v[9:10], off
.LBB21_23:
	s_or_b64 exec, exec, s[4:5]
	s_and_b64 vcc, exec, s[0:1]
	v_mov_b32_e32 v1, 1.0
	s_cbranch_vccnz .LBB21_25
; %bb.24:
	v_div_scale_f32 v1, s[4:5], v7, v7, 1.0
	v_div_scale_f32 v2, vcc, 1.0, v7, 1.0
	v_rcp_f32_e32 v5, v1
	v_fma_f32 v6, -v1, v5, 1.0
	v_fmac_f32_e32 v5, v6, v5
	v_mul_f32_e32 v6, v2, v5
	v_fma_f32 v9, -v1, v6, v2
	v_fmac_f32_e32 v6, v9, v5
	v_fma_f32 v1, -v1, v6, v2
	v_div_fmas_f32 v1, v1, v5, v6
	v_div_fixup_f32 v1, v1, v7, 1.0
.LBB21_25:
	v_cvt_f32_f16_e32 v2, v27
	v_cvt_f32_f16_sdwa v7, v27 dst_sel:DWORD dst_unused:UNUSED_PAD src0_sel:WORD_1
	v_cvt_f32_f16_e32 v9, v17
	v_cvt_f32_f16_sdwa v10, v17 dst_sel:DWORD dst_unused:UNUSED_PAD src0_sel:WORD_1
	v_add_u32_e32 v0, s6, v0
	v_lshl_add_u32 v5, v0, 7, v44
	v_mov_b32_e32 v6, 0
	v_mul_f32_e32 v17, v1, v2
	v_mul_f32_e32 v18, v1, v7
	;; [unrolled: 1-line block ×4, first 2 shown]
	v_lshlrev_b64 v[1:2], 2, v[5:6]
	v_mov_b32_e32 v5, s49
	v_add_co_u32_e32 v1, vcc, s48, v1
	v_addc_co_u32_e32 v2, vcc, v5, v2, vcc
	global_store_dwordx4 v[1:2], v[17:20], off
	s_and_saveexec_b64 s[4:5], s[2:3]
	s_cbranch_execz .LBB21_27
; %bb.26:
	v_ashrrev_i32_e32 v1, 31, v0
	v_lshlrev_b64 v[1:2], 3, v[0:1]
	v_mov_b32_e32 v5, s51
	v_add_co_u32_e32 v1, vcc, s50, v1
	v_addc_co_u32_e32 v2, vcc, v5, v2, vcc
	v_mov_b32_e32 v10, v3
	global_store_dwordx2 v[1:2], v[10:11], off
.LBB21_27:
	s_or_b64 exec, exec, s[4:5]
	s_and_b64 vcc, exec, s[0:1]
	v_mov_b32_e32 v1, 1.0
	s_cbranch_vccnz .LBB21_29
; %bb.28:
	v_div_scale_f32 v1, s[0:1], v8, v8, 1.0
	v_div_scale_f32 v2, vcc, 1.0, v8, 1.0
	v_rcp_f32_e32 v3, v1
	v_fma_f32 v5, -v1, v3, 1.0
	v_fmac_f32_e32 v3, v5, v3
	v_mul_f32_e32 v5, v2, v3
	v_fma_f32 v6, -v1, v5, v2
	v_fmac_f32_e32 v5, v6, v3
	v_fma_f32 v1, -v1, v5, v2
	v_div_fmas_f32 v1, v1, v3, v5
	v_div_fixup_f32 v1, v1, v8, 1.0
.LBB21_29:
	v_cvt_f32_f16_e32 v5, v16
	v_cvt_f32_f16_sdwa v6, v16 dst_sel:DWORD dst_unused:UNUSED_PAD src0_sel:WORD_1
	v_cvt_f32_f16_e32 v7, v15
	v_cvt_f32_f16_sdwa v8, v15 dst_sel:DWORD dst_unused:UNUSED_PAD src0_sel:WORD_1
	v_add_u32_e32 v0, s6, v0
	v_lshl_add_u32 v2, v0, 7, v44
	v_mov_b32_e32 v3, 0
	v_mul_f32_e32 v5, v1, v5
	v_mul_f32_e32 v6, v1, v6
	;; [unrolled: 1-line block ×4, first 2 shown]
	v_lshlrev_b64 v[1:2], 2, v[2:3]
	v_mov_b32_e32 v3, s49
	v_add_co_u32_e32 v1, vcc, s48, v1
	v_addc_co_u32_e32 v2, vcc, v3, v2, vcc
	global_store_dwordx4 v[1:2], v[5:8], off
	s_and_b64 exec, exec, s[2:3]
	s_cbranch_execz .LBB21_13
; %bb.30:
	v_ashrrev_i32_e32 v1, 31, v0
	v_lshlrev_b64 v[0:1], 3, v[0:1]
	v_mov_b32_e32 v2, s51
	v_add_co_u32_e32 v0, vcc, s50, v0
	v_addc_co_u32_e32 v1, vcc, v2, v1, vcc
	v_mov_b32_e32 v11, v4
	global_store_dwordx2 v[0:1], v[11:12], off
	s_endpgm
	.section	.rodata,"a",@progbits
	.p2align	6, 0x0
	.amdhsa_kernel _ZL15flash_attn_tileILi128ELi128ELi8ELi4ELb0EEvPKcS1_S1_S1_S1_PKiPfP15HIP_vector_typeIfLj2EEffffjfiS5_IjLj3EEiiiiiiiiiiiliiliiiiil
		.amdhsa_group_segment_fixed_size 21504
		.amdhsa_private_segment_fixed_size 88
		.amdhsa_kernarg_size 464
		.amdhsa_user_sgpr_count 6
		.amdhsa_user_sgpr_private_segment_buffer 1
		.amdhsa_user_sgpr_dispatch_ptr 0
		.amdhsa_user_sgpr_queue_ptr 0
		.amdhsa_user_sgpr_kernarg_segment_ptr 1
		.amdhsa_user_sgpr_dispatch_id 0
		.amdhsa_user_sgpr_flat_scratch_init 0
		.amdhsa_user_sgpr_private_segment_size 0
		.amdhsa_uses_dynamic_stack 0
		.amdhsa_system_sgpr_private_segment_wavefront_offset 1
		.amdhsa_system_sgpr_workgroup_id_x 1
		.amdhsa_system_sgpr_workgroup_id_y 1
		.amdhsa_system_sgpr_workgroup_id_z 1
		.amdhsa_system_sgpr_workgroup_info 0
		.amdhsa_system_vgpr_workitem_id 1
		.amdhsa_next_free_vgpr 128
		.amdhsa_next_free_sgpr 98
		.amdhsa_reserve_vcc 1
		.amdhsa_reserve_flat_scratch 0
		.amdhsa_float_round_mode_32 0
		.amdhsa_float_round_mode_16_64 0
		.amdhsa_float_denorm_mode_32 3
		.amdhsa_float_denorm_mode_16_64 3
		.amdhsa_dx10_clamp 1
		.amdhsa_ieee_mode 1
		.amdhsa_fp16_overflow 0
		.amdhsa_exception_fp_ieee_invalid_op 0
		.amdhsa_exception_fp_denorm_src 0
		.amdhsa_exception_fp_ieee_div_zero 0
		.amdhsa_exception_fp_ieee_overflow 0
		.amdhsa_exception_fp_ieee_underflow 0
		.amdhsa_exception_fp_ieee_inexact 0
		.amdhsa_exception_int_div_zero 0
	.end_amdhsa_kernel
	.section	.text._ZL15flash_attn_tileILi128ELi128ELi8ELi4ELb0EEvPKcS1_S1_S1_S1_PKiPfP15HIP_vector_typeIfLj2EEffffjfiS5_IjLj3EEiiiiiiiiiiiliiliiiiil,"axG",@progbits,_ZL15flash_attn_tileILi128ELi128ELi8ELi4ELb0EEvPKcS1_S1_S1_S1_PKiPfP15HIP_vector_typeIfLj2EEffffjfiS5_IjLj3EEiiiiiiiiiiiliiliiiiil,comdat
.Lfunc_end21:
	.size	_ZL15flash_attn_tileILi128ELi128ELi8ELi4ELb0EEvPKcS1_S1_S1_S1_PKiPfP15HIP_vector_typeIfLj2EEffffjfiS5_IjLj3EEiiiiiiiiiiiliiliiiiil, .Lfunc_end21-_ZL15flash_attn_tileILi128ELi128ELi8ELi4ELb0EEvPKcS1_S1_S1_S1_PKiPfP15HIP_vector_typeIfLj2EEffffjfiS5_IjLj3EEiiiiiiiiiiiliiliiiiil
                                        ; -- End function
	.set _ZL15flash_attn_tileILi128ELi128ELi8ELi4ELb0EEvPKcS1_S1_S1_S1_PKiPfP15HIP_vector_typeIfLj2EEffffjfiS5_IjLj3EEiiiiiiiiiiiliiliiiiil.num_vgpr, 128
	.set _ZL15flash_attn_tileILi128ELi128ELi8ELi4ELb0EEvPKcS1_S1_S1_S1_PKiPfP15HIP_vector_typeIfLj2EEffffjfiS5_IjLj3EEiiiiiiiiiiiliiliiiiil.num_agpr, 0
	.set _ZL15flash_attn_tileILi128ELi128ELi8ELi4ELb0EEvPKcS1_S1_S1_S1_PKiPfP15HIP_vector_typeIfLj2EEffffjfiS5_IjLj3EEiiiiiiiiiiiliiliiiiil.numbered_sgpr, 56
	.set _ZL15flash_attn_tileILi128ELi128ELi8ELi4ELb0EEvPKcS1_S1_S1_S1_PKiPfP15HIP_vector_typeIfLj2EEffffjfiS5_IjLj3EEiiiiiiiiiiiliiliiiiil.num_named_barrier, 0
	.set _ZL15flash_attn_tileILi128ELi128ELi8ELi4ELb0EEvPKcS1_S1_S1_S1_PKiPfP15HIP_vector_typeIfLj2EEffffjfiS5_IjLj3EEiiiiiiiiiiiliiliiiiil.private_seg_size, 88
	.set _ZL15flash_attn_tileILi128ELi128ELi8ELi4ELb0EEvPKcS1_S1_S1_S1_PKiPfP15HIP_vector_typeIfLj2EEffffjfiS5_IjLj3EEiiiiiiiiiiiliiliiiiil.uses_vcc, 1
	.set _ZL15flash_attn_tileILi128ELi128ELi8ELi4ELb0EEvPKcS1_S1_S1_S1_PKiPfP15HIP_vector_typeIfLj2EEffffjfiS5_IjLj3EEiiiiiiiiiiiliiliiiiil.uses_flat_scratch, 0
	.set _ZL15flash_attn_tileILi128ELi128ELi8ELi4ELb0EEvPKcS1_S1_S1_S1_PKiPfP15HIP_vector_typeIfLj2EEffffjfiS5_IjLj3EEiiiiiiiiiiiliiliiiiil.has_dyn_sized_stack, 0
	.set _ZL15flash_attn_tileILi128ELi128ELi8ELi4ELb0EEvPKcS1_S1_S1_S1_PKiPfP15HIP_vector_typeIfLj2EEffffjfiS5_IjLj3EEiiiiiiiiiiiliiliiiiil.has_recursion, 0
	.set _ZL15flash_attn_tileILi128ELi128ELi8ELi4ELb0EEvPKcS1_S1_S1_S1_PKiPfP15HIP_vector_typeIfLj2EEffffjfiS5_IjLj3EEiiiiiiiiiiiliiliiiiil.has_indirect_call, 0
	.section	.AMDGPU.csdata,"",@progbits
; Kernel info:
; codeLenInByte = 18916
; TotalNumSgprs: 60
; NumVgprs: 128
; ScratchSize: 88
; MemoryBound: 0
; FloatMode: 240
; IeeeMode: 1
; LDSByteSize: 21504 bytes/workgroup (compile time only)
; SGPRBlocks: 12
; VGPRBlocks: 31
; NumSGPRsForWavesPerEU: 102
; NumVGPRsForWavesPerEU: 128
; Occupancy: 2
; WaveLimiterHint : 1
; COMPUTE_PGM_RSRC2:SCRATCH_EN: 1
; COMPUTE_PGM_RSRC2:USER_SGPR: 6
; COMPUTE_PGM_RSRC2:TRAP_HANDLER: 0
; COMPUTE_PGM_RSRC2:TGID_X_EN: 1
; COMPUTE_PGM_RSRC2:TGID_Y_EN: 1
; COMPUTE_PGM_RSRC2:TGID_Z_EN: 1
; COMPUTE_PGM_RSRC2:TIDIG_COMP_CNT: 1
	.section	.text._ZL33flash_attn_stream_k_fixup_uniformILi128ELi8ELi4EEvPfPK15HIP_vector_typeIfLj2EEiiiiiiS1_IjLj3EES5_S5_,"axG",@progbits,_ZL33flash_attn_stream_k_fixup_uniformILi128ELi8ELi4EEvPfPK15HIP_vector_typeIfLj2EEiiiiiiS1_IjLj3EES5_S5_,comdat
	.globl	_ZL33flash_attn_stream_k_fixup_uniformILi128ELi8ELi4EEvPfPK15HIP_vector_typeIfLj2EEiiiiiiS1_IjLj3EES5_S5_ ; -- Begin function _ZL33flash_attn_stream_k_fixup_uniformILi128ELi8ELi4EEvPfPK15HIP_vector_typeIfLj2EEiiiiiiS1_IjLj3EES5_S5_
	.p2align	8
	.type	_ZL33flash_attn_stream_k_fixup_uniformILi128ELi8ELi4EEvPfPK15HIP_vector_typeIfLj2EEiiiiiiS1_IjLj3EES5_S5_,@function
_ZL33flash_attn_stream_k_fixup_uniformILi128ELi8ELi4EEvPfPK15HIP_vector_typeIfLj2EEiiiiiiS1_IjLj3EES5_S5_: ; @_ZL33flash_attn_stream_k_fixup_uniformILi128ELi8ELi4EEvPfPK15HIP_vector_typeIfLj2EEiiiiiiS1_IjLj3EES5_S5_
; %bb.0:
	s_load_dwordx8 s[12:19], s[4:5], 0x1c
	s_load_dwordx2 s[10:11], s[4:5], 0x10
	s_load_dwordx4 s[0:3], s[4:5], 0x3c
	s_waitcnt lgkmcnt(0)
	s_mul_hi_u32 s9, s15, s6
	s_add_i32 s9, s6, s9
	s_lshr_b32 s9, s9, s16
	s_mul_i32 s15, s9, s17
	s_sub_i32 s15, s6, s15
	s_mul_hi_u32 s16, s15, s18
	s_add_i32 s16, s15, s16
	s_lshr_b32 s16, s16, s19
	s_mul_i32 s0, s16, s0
	s_sub_i32 s0, s15, s0
	;; [unrolled: 5-line block ×3, first 2 shown]
	s_lshl_b32 s0, s17, 3
	s_lshl_b32 s15, s1, 2
	s_add_i32 s0, s0, s7
	s_cmp_lt_i32 s0, s10
	s_cselect_b64 s[0:1], -1, 0
	s_add_i32 s2, s15, s8
	s_cmp_lt_i32 s2, s13
	s_cselect_b64 s[2:3], -1, 0
	s_and_b64 s[0:1], s[0:1], s[2:3]
	s_andn2_b64 vcc, exec, s[0:1]
	s_cbranch_vccnz .LBB22_6
; %bb.1:
	s_load_dwordx4 s[0:3], s[4:5], 0x0
	s_mul_i32 s4, s9, s10
	s_add_i32 s4, s4, s7
	s_mul_i32 s4, s4, s11
	s_mul_i32 s16, s16, s13
	s_add_i32 s4, s4, s8
	s_add_i32 s4, s4, s16
	s_mul_i32 s5, s11, s17
	s_add_i32 s4, s4, s15
	s_lshl_b32 s5, s5, 10
	s_lshl_b32 s4, s4, 7
	s_add_i32 s5, s5, s4
	v_or_b32_e32 v1, s5, v0
	v_ashrrev_i32_e32 v2, 31, v1
	v_lshlrev_b64 v[1:2], 2, v[1:2]
	s_waitcnt lgkmcnt(0)
	v_mov_b32_e32 v3, s1
	v_add_co_u32_e32 v1, vcc, s0, v1
	v_addc_co_u32_e32 v2, vcc, v3, v2, vcc
	global_load_dword v8, v[1:2], off
	s_mul_i32 s9, s14, s6
	s_lshl_b32 s4, s7, 2
	s_add_i32 s11, s9, s14
	s_add_i32 s0, s4, s8
	s_lshl_b32 s1, s11, 5
	s_add_i32 s0, s0, s1
	s_sub_i32 s0, s0, 32
	s_ashr_i32 s1, s0, 31
	s_lshl_b64 s[0:1], s[0:1], 3
	s_add_u32 s0, s2, s0
	s_addc_u32 s1, s3, s1
	s_load_dword s5, s[0:1], 0x4
	s_add_i32 s10, s11, -2
	s_cmp_lt_i32 s10, s9
	s_cbranch_scc1 .LBB22_4
; %bb.2:
	s_lshl_b32 s16, s12, 7
	s_ashr_i32 s17, s16, 31
	s_lshl_b64 s[16:17], s[16:17], 2
	s_add_u32 s10, s2, s16
	s_addc_u32 s13, s3, s17
	s_add_i32 s6, s6, 1
	s_load_dword s0, s[0:1], 0x0
	s_mul_i32 s1, s14, s6
	s_lshl_b32 s7, s7, 9
	s_lshl_b32 s14, s8, 7
	;; [unrolled: 1-line block ×3, first 2 shown]
	s_add_i32 s7, s14, s7
	s_lshl_b32 s1, s1, 5
	s_add_i32 s7, s7, s6
	s_add_i32 s1, s8, s1
	s_lshl_b32 s6, s12, 5
	s_add_i32 s1, s1, s6
	v_or_b32_e32 v0, s7, v0
	s_add_i32 s1, s1, s4
	s_add_i32 s11, s11, -1
	v_add_u32_e32 v3, 0xffffe000, v0
	s_sub_i32 s4, s1, 64
	s_waitcnt lgkmcnt(0)
	v_mov_b32_e32 v7, s5
	v_mov_b32_e32 v6, s0
	;; [unrolled: 1-line block ×3, first 2 shown]
	s_mov_b32 s6, 0x3fb8aa3b
	s_mov_b32 s7, 0xc2ce8ed0
	;; [unrolled: 1-line block ×3, first 2 shown]
	v_mov_b32_e32 v5, 0x7f800000
	s_mov_b32 s12, 0xc1a00000
.LBB22_3:                               ; =>This Inner Loop Header: Depth=1
	v_ashrrev_i32_e32 v4, 31, v3
	v_lshlrev_b64 v[9:10], 2, v[3:4]
	s_ashr_i32 s5, s4, 31
	v_add_co_u32_e32 v9, vcc, s10, v9
	v_addc_co_u32_e32 v10, vcc, v0, v10, vcc
	global_load_dword v4, v[9:10], off
	s_lshl_b64 s[0:1], s[4:5], 3
	s_add_u32 s0, s2, s0
	s_addc_u32 s1, s3, s1
	s_load_dwordx2 s[14:15], s[0:1], 0x0
	s_waitcnt vmcnt(1)
	v_mov_b32_e32 v9, v8
	v_max_f32_e32 v8, v6, v6
	v_mov_b32_e32 v10, v7
	s_add_i32 s11, s11, -1
	s_waitcnt lgkmcnt(0)
	v_max_f32_e64 v7, s14, s14
	v_max_f32_e32 v7, v8, v7
	v_sub_f32_e32 v11, s14, v7
	v_sub_f32_e32 v8, v6, v7
	v_mul_f32_e32 v12, 0x3fb8aa3b, v11
	v_mov_b32_e32 v6, v7
	v_mul_f32_e32 v7, 0x3fb8aa3b, v8
	v_fma_f32 v15, v11, s6, -v12
	v_rndne_f32_e32 v16, v12
	v_fma_f32 v13, v8, s6, -v7
	v_rndne_f32_e32 v14, v7
	v_fmac_f32_e32 v15, 0x32a5705f, v11
	v_sub_f32_e32 v12, v12, v16
	v_fmac_f32_e32 v13, 0x32a5705f, v8
	v_sub_f32_e32 v7, v7, v14
	v_add_f32_e32 v12, v12, v15
	v_cvt_i32_f32_e32 v16, v16
	v_add_f32_e32 v7, v7, v13
	v_exp_f32_e32 v12, v12
	v_cvt_i32_f32_e32 v14, v14
	v_exp_f32_e32 v7, v7
	v_cmp_ngt_f32_e32 vcc, s7, v11
	v_ldexp_f32 v12, v12, v16
	v_cmp_ngt_f32_e64 s[0:1], s7, v8
	v_ldexp_f32 v7, v7, v14
	v_cndmask_b32_e32 v12, 0, v12, vcc
	v_cmp_nlt_f32_e32 vcc, s8, v11
	v_cndmask_b32_e64 v7, 0, v7, s[0:1]
	v_cmp_nlt_f32_e64 s[0:1], s8, v8
	v_cndmask_b32_e32 v12, v5, v12, vcc
	v_cmp_le_f32_e32 vcc, s12, v11
	v_cndmask_b32_e64 v7, v5, v7, s[0:1]
	v_cmp_le_f32_e64 s[0:1], s12, v8
	v_cndmask_b32_e32 v8, 0, v12, vcc
	s_sub_i32 s4, s4, 32
	v_cndmask_b32_e64 v11, 0, v7, s[0:1]
	v_mul_f32_e32 v7, s15, v8
	v_add_u32_e32 v3, 0xfffff000, v3
	s_cmp_le_i32 s11, s9
	v_fmac_f32_e32 v7, v10, v11
	s_waitcnt vmcnt(0)
	v_mul_f32_e32 v8, v4, v8
	v_fmac_f32_e32 v8, v9, v11
	s_cbranch_scc0 .LBB22_3
	s_branch .LBB22_5
.LBB22_4:
	s_waitcnt lgkmcnt(0)
	v_mov_b32_e32 v7, s5
.LBB22_5:
	s_waitcnt vmcnt(0)
	v_div_scale_f32 v0, s[0:1], v7, v7, v8
	v_div_scale_f32 v3, vcc, v8, v7, v8
	v_rcp_f32_e32 v4, v0
	v_fma_f32 v5, -v0, v4, 1.0
	v_fmac_f32_e32 v4, v5, v4
	v_mul_f32_e32 v5, v3, v4
	v_fma_f32 v6, -v0, v5, v3
	v_fmac_f32_e32 v5, v6, v4
	v_fma_f32 v0, -v0, v5, v3
	v_div_fmas_f32 v0, v0, v4, v5
	v_div_fixup_f32 v0, v0, v7, v8
	global_store_dword v[1:2], v0, off
.LBB22_6:
	s_endpgm
	.section	.rodata,"a",@progbits
	.p2align	6, 0x0
	.amdhsa_kernel _ZL33flash_attn_stream_k_fixup_uniformILi128ELi8ELi4EEvPfPK15HIP_vector_typeIfLj2EEiiiiiiS1_IjLj3EES5_S5_
		.amdhsa_group_segment_fixed_size 0
		.amdhsa_private_segment_fixed_size 0
		.amdhsa_kernarg_size 76
		.amdhsa_user_sgpr_count 6
		.amdhsa_user_sgpr_private_segment_buffer 1
		.amdhsa_user_sgpr_dispatch_ptr 0
		.amdhsa_user_sgpr_queue_ptr 0
		.amdhsa_user_sgpr_kernarg_segment_ptr 1
		.amdhsa_user_sgpr_dispatch_id 0
		.amdhsa_user_sgpr_flat_scratch_init 0
		.amdhsa_user_sgpr_private_segment_size 0
		.amdhsa_uses_dynamic_stack 0
		.amdhsa_system_sgpr_private_segment_wavefront_offset 0
		.amdhsa_system_sgpr_workgroup_id_x 1
		.amdhsa_system_sgpr_workgroup_id_y 1
		.amdhsa_system_sgpr_workgroup_id_z 1
		.amdhsa_system_sgpr_workgroup_info 0
		.amdhsa_system_vgpr_workitem_id 0
		.amdhsa_next_free_vgpr 17
		.amdhsa_next_free_sgpr 20
		.amdhsa_reserve_vcc 1
		.amdhsa_reserve_flat_scratch 0
		.amdhsa_float_round_mode_32 0
		.amdhsa_float_round_mode_16_64 0
		.amdhsa_float_denorm_mode_32 3
		.amdhsa_float_denorm_mode_16_64 3
		.amdhsa_dx10_clamp 1
		.amdhsa_ieee_mode 1
		.amdhsa_fp16_overflow 0
		.amdhsa_exception_fp_ieee_invalid_op 0
		.amdhsa_exception_fp_denorm_src 0
		.amdhsa_exception_fp_ieee_div_zero 0
		.amdhsa_exception_fp_ieee_overflow 0
		.amdhsa_exception_fp_ieee_underflow 0
		.amdhsa_exception_fp_ieee_inexact 0
		.amdhsa_exception_int_div_zero 0
	.end_amdhsa_kernel
	.section	.text._ZL33flash_attn_stream_k_fixup_uniformILi128ELi8ELi4EEvPfPK15HIP_vector_typeIfLj2EEiiiiiiS1_IjLj3EES5_S5_,"axG",@progbits,_ZL33flash_attn_stream_k_fixup_uniformILi128ELi8ELi4EEvPfPK15HIP_vector_typeIfLj2EEiiiiiiS1_IjLj3EES5_S5_,comdat
.Lfunc_end22:
	.size	_ZL33flash_attn_stream_k_fixup_uniformILi128ELi8ELi4EEvPfPK15HIP_vector_typeIfLj2EEiiiiiiS1_IjLj3EES5_S5_, .Lfunc_end22-_ZL33flash_attn_stream_k_fixup_uniformILi128ELi8ELi4EEvPfPK15HIP_vector_typeIfLj2EEiiiiiiS1_IjLj3EES5_S5_
                                        ; -- End function
	.set _ZL33flash_attn_stream_k_fixup_uniformILi128ELi8ELi4EEvPfPK15HIP_vector_typeIfLj2EEiiiiiiS1_IjLj3EES5_S5_.num_vgpr, 17
	.set _ZL33flash_attn_stream_k_fixup_uniformILi128ELi8ELi4EEvPfPK15HIP_vector_typeIfLj2EEiiiiiiS1_IjLj3EES5_S5_.num_agpr, 0
	.set _ZL33flash_attn_stream_k_fixup_uniformILi128ELi8ELi4EEvPfPK15HIP_vector_typeIfLj2EEiiiiiiS1_IjLj3EES5_S5_.numbered_sgpr, 20
	.set _ZL33flash_attn_stream_k_fixup_uniformILi128ELi8ELi4EEvPfPK15HIP_vector_typeIfLj2EEiiiiiiS1_IjLj3EES5_S5_.num_named_barrier, 0
	.set _ZL33flash_attn_stream_k_fixup_uniformILi128ELi8ELi4EEvPfPK15HIP_vector_typeIfLj2EEiiiiiiS1_IjLj3EES5_S5_.private_seg_size, 0
	.set _ZL33flash_attn_stream_k_fixup_uniformILi128ELi8ELi4EEvPfPK15HIP_vector_typeIfLj2EEiiiiiiS1_IjLj3EES5_S5_.uses_vcc, 1
	.set _ZL33flash_attn_stream_k_fixup_uniformILi128ELi8ELi4EEvPfPK15HIP_vector_typeIfLj2EEiiiiiiS1_IjLj3EES5_S5_.uses_flat_scratch, 0
	.set _ZL33flash_attn_stream_k_fixup_uniformILi128ELi8ELi4EEvPfPK15HIP_vector_typeIfLj2EEiiiiiiS1_IjLj3EES5_S5_.has_dyn_sized_stack, 0
	.set _ZL33flash_attn_stream_k_fixup_uniformILi128ELi8ELi4EEvPfPK15HIP_vector_typeIfLj2EEiiiiiiS1_IjLj3EES5_S5_.has_recursion, 0
	.set _ZL33flash_attn_stream_k_fixup_uniformILi128ELi8ELi4EEvPfPK15HIP_vector_typeIfLj2EEiiiiiiS1_IjLj3EES5_S5_.has_indirect_call, 0
	.section	.AMDGPU.csdata,"",@progbits
; Kernel info:
; codeLenInByte = 856
; TotalNumSgprs: 24
; NumVgprs: 17
; ScratchSize: 0
; MemoryBound: 0
; FloatMode: 240
; IeeeMode: 1
; LDSByteSize: 0 bytes/workgroup (compile time only)
; SGPRBlocks: 2
; VGPRBlocks: 4
; NumSGPRsForWavesPerEU: 24
; NumVGPRsForWavesPerEU: 17
; Occupancy: 10
; WaveLimiterHint : 0
; COMPUTE_PGM_RSRC2:SCRATCH_EN: 0
; COMPUTE_PGM_RSRC2:USER_SGPR: 6
; COMPUTE_PGM_RSRC2:TRAP_HANDLER: 0
; COMPUTE_PGM_RSRC2:TGID_X_EN: 1
; COMPUTE_PGM_RSRC2:TGID_Y_EN: 1
; COMPUTE_PGM_RSRC2:TGID_Z_EN: 1
; COMPUTE_PGM_RSRC2:TIDIG_COMP_CNT: 0
	.section	.text._ZL33flash_attn_stream_k_fixup_generalILi128ELi8ELi4EEvPfPK15HIP_vector_typeIfLj2EEiiiiS1_IjLj3EES5_S5_S5_,"axG",@progbits,_ZL33flash_attn_stream_k_fixup_generalILi128ELi8ELi4EEvPfPK15HIP_vector_typeIfLj2EEiiiiS1_IjLj3EES5_S5_S5_,comdat
	.globl	_ZL33flash_attn_stream_k_fixup_generalILi128ELi8ELi4EEvPfPK15HIP_vector_typeIfLj2EEiiiiS1_IjLj3EES5_S5_S5_ ; -- Begin function _ZL33flash_attn_stream_k_fixup_generalILi128ELi8ELi4EEvPfPK15HIP_vector_typeIfLj2EEiiiiS1_IjLj3EES5_S5_S5_
	.p2align	8
	.type	_ZL33flash_attn_stream_k_fixup_generalILi128ELi8ELi4EEvPfPK15HIP_vector_typeIfLj2EEiiiiS1_IjLj3EES5_S5_S5_,@function
_ZL33flash_attn_stream_k_fixup_generalILi128ELi8ELi4EEvPfPK15HIP_vector_typeIfLj2EEiiiiS1_IjLj3EES5_S5_S5_: ; @_ZL33flash_attn_stream_k_fixup_generalILi128ELi8ELi4EEvPfPK15HIP_vector_typeIfLj2EEiiiiS1_IjLj3EES5_S5_S5_
; %bb.0:
	s_load_dwordx4 s[0:3], s[4:5], 0x10
	s_load_dword s22, s[4:5], 0x50
	s_mov_b32 s12, 0
	s_waitcnt lgkmcnt(0)
	s_mul_hi_i32 s13, s3, s6
	s_cmp_lg_u64 s[12:13], 0
	s_mul_i32 s9, s3, s6
	s_cbranch_scc0 .LBB23_20
; %bb.1:
	s_add_u32 s10, s22, 0
	s_addc_u32 s11, 0, 0
	s_xor_b64 s[10:11], s[10:11], 0
	v_cvt_f32_u32_e32 v1, s10
	v_cvt_f32_u32_e32 v2, s11
	s_sub_u32 s12, 0, s10
	s_subb_u32 s18, 0, s11
	v_madmk_f32 v1, v2, 0x4f800000, v1
	v_rcp_f32_e32 v1, v1
	v_mul_f32_e32 v1, 0x5f7ffffc, v1
	v_mul_f32_e32 v2, 0x2f800000, v1
	v_trunc_f32_e32 v2, v2
	v_madmk_f32 v1, v2, 0xcf800000, v1
	v_cvt_u32_f32_e32 v2, v2
	v_cvt_u32_f32_e32 v1, v1
	v_readfirstlane_b32 s19, v2
	v_readfirstlane_b32 s14, v1
	s_mul_i32 s15, s12, s19
	s_mul_hi_u32 s21, s12, s14
	s_mul_i32 s20, s18, s14
	s_add_i32 s15, s21, s15
	s_add_i32 s15, s15, s20
	s_mul_i32 s23, s12, s14
	s_mul_i32 s21, s14, s15
	s_mul_hi_u32 s24, s14, s23
	s_mul_hi_u32 s20, s14, s15
	s_add_u32 s21, s24, s21
	s_addc_u32 s20, 0, s20
	s_mul_hi_u32 s25, s19, s23
	s_mul_i32 s23, s19, s23
	s_add_u32 s21, s21, s23
	s_mul_hi_u32 s24, s19, s15
	s_addc_u32 s20, s20, s25
	s_addc_u32 s21, s24, 0
	s_mul_i32 s15, s19, s15
	s_add_u32 s15, s20, s15
	s_addc_u32 s20, 0, s21
	s_add_u32 s21, s14, s15
	s_cselect_b64 s[14:15], -1, 0
	s_cmp_lg_u64 s[14:15], 0
	s_addc_u32 s19, s19, s20
	s_mul_i32 s14, s12, s19
	s_mul_hi_u32 s15, s12, s21
	s_add_i32 s14, s15, s14
	s_mul_i32 s18, s18, s21
	s_add_i32 s14, s14, s18
	s_mul_i32 s12, s12, s21
	s_mul_hi_u32 s18, s19, s12
	s_mul_i32 s20, s19, s12
	s_mul_i32 s24, s21, s14
	s_mul_hi_u32 s12, s21, s12
	s_mul_hi_u32 s23, s21, s14
	s_add_u32 s12, s12, s24
	s_addc_u32 s23, 0, s23
	s_add_u32 s12, s12, s20
	s_mul_hi_u32 s15, s19, s14
	s_addc_u32 s12, s23, s18
	s_addc_u32 s15, s15, 0
	s_mul_i32 s14, s19, s14
	s_add_u32 s12, s12, s14
	s_addc_u32 s18, 0, s15
	s_add_u32 s20, s21, s12
	s_cselect_b64 s[14:15], -1, 0
	s_cmp_lg_u64 s[14:15], 0
	s_addc_u32 s18, s19, s18
	s_ashr_i32 s14, s13, 31
	s_add_u32 s12, s9, s14
	s_mov_b32 s15, s14
	s_addc_u32 s13, s13, s14
	s_xor_b64 s[12:13], s[12:13], s[14:15]
	s_mul_i32 s21, s12, s18
	s_mul_hi_u32 s23, s12, s20
	s_mul_hi_u32 s19, s12, s18
	s_add_u32 s21, s23, s21
	s_addc_u32 s19, 0, s19
	s_mul_hi_u32 s24, s13, s20
	s_mul_i32 s20, s13, s20
	s_add_u32 s20, s21, s20
	s_mul_hi_u32 s23, s13, s18
	s_addc_u32 s19, s19, s24
	s_addc_u32 s20, s23, 0
	s_mul_i32 s18, s13, s18
	s_add_u32 s23, s19, s18
	s_addc_u32 s24, 0, s20
	s_mul_i32 s18, s10, s24
	s_mul_hi_u32 s19, s10, s23
	s_add_i32 s18, s19, s18
	s_mul_i32 s19, s11, s23
	s_add_i32 s25, s18, s19
	s_sub_i32 s20, s13, s25
	s_mul_i32 s18, s10, s23
	s_sub_u32 s12, s12, s18
	s_cselect_b64 s[18:19], -1, 0
	s_cmp_lg_u64 s[18:19], 0
	s_subb_u32 s26, s20, s11
	s_sub_u32 s27, s12, s10
	s_cselect_b64 s[20:21], -1, 0
	s_cmp_lg_u64 s[20:21], 0
	s_subb_u32 s20, s26, 0
	s_cmp_ge_u32 s20, s11
	s_cselect_b32 s21, -1, 0
	s_cmp_ge_u32 s27, s10
	s_cselect_b32 s26, -1, 0
	s_cmp_eq_u32 s20, s11
	s_cselect_b32 s20, s26, s21
	s_add_u32 s21, s23, 1
	s_addc_u32 s26, s24, 0
	s_add_u32 s27, s23, 2
	s_addc_u32 s28, s24, 0
	s_cmp_lg_u32 s20, 0
	s_cselect_b32 s20, s27, s21
	s_cselect_b32 s21, s28, s26
	s_cmp_lg_u64 s[18:19], 0
	s_subb_u32 s13, s13, s25
	s_cmp_ge_u32 s13, s11
	s_cselect_b32 s18, -1, 0
	s_cmp_ge_u32 s12, s10
	s_cselect_b32 s10, -1, 0
	s_cmp_eq_u32 s13, s11
	s_cselect_b32 s10, s10, s18
	s_cmp_lg_u32 s10, 0
	s_cselect_b32 s11, s21, s24
	s_cselect_b32 s10, s20, s23
	s_xor_b64 s[12:13], s[14:15], 0
	s_xor_b64 s[10:11], s[10:11], s[12:13]
	s_sub_u32 s10, s10, s12
	s_load_dwordx4 s[12:15], s[4:5], 0x44
	s_cbranch_execnz .LBB23_3
.LBB23_2:
	v_cvt_f32_u32_e32 v1, s22
	s_sub_i32 s10, 0, s22
	v_rcp_iflag_f32_e32 v1, v1
	v_mul_f32_e32 v1, 0x4f7ffffe, v1
	v_cvt_u32_f32_e32 v1, v1
	v_readfirstlane_b32 s11, v1
	s_mul_i32 s10, s10, s11
	s_mul_hi_u32 s10, s11, s10
	s_add_i32 s11, s11, s10
	s_mul_hi_u32 s10, s9, s11
	s_waitcnt lgkmcnt(0)
	s_mul_i32 s15, s10, s22
	s_sub_i32 s9, s9, s15
	s_add_i32 s11, s10, 1
	s_sub_i32 s15, s9, s22
	s_cmp_ge_u32 s9, s22
	s_cselect_b32 s10, s11, s10
	s_cselect_b32 s9, s15, s9
	s_add_i32 s11, s10, 1
	s_cmp_ge_u32 s9, s22
	s_cselect_b32 s10, s11, s10
.LBB23_3:
	s_add_i32 s9, s6, 1
	s_mul_hi_i32 s21, s3, s9
	s_mov_b32 s20, 0
	s_cmp_lg_u64 s[20:21], 0
	s_mul_i32 s9, s3, s9
	s_cbranch_scc0 .LBB23_21
; %bb.4:
	s_add_u32 s16, s22, 0
	s_addc_u32 s17, 0, 0
	s_xor_b64 s[18:19], s[16:17], 0
	v_cvt_f32_u32_e32 v1, s18
	v_cvt_f32_u32_e32 v2, s19
	s_sub_u32 s11, 0, s18
	s_waitcnt lgkmcnt(0)
	s_subb_u32 s15, 0, s19
	v_madmk_f32 v1, v2, 0x4f800000, v1
	v_rcp_f32_e32 v1, v1
	v_mul_f32_e32 v1, 0x5f7ffffc, v1
	v_mul_f32_e32 v2, 0x2f800000, v1
	v_trunc_f32_e32 v2, v2
	v_madmk_f32 v1, v2, 0xcf800000, v1
	v_cvt_u32_f32_e32 v2, v2
	v_cvt_u32_f32_e32 v1, v1
	v_readfirstlane_b32 s20, v2
	v_readfirstlane_b32 s23, v1
	s_mul_i32 s24, s11, s20
	s_mul_hi_u32 s26, s11, s23
	s_mul_i32 s25, s15, s23
	s_add_i32 s24, s26, s24
	s_add_i32 s24, s24, s25
	s_mul_i32 s27, s11, s23
	s_mul_i32 s26, s23, s24
	s_mul_hi_u32 s28, s23, s27
	s_mul_hi_u32 s25, s23, s24
	s_add_u32 s26, s28, s26
	s_addc_u32 s25, 0, s25
	s_mul_hi_u32 s29, s20, s27
	s_mul_i32 s27, s20, s27
	s_add_u32 s26, s26, s27
	s_mul_hi_u32 s28, s20, s24
	s_addc_u32 s25, s25, s29
	s_addc_u32 s26, s28, 0
	s_mul_i32 s24, s20, s24
	s_add_u32 s24, s25, s24
	s_addc_u32 s26, 0, s26
	s_add_u32 s23, s23, s24
	s_cselect_b64 s[24:25], -1, 0
	s_cmp_lg_u64 s[24:25], 0
	s_addc_u32 s20, s20, s26
	s_mul_i32 s24, s11, s20
	s_mul_hi_u32 s25, s11, s23
	s_add_i32 s24, s25, s24
	s_mul_i32 s15, s15, s23
	s_add_i32 s24, s24, s15
	s_mul_i32 s11, s11, s23
	s_mul_hi_u32 s25, s20, s11
	s_mul_i32 s26, s20, s11
	s_mul_i32 s28, s23, s24
	s_mul_hi_u32 s11, s23, s11
	s_mul_hi_u32 s27, s23, s24
	s_add_u32 s11, s11, s28
	s_addc_u32 s27, 0, s27
	s_add_u32 s11, s11, s26
	s_mul_hi_u32 s15, s20, s24
	s_addc_u32 s11, s27, s25
	s_addc_u32 s15, s15, 0
	s_mul_i32 s24, s20, s24
	s_add_u32 s11, s11, s24
	s_addc_u32 s15, 0, s15
	s_add_u32 s11, s23, s11
	s_cselect_b64 s[24:25], -1, 0
	s_cmp_lg_u64 s[24:25], 0
	s_addc_u32 s15, s20, s15
	s_ashr_i32 s24, s21, 31
	s_add_u32 s20, s9, s24
	s_mov_b32 s25, s24
	s_addc_u32 s21, s21, s24
	s_xor_b64 s[20:21], s[20:21], s[24:25]
	s_mul_i32 s26, s20, s15
	s_mul_hi_u32 s27, s20, s11
	s_mul_hi_u32 s23, s20, s15
	s_add_u32 s26, s27, s26
	s_addc_u32 s23, 0, s23
	s_mul_hi_u32 s28, s21, s11
	s_mul_i32 s11, s21, s11
	s_add_u32 s11, s26, s11
	s_mul_hi_u32 s27, s21, s15
	s_addc_u32 s11, s23, s28
	s_addc_u32 s23, s27, 0
	s_mul_i32 s15, s21, s15
	s_add_u32 s11, s11, s15
	s_addc_u32 s15, 0, s23
	s_mul_i32 s23, s18, s15
	s_mul_hi_u32 s26, s18, s11
	s_add_i32 s23, s26, s23
	s_mul_i32 s26, s19, s11
	s_add_i32 s23, s23, s26
	s_sub_i32 s28, s21, s23
	s_mul_i32 s26, s18, s11
	s_sub_u32 s20, s20, s26
	s_cselect_b64 s[26:27], -1, 0
	s_cmp_lg_u64 s[26:27], 0
	s_subb_u32 s30, s28, s19
	s_sub_u32 s31, s20, s18
	s_cselect_b64 s[28:29], -1, 0
	s_cmp_lg_u64 s[28:29], 0
	s_subb_u32 s28, s30, 0
	s_cmp_ge_u32 s28, s19
	s_cselect_b32 s29, -1, 0
	s_cmp_ge_u32 s31, s18
	s_cselect_b32 s30, -1, 0
	s_cmp_eq_u32 s28, s19
	s_cselect_b32 s28, s30, s29
	s_add_u32 s29, s11, 1
	s_addc_u32 s30, s15, 0
	s_add_u32 s31, s11, 2
	s_addc_u32 s33, s15, 0
	s_cmp_lg_u32 s28, 0
	s_cselect_b32 s28, s31, s29
	s_cselect_b32 s29, s33, s30
	s_cmp_lg_u64 s[26:27], 0
	s_subb_u32 s21, s21, s23
	s_cmp_ge_u32 s21, s19
	s_cselect_b32 s23, -1, 0
	s_cmp_ge_u32 s20, s18
	s_cselect_b32 s18, -1, 0
	s_cmp_eq_u32 s21, s19
	s_cselect_b32 s18, s18, s23
	s_cmp_lg_u32 s18, 0
	s_cselect_b32 s19, s29, s15
	s_cselect_b32 s18, s28, s11
	s_xor_b64 s[20:21], s[24:25], 0
	s_xor_b64 s[18:19], s[18:19], s[20:21]
	s_sub_u32 s18, s18, s20
	s_cbranch_execnz .LBB23_6
.LBB23_5:
	v_cvt_f32_u32_e32 v1, s22
	s_sub_i32 s11, 0, s22
	v_rcp_iflag_f32_e32 v1, v1
	v_mul_f32_e32 v1, 0x4f7ffffe, v1
	v_cvt_u32_f32_e32 v1, v1
	s_waitcnt lgkmcnt(0)
	v_readfirstlane_b32 s15, v1
	s_mul_i32 s11, s11, s15
	s_mul_hi_u32 s11, s15, s11
	s_add_i32 s15, s15, s11
	s_mul_hi_u32 s11, s9, s15
	s_mul_i32 s16, s11, s22
	s_sub_i32 s9, s9, s16
	s_add_i32 s15, s11, 1
	s_sub_i32 s16, s9, s22
	s_cmp_ge_u32 s9, s22
	s_cselect_b32 s11, s15, s11
	s_cselect_b32 s9, s16, s9
	s_add_i32 s15, s11, 1
	s_cmp_ge_u32 s9, s22
	s_cselect_b32 s18, s15, s11
.LBB23_6:
	s_cmp_eq_u32 s10, s18
	s_waitcnt lgkmcnt(0)
	s_mul_hi_u32 s9, s10, s12
	s_cselect_b64 s[16:17], -1, 0
	s_add_i32 s9, s9, s10
	s_lshr_b32 s11, s9, s13
	s_mul_i32 s9, s11, s14
	s_cmp_eq_u32 s9, s10
	s_mul_hi_u32 s9, s18, s12
	s_cselect_b64 s[20:21], -1, 0
	s_add_i32 s9, s9, s18
	s_lshr_b32 s9, s9, s13
	s_cmp_eq_u32 s11, s9
	s_mul_i32 s9, s9, s14
	s_cselect_b64 s[24:25], -1, 0
	s_cmp_lg_u32 s9, s18
	s_cselect_b64 s[18:19], -1, 0
	s_and_b64 s[18:19], s[24:25], s[18:19]
	s_or_b64 s[16:17], s[16:17], s[20:21]
	s_or_b64 s[16:17], s[16:17], s[18:19]
	s_and_b64 vcc, exec, s[16:17]
	s_cbranch_vccnz .LBB23_23
; %bb.7:
	s_load_dwordx8 s[24:31], s[4:5], 0x20
	s_load_dword s15, s[4:5], 0x40
	s_waitcnt lgkmcnt(0)
	s_mul_hi_u32 s9, s10, s24
	s_add_i32 s9, s9, s10
	s_lshr_b32 s9, s9, s25
	s_mul_i32 s16, s9, s26
	s_sub_i32 s16, s10, s16
	s_mul_hi_u32 s17, s16, s27
	s_add_i32 s17, s16, s17
	s_lshr_b32 s23, s17, s28
	s_mul_i32 s17, s23, s29
	s_sub_i32 s16, s16, s17
	;; [unrolled: 5-line block ×3, first 2 shown]
	s_mul_hi_u32 s16, s15, s12
	s_add_i32 s15, s15, s16
	s_lshr_b32 s25, s15, s13
	s_lshl_b32 s15, s25, 3
	s_lshl_b32 s24, s17, 2
	s_add_i32 s15, s15, s7
	s_cmp_lt_i32 s15, s0
	s_cselect_b64 s[16:17], -1, 0
	s_add_i32 s15, s24, s8
	s_cmp_lt_i32 s15, s2
	s_cselect_b64 s[18:19], -1, 0
	s_and_b64 s[16:17], s[16:17], s[18:19]
	s_andn2_b64 vcc, exec, s[16:17]
	s_cbranch_vccnz .LBB23_23
; %bb.8:
	s_load_dwordx4 s[16:19], s[4:5], 0x0
	s_mov_b32 s4, 0
	s_lshl_b32 s15, s7, 2
	s_lshl_b32 s20, s22, 7
	s_mov_b32 s21, s4
	s_add_i32 s15, s15, s8
	s_lshl_b64 s[20:21], s[20:21], 2
	s_waitcnt lgkmcnt(0)
	s_add_u32 s20, s18, s20
	s_mul_i32 s0, s9, s0
	s_addc_u32 s21, s19, s21
	s_add_i32 s0, s0, s7
	s_mul_i32 s0, s0, s1
	s_mul_i32 s23, s23, s2
	s_add_i32 s0, s0, s8
	s_add_i32 s0, s0, s23
	s_mul_i32 s2, s1, s25
	s_add_i32 s0, s0, s24
	s_lshl_b32 s2, s2, 10
	s_lshl_b32 s0, s0, 7
	s_add_i32 s2, s2, s0
	v_or_b32_e32 v1, s2, v0
	v_ashrrev_i32_e32 v2, 31, v1
	v_lshlrev_b64 v[1:2], 2, v[1:2]
	v_mov_b32_e32 v3, s17
	v_add_co_u32_e32 v1, vcc, s16, v1
	v_addc_co_u32_e32 v2, vcc, v3, v2, vcc
	global_load_dword v3, v[1:2], off
	v_cvt_f32_u32_e32 v4, s22
	s_lshl_b32 s0, s6, 5
	s_add_i32 s0, s15, s0
	s_ashr_i32 s1, s0, 31
	s_lshl_b64 s[0:1], s[0:1], 3
	v_rcp_iflag_f32_e32 v4, v4
	s_add_u32 s0, s18, s0
	s_addc_u32 s1, s19, s1
	s_load_dwordx2 s[0:1], s[0:1], 0x0
	v_mul_f32_e32 v4, 0x4f7ffffe, v4
	v_cvt_u32_f32_e32 v4, v4
	s_add_i32 s24, s6, -1
	v_lshl_or_b32 v0, s15, 7, v0
	s_waitcnt lgkmcnt(0)
	v_mov_b32_e32 v6, s1
	v_mov_b32_e32 v7, s0
	s_mov_b32 s2, 0x3fb8aa3b
	s_mov_b32 s16, 0xc2ce8ed0
	;; [unrolled: 1-line block ×4, first 2 shown]
	v_mov_b32_e32 v5, 0x7f800000
	s_mul_hi_i32 s5, s24, s3
	s_cmp_lg_u64 s[4:5], 0
	s_mul_i32 s8, s24, s3
	s_cbranch_scc0 .LBB23_19
.LBB23_9:
	s_add_u32 s0, s22, 0
	s_addc_u32 s1, 0, 0
	s_xor_b64 s[0:1], s[0:1], 0
	v_cvt_f32_u32_e32 v8, s0
	v_cvt_f32_u32_e32 v9, s1
	s_sub_u32 s9, 0, s0
	s_subb_u32 s25, 0, s1
	v_mac_f32_e32 v8, 0x4f800000, v9
	v_rcp_f32_e32 v8, v8
	v_mul_f32_e32 v8, 0x5f7ffffc, v8
	v_mul_f32_e32 v9, 0x2f800000, v8
	v_trunc_f32_e32 v9, v9
	v_mac_f32_e32 v8, 0xcf800000, v9
	v_cvt_u32_f32_e32 v9, v9
	v_cvt_u32_f32_e32 v8, v8
	v_readfirstlane_b32 s26, v9
	v_readfirstlane_b32 s6, v8
	s_mul_i32 s7, s9, s26
	s_mul_hi_u32 s28, s9, s6
	s_mul_i32 s27, s25, s6
	s_add_i32 s7, s28, s7
	s_mul_i32 s29, s9, s6
	s_add_i32 s7, s7, s27
	s_mul_i32 s28, s6, s7
	s_mul_hi_u32 s30, s6, s29
	s_mul_hi_u32 s27, s6, s7
	s_add_u32 s28, s30, s28
	s_addc_u32 s27, 0, s27
	s_mul_hi_u32 s31, s26, s29
	s_mul_i32 s29, s26, s29
	s_add_u32 s28, s28, s29
	s_mul_hi_u32 s30, s26, s7
	s_addc_u32 s27, s27, s31
	s_addc_u32 s28, s30, 0
	s_mul_i32 s7, s26, s7
	s_add_u32 s7, s27, s7
	s_addc_u32 s27, 0, s28
	s_add_u32 s28, s6, s7
	s_cselect_b64 s[6:7], -1, 0
	s_cmp_lg_u64 s[6:7], 0
	s_addc_u32 s26, s26, s27
	s_mul_i32 s6, s9, s26
	s_mul_hi_u32 s7, s9, s28
	s_add_i32 s6, s7, s6
	s_mul_i32 s25, s25, s28
	s_add_i32 s6, s6, s25
	s_mul_i32 s9, s9, s28
	s_mul_hi_u32 s25, s26, s9
	s_mul_i32 s27, s26, s9
	s_mul_i32 s30, s28, s6
	s_mul_hi_u32 s9, s28, s9
	s_mul_hi_u32 s29, s28, s6
	s_add_u32 s9, s9, s30
	s_addc_u32 s29, 0, s29
	s_add_u32 s9, s9, s27
	s_mul_hi_u32 s7, s26, s6
	s_addc_u32 s9, s29, s25
	s_addc_u32 s7, s7, 0
	s_mul_i32 s6, s26, s6
	s_add_u32 s6, s9, s6
	s_addc_u32 s9, 0, s7
	s_add_u32 s25, s28, s6
	s_cselect_b64 s[6:7], -1, 0
	s_cmp_lg_u64 s[6:7], 0
	s_addc_u32 s9, s26, s9
	s_ashr_i32 s6, s5, 31
	s_add_u32 s26, s8, s6
	s_mov_b32 s7, s6
	s_addc_u32 s27, s5, s6
	s_xor_b64 s[26:27], s[26:27], s[6:7]
	s_mul_i32 s28, s26, s9
	s_mul_hi_u32 s29, s26, s25
	s_mul_hi_u32 s5, s26, s9
	s_add_u32 s28, s29, s28
	s_addc_u32 s5, 0, s5
	s_mul_hi_u32 s30, s27, s25
	s_mul_i32 s25, s27, s25
	s_add_u32 s25, s28, s25
	s_mul_hi_u32 s29, s27, s9
	s_addc_u32 s5, s5, s30
	s_addc_u32 s25, s29, 0
	s_mul_i32 s9, s27, s9
	s_add_u32 s5, s5, s9
	s_addc_u32 s9, 0, s25
	s_mul_i32 s25, s0, s9
	s_mul_hi_u32 s28, s0, s5
	s_add_i32 s25, s28, s25
	s_mul_i32 s28, s1, s5
	s_add_i32 s25, s25, s28
	s_sub_i32 s30, s27, s25
	s_mul_i32 s28, s0, s5
	s_sub_u32 s26, s26, s28
	s_cselect_b64 s[28:29], -1, 0
	s_cmp_lg_u64 s[28:29], 0
	s_subb_u32 s33, s30, s1
	s_sub_u32 s34, s26, s0
	s_cselect_b64 s[30:31], -1, 0
	s_cmp_lg_u64 s[30:31], 0
	s_subb_u32 s30, s33, 0
	s_cmp_ge_u32 s30, s1
	s_cselect_b32 s31, -1, 0
	s_cmp_ge_u32 s34, s0
	s_cselect_b32 s33, -1, 0
	s_cmp_eq_u32 s30, s1
	s_cselect_b32 s30, s33, s31
	s_add_u32 s31, s5, 1
	s_addc_u32 s33, s9, 0
	s_add_u32 s34, s5, 2
	s_addc_u32 s35, s9, 0
	s_cmp_lg_u32 s30, 0
	s_cselect_b32 s30, s34, s31
	s_cselect_b32 s31, s35, s33
	s_cmp_lg_u64 s[28:29], 0
	s_subb_u32 s25, s27, s25
	s_cmp_ge_u32 s25, s1
	s_cselect_b32 s27, -1, 0
	s_cmp_ge_u32 s26, s0
	s_cselect_b32 s0, -1, 0
	s_cmp_eq_u32 s25, s1
	s_cselect_b32 s0, s0, s27
	s_cmp_lg_u32 s0, 0
	s_cselect_b32 s1, s31, s9
	s_cselect_b32 s0, s30, s5
	s_xor_b64 s[6:7], s[6:7], 0
	s_xor_b64 s[0:1], s[0:1], s[6:7]
	s_sub_u32 s6, s0, s6
	s_cbranch_execnz .LBB23_11
.LBB23_10:
	s_sub_i32 s0, 0, s22
	v_readfirstlane_b32 s1, v4
	s_mul_i32 s0, s0, s1
	s_mul_hi_u32 s0, s1, s0
	s_add_i32 s1, s1, s0
	s_mul_hi_u32 s0, s8, s1
	s_mul_i32 s5, s0, s22
	s_sub_i32 s5, s8, s5
	s_add_i32 s1, s0, 1
	s_sub_i32 s6, s5, s22
	s_cmp_ge_u32 s5, s22
	s_cselect_b32 s0, s1, s0
	s_cselect_b32 s5, s6, s5
	s_add_i32 s1, s0, 1
	s_cmp_ge_u32 s5, s22
	s_cselect_b32 s6, s1, s0
.LBB23_11:
	s_cmp_lg_u32 s10, s6
	s_mov_b64 s[8:9], -1
                                        ; implicit-def: $sgpr0_sgpr1
                                        ; implicit-def: $vgpr10
                                        ; implicit-def: $vgpr8
                                        ; implicit-def: $vgpr9
                                        ; implicit-def: $sgpr5
                                        ; implicit-def: $sgpr7
	s_cbranch_scc1 .LBB23_14
; %bb.12:
	s_andn2_b64 vcc, exec, s[8:9]
	s_cbranch_vccz .LBB23_17
.LBB23_13:
	s_andn2_b64 vcc, exec, s[0:1]
	s_cbranch_vccnz .LBB23_18
	s_branch .LBB23_22
.LBB23_14:
	s_add_i32 s0, s24, s22
	s_lshl_b32 s0, s0, 5
	s_add_i32 s0, s0, s15
	s_mov_b32 s1, s4
	s_lshl_b64 s[0:1], s[0:1], 3
	s_add_u32 s8, s18, s0
	s_mul_hi_u32 s0, s6, s12
	s_addc_u32 s9, s19, s1
	s_add_i32 s0, s0, s6
	s_lshr_b32 s5, s0, s13
	s_mul_i32 s0, s5, s14
	s_cmp_eq_u32 s0, s6
	s_cselect_b64 s[0:1], -1, 0
	s_cmp_lt_u32 s5, s11
	s_cselect_b64 s[26:27], -1, 0
	s_or_b64 s[26:27], s[26:27], s[0:1]
	s_mov_b64 s[0:1], -1
	s_and_b64 vcc, exec, s[26:27]
	s_mov_b32 s5, s24
	s_mov_b32 s7, s10
	s_cbranch_vccnz .LBB23_16
; %bb.15:
	s_add_i32 s5, s24, -1
	s_mov_b64 s[0:1], 0
	s_mov_b32 s7, s6
.LBB23_16:
	v_lshl_add_u32 v8, s24, 12, v0
	v_ashrrev_i32_e32 v9, 31, v8
	v_lshlrev_b64 v[8:9], 2, v[8:9]
	v_mov_b32_e32 v10, s21
	v_add_co_u32_e32 v8, vcc, s20, v8
	v_addc_co_u32_e32 v9, vcc, v10, v9, vcc
	global_load_dword v10, v[8:9], off
	s_load_dwordx2 s[8:9], s[8:9], 0x0
	v_max_f32_e32 v8, v7, v7
	s_waitcnt lgkmcnt(0)
	v_max_f32_e64 v9, s8, s8
	v_max_f32_e32 v8, v8, v9
	v_sub_f32_e32 v9, v7, v8
	v_sub_f32_e32 v11, s8, v8
	v_mul_f32_e32 v12, 0x3fb8aa3b, v9
	v_mul_f32_e32 v13, 0x3fb8aa3b, v11
	v_fma_f32 v14, v9, s2, -v12
	v_rndne_f32_e32 v15, v12
	v_fma_f32 v16, v11, s2, -v13
	v_rndne_f32_e32 v17, v13
	v_fmac_f32_e32 v14, 0x32a5705f, v9
	v_sub_f32_e32 v12, v12, v15
	v_fmac_f32_e32 v16, 0x32a5705f, v11
	v_sub_f32_e32 v13, v13, v17
	v_add_f32_e32 v12, v12, v14
	v_cvt_i32_f32_e32 v15, v15
	v_add_f32_e32 v13, v13, v16
	v_exp_f32_e32 v12, v12
	v_cvt_i32_f32_e32 v17, v17
	v_exp_f32_e32 v13, v13
	v_cmp_ngt_f32_e32 vcc, s16, v9
	v_ldexp_f32 v12, v12, v15
	v_cndmask_b32_e32 v12, 0, v12, vcc
	v_ldexp_f32 v13, v13, v17
	v_cmp_ngt_f32_e32 vcc, s16, v11
	v_cndmask_b32_e32 v13, 0, v13, vcc
	v_cmp_nlt_f32_e32 vcc, s17, v9
	v_cndmask_b32_e32 v12, v5, v12, vcc
	v_cmp_nlt_f32_e32 vcc, s17, v11
	v_cndmask_b32_e32 v13, v5, v13, vcc
	v_cmp_le_f32_e32 vcc, s23, v9
	v_cndmask_b32_e32 v12, 0, v12, vcc
	v_cmp_le_f32_e32 vcc, s23, v11
	v_cndmask_b32_e32 v11, 0, v13, vcc
	v_mul_f32_e32 v9, s9, v11
	v_fmac_f32_e32 v9, v6, v12
	s_waitcnt vmcnt(0)
	v_mul_f32_e32 v10, v10, v11
	v_fmac_f32_e32 v10, v3, v12
	s_cbranch_execnz .LBB23_13
.LBB23_17:
	s_add_i32 s5, s24, -1
	s_mov_b32 s7, s10
	v_mov_b32_e32 v9, v6
	v_mov_b32_e32 v8, v7
	s_waitcnt vmcnt(0)
	v_mov_b32_e32 v10, v3
	s_cbranch_execz .LBB23_22
.LBB23_18:
	s_mov_b32 s10, s7
	s_mov_b32 s24, s5
	v_mov_b32_e32 v6, v9
	v_mov_b32_e32 v7, v8
	s_waitcnt vmcnt(0)
	v_mov_b32_e32 v3, v10
	s_mul_hi_i32 s5, s24, s3
	s_cmp_lg_u64 s[4:5], 0
	s_mul_i32 s8, s24, s3
	s_cbranch_scc1 .LBB23_9
.LBB23_19:
                                        ; implicit-def: $sgpr6_sgpr7
	s_branch .LBB23_10
.LBB23_20:
                                        ; implicit-def: $sgpr10_sgpr11
	s_load_dwordx4 s[12:15], s[4:5], 0x44
	s_branch .LBB23_2
.LBB23_21:
                                        ; implicit-def: $sgpr18_sgpr19
	s_branch .LBB23_5
.LBB23_22:
	v_div_scale_f32 v0, s[0:1], v9, v9, v10
	s_waitcnt vmcnt(0)
	v_div_scale_f32 v3, vcc, v10, v9, v10
	v_rcp_f32_e32 v4, v0
	v_fma_f32 v5, -v0, v4, 1.0
	v_fmac_f32_e32 v4, v5, v4
	v_mul_f32_e32 v5, v3, v4
	v_fma_f32 v6, -v0, v5, v3
	v_fmac_f32_e32 v5, v6, v4
	v_fma_f32 v0, -v0, v5, v3
	v_div_fmas_f32 v0, v0, v4, v5
	v_div_fixup_f32 v0, v0, v9, v10
	global_store_dword v[1:2], v0, off
.LBB23_23:
	s_endpgm
	.section	.rodata,"a",@progbits
	.p2align	6, 0x0
	.amdhsa_kernel _ZL33flash_attn_stream_k_fixup_generalILi128ELi8ELi4EEvPfPK15HIP_vector_typeIfLj2EEiiiiS1_IjLj3EES5_S5_S5_
		.amdhsa_group_segment_fixed_size 0
		.amdhsa_private_segment_fixed_size 0
		.amdhsa_kernarg_size 336
		.amdhsa_user_sgpr_count 6
		.amdhsa_user_sgpr_private_segment_buffer 1
		.amdhsa_user_sgpr_dispatch_ptr 0
		.amdhsa_user_sgpr_queue_ptr 0
		.amdhsa_user_sgpr_kernarg_segment_ptr 1
		.amdhsa_user_sgpr_dispatch_id 0
		.amdhsa_user_sgpr_flat_scratch_init 0
		.amdhsa_user_sgpr_private_segment_size 0
		.amdhsa_uses_dynamic_stack 0
		.amdhsa_system_sgpr_private_segment_wavefront_offset 0
		.amdhsa_system_sgpr_workgroup_id_x 1
		.amdhsa_system_sgpr_workgroup_id_y 1
		.amdhsa_system_sgpr_workgroup_id_z 1
		.amdhsa_system_sgpr_workgroup_info 0
		.amdhsa_system_vgpr_workitem_id 0
		.amdhsa_next_free_vgpr 18
		.amdhsa_next_free_sgpr 36
		.amdhsa_reserve_vcc 1
		.amdhsa_reserve_flat_scratch 0
		.amdhsa_float_round_mode_32 0
		.amdhsa_float_round_mode_16_64 0
		.amdhsa_float_denorm_mode_32 3
		.amdhsa_float_denorm_mode_16_64 3
		.amdhsa_dx10_clamp 1
		.amdhsa_ieee_mode 1
		.amdhsa_fp16_overflow 0
		.amdhsa_exception_fp_ieee_invalid_op 0
		.amdhsa_exception_fp_denorm_src 0
		.amdhsa_exception_fp_ieee_div_zero 0
		.amdhsa_exception_fp_ieee_overflow 0
		.amdhsa_exception_fp_ieee_underflow 0
		.amdhsa_exception_fp_ieee_inexact 0
		.amdhsa_exception_int_div_zero 0
	.end_amdhsa_kernel
	.section	.text._ZL33flash_attn_stream_k_fixup_generalILi128ELi8ELi4EEvPfPK15HIP_vector_typeIfLj2EEiiiiS1_IjLj3EES5_S5_S5_,"axG",@progbits,_ZL33flash_attn_stream_k_fixup_generalILi128ELi8ELi4EEvPfPK15HIP_vector_typeIfLj2EEiiiiS1_IjLj3EES5_S5_S5_,comdat
.Lfunc_end23:
	.size	_ZL33flash_attn_stream_k_fixup_generalILi128ELi8ELi4EEvPfPK15HIP_vector_typeIfLj2EEiiiiS1_IjLj3EES5_S5_S5_, .Lfunc_end23-_ZL33flash_attn_stream_k_fixup_generalILi128ELi8ELi4EEvPfPK15HIP_vector_typeIfLj2EEiiiiS1_IjLj3EES5_S5_S5_
                                        ; -- End function
	.set _ZL33flash_attn_stream_k_fixup_generalILi128ELi8ELi4EEvPfPK15HIP_vector_typeIfLj2EEiiiiS1_IjLj3EES5_S5_S5_.num_vgpr, 18
	.set _ZL33flash_attn_stream_k_fixup_generalILi128ELi8ELi4EEvPfPK15HIP_vector_typeIfLj2EEiiiiS1_IjLj3EES5_S5_S5_.num_agpr, 0
	.set _ZL33flash_attn_stream_k_fixup_generalILi128ELi8ELi4EEvPfPK15HIP_vector_typeIfLj2EEiiiiS1_IjLj3EES5_S5_S5_.numbered_sgpr, 36
	.set _ZL33flash_attn_stream_k_fixup_generalILi128ELi8ELi4EEvPfPK15HIP_vector_typeIfLj2EEiiiiS1_IjLj3EES5_S5_S5_.num_named_barrier, 0
	.set _ZL33flash_attn_stream_k_fixup_generalILi128ELi8ELi4EEvPfPK15HIP_vector_typeIfLj2EEiiiiS1_IjLj3EES5_S5_S5_.private_seg_size, 0
	.set _ZL33flash_attn_stream_k_fixup_generalILi128ELi8ELi4EEvPfPK15HIP_vector_typeIfLj2EEiiiiS1_IjLj3EES5_S5_S5_.uses_vcc, 1
	.set _ZL33flash_attn_stream_k_fixup_generalILi128ELi8ELi4EEvPfPK15HIP_vector_typeIfLj2EEiiiiS1_IjLj3EES5_S5_S5_.uses_flat_scratch, 0
	.set _ZL33flash_attn_stream_k_fixup_generalILi128ELi8ELi4EEvPfPK15HIP_vector_typeIfLj2EEiiiiS1_IjLj3EES5_S5_S5_.has_dyn_sized_stack, 0
	.set _ZL33flash_attn_stream_k_fixup_generalILi128ELi8ELi4EEvPfPK15HIP_vector_typeIfLj2EEiiiiS1_IjLj3EES5_S5_S5_.has_recursion, 0
	.set _ZL33flash_attn_stream_k_fixup_generalILi128ELi8ELi4EEvPfPK15HIP_vector_typeIfLj2EEiiiiS1_IjLj3EES5_S5_S5_.has_indirect_call, 0
	.section	.AMDGPU.csdata,"",@progbits
; Kernel info:
; codeLenInByte = 2940
; TotalNumSgprs: 40
; NumVgprs: 18
; ScratchSize: 0
; MemoryBound: 0
; FloatMode: 240
; IeeeMode: 1
; LDSByteSize: 0 bytes/workgroup (compile time only)
; SGPRBlocks: 4
; VGPRBlocks: 4
; NumSGPRsForWavesPerEU: 40
; NumVGPRsForWavesPerEU: 18
; Occupancy: 10
; WaveLimiterHint : 0
; COMPUTE_PGM_RSRC2:SCRATCH_EN: 0
; COMPUTE_PGM_RSRC2:USER_SGPR: 6
; COMPUTE_PGM_RSRC2:TRAP_HANDLER: 0
; COMPUTE_PGM_RSRC2:TGID_X_EN: 1
; COMPUTE_PGM_RSRC2:TGID_Y_EN: 1
; COMPUTE_PGM_RSRC2:TGID_Z_EN: 1
; COMPUTE_PGM_RSRC2:TIDIG_COMP_CNT: 0
	.section	.text._ZL15flash_attn_tileILi128ELi128ELi4ELi4ELb0EEvPKcS1_S1_S1_S1_PKiPfP15HIP_vector_typeIfLj2EEffffjfiS5_IjLj3EEiiiiiiiiiiiliiliiiiil,"axG",@progbits,_ZL15flash_attn_tileILi128ELi128ELi4ELi4ELb0EEvPKcS1_S1_S1_S1_PKiPfP15HIP_vector_typeIfLj2EEffffjfiS5_IjLj3EEiiiiiiiiiiiliiliiiiil,comdat
	.globl	_ZL15flash_attn_tileILi128ELi128ELi4ELi4ELb0EEvPKcS1_S1_S1_S1_PKiPfP15HIP_vector_typeIfLj2EEffffjfiS5_IjLj3EEiiiiiiiiiiiliiliiiiil ; -- Begin function _ZL15flash_attn_tileILi128ELi128ELi4ELi4ELb0EEvPKcS1_S1_S1_S1_PKiPfP15HIP_vector_typeIfLj2EEffffjfiS5_IjLj3EEiiiiiiiiiiiliiliiiiil
	.p2align	8
	.type	_ZL15flash_attn_tileILi128ELi128ELi4ELi4ELb0EEvPKcS1_S1_S1_S1_PKiPfP15HIP_vector_typeIfLj2EEffffjfiS5_IjLj3EEiiiiiiiiiiiliiliiiiil,@function
_ZL15flash_attn_tileILi128ELi128ELi4ELi4ELb0EEvPKcS1_S1_S1_S1_PKiPfP15HIP_vector_typeIfLj2EEffffjfiS5_IjLj3EEiiiiiiiiiiiliiliiiiil: ; @_ZL15flash_attn_tileILi128ELi128ELi4ELi4ELb0EEvPKcS1_S1_S1_S1_PKiPfP15HIP_vector_typeIfLj2EEffffjfiS5_IjLj3EEiiiiiiiiiiiliiliiiiil
; %bb.0:
	s_load_dwordx4 s[24:27], s[4:5], 0x5c
	s_load_dwordx2 s[28:29], s[4:5], 0x80
	s_mov_b64 s[46:47], s[2:3]
	s_mov_b64 s[44:45], s[0:1]
	s_add_u32 s44, s44, s9
	s_addc_u32 s45, s45, 0
	s_waitcnt lgkmcnt(0)
	s_ashr_i32 s0, s27, 31
	s_lshr_b32 s0, s0, 30
	s_add_i32 s0, s27, s0
	s_ashr_i32 s0, s0, 2
	v_mov_b32_e32 v23, v0
	v_cvt_f32_u32_e32 v0, s0
	s_sub_i32 s1, 0, s0
	s_mov_b64 s[30:31], 0
	v_rcp_iflag_f32_e32 v0, v0
	v_mul_f32_e32 v0, 0x4f7ffffe, v0
	v_cvt_u32_f32_e32 v0, v0
	v_readfirstlane_b32 s2, v0
	s_mul_i32 s1, s1, s2
	s_mul_hi_u32 s1, s2, s1
	s_add_i32 s2, s2, s1
	s_mul_hi_u32 s1, s8, s2
	s_mul_i32 s2, s1, s0
	s_sub_i32 s2, s8, s2
	s_add_i32 s3, s1, 1
	s_sub_i32 s9, s2, s0
	s_cmp_ge_u32 s2, s0
	s_cselect_b32 s1, s3, s1
	s_cselect_b32 s2, s9, s2
	s_add_i32 s3, s1, 1
	s_cmp_ge_u32 s2, s0
	s_cselect_b32 s33, s3, s1
	s_abs_i32 s0, s29
	v_cvt_f32_u32_e32 v0, s0
	s_lshl_b32 s1, s8, 2
	s_mul_i32 s8, s33, s27
	s_xor_b32 s2, s27, s29
	v_rcp_iflag_f32_e32 v0, v0
	s_sub_i32 s9, 0, s0
	s_sub_i32 s29, s1, s8
	s_abs_i32 s3, s27
	v_mul_f32_e32 v0, 0x4f7ffffe, v0
	v_cvt_u32_f32_e32 v0, v0
	s_ashr_i32 s2, s2, 31
	v_readfirstlane_b32 s1, v0
	s_mul_i32 s9, s9, s1
	s_mul_hi_u32 s8, s1, s9
	s_add_i32 s1, s1, s8
	s_mul_hi_u32 s1, s3, s1
	s_mul_i32 s8, s1, s0
	s_sub_i32 s3, s3, s8
	s_add_i32 s9, s1, 1
	s_sub_i32 s8, s3, s0
	s_cmp_ge_u32 s3, s0
	s_cselect_b32 s1, s9, s1
	s_cselect_b32 s3, s8, s3
	s_add_i32 s8, s1, 1
	s_cmp_ge_u32 s3, s0
	s_cselect_b32 s0, s8, s1
	s_xor_b32 s0, s0, s2
	s_sub_i32 s35, s0, s2
	s_abs_i32 s34, s35
	v_cvt_f32_u32_e32 v0, s34
	s_load_dwordx16 s[8:23], s[4:5], 0x0
	s_load_dwordx2 s[0:1], s[4:5], 0xb8
	v_rcp_iflag_f32_e32 v0, v0
	s_waitcnt lgkmcnt(0)
	s_cmp_eq_u64 s[14:15], 0
	v_mul_f32_e32 v0, 0x4f7ffffe, v0
	v_cvt_u32_f32_e32 v0, v0
	v_readfirstlane_b32 s36, v0
	s_cbranch_scc1 .LBB24_2
; %bb.1:
	s_abs_i32 s0, s0
	v_cvt_f32_u32_e32 v0, s0
	s_sub_i32 s37, 0, s0
	s_abs_i32 s31, s33
	s_ashr_i32 s30, s33, 31
	v_rcp_iflag_f32_e32 v0, v0
	s_load_dwordx2 s[2:3], s[4:5], 0xc8
	v_mul_f32_e32 v0, 0x4f7ffffe, v0
	v_cvt_u32_f32_e32 v0, v0
	v_readfirstlane_b32 s38, v0
	s_mul_i32 s37, s37, s38
	s_mul_hi_u32 s37, s38, s37
	s_add_i32 s38, s38, s37
	s_mul_hi_u32 s37, s31, s38
	s_mul_i32 s37, s37, s0
	s_sub_i32 s31, s31, s37
	s_sub_i32 s37, s31, s0
	s_cmp_ge_u32 s31, s0
	s_cselect_b32 s31, s37, s31
	s_sub_i32 s37, s31, s0
	s_cmp_ge_u32 s31, s0
	s_cselect_b32 s0, s37, s31
	s_xor_b32 s0, s0, s30
	s_sub_i32 s0, s0, s30
	s_ashr_i32 s30, s0, 31
	s_waitcnt lgkmcnt(0)
	s_mul_hi_u32 s31, s2, s0
	s_mul_i32 s30, s2, s30
	s_mul_i32 s3, s3, s0
	s_add_i32 s30, s31, s30
	s_add_i32 s3, s30, s3
	s_mul_i32 s0, s2, s0
	s_add_u32 s30, s14, s0
	s_addc_u32 s31, s15, s3
.LBB24_2:
	v_lshrrev_b32_e32 v0, 1, v1
	s_load_dwordx4 s[40:43], s[4:5], 0x70
	v_lshl_add_u32 v24, s6, 2, v0
	v_mul_hi_u32 v0, s24, v24
	v_lshlrev_b32_e32 v3, 1, v1
	v_or_b32_e32 v13, 1, v3
	s_waitcnt lgkmcnt(0)
	s_mul_i32 s0, s33, s42
	v_add_u32_e32 v0, v24, v0
	s_ashr_i32 s3, s0, 31
	v_lshrrev_b32_e32 v0, s25, v0
	s_mul_i32 s2, s29, s41
	s_add_u32 s0, s8, s0
	v_mul_lo_u32 v0, v0, s26
	s_addc_u32 s3, s9, s3
	s_ashr_i32 s8, s2, 31
	s_add_u32 s0, s0, s2
	s_addc_u32 s14, s3, s8
	s_ashr_i32 s3, s41, 31
	s_mov_b32 s2, s41
	s_ashr_i32 s41, s40, 31
	v_sub_u32_e32 v2, v24, v0
	s_lshr_b64 s[8:9], s[40:41], 2
	v_mad_u64_u32 v[4:5], s[8:9], s8, v2, 0
	s_lshr_b32 s8, s41, 2
	v_and_b32_e32 v11, 3, v13
	v_mov_b32_e32 v0, v5
	v_mad_u64_u32 v[5:6], s[8:9], s8, v2, v[0:1]
	s_lshr_b64 s[8:9], s[2:3], 2
	v_mov_b32_e32 v0, s14
	v_lshlrev_b64 v[4:5], 2, v[4:5]
	v_and_b32_e32 v25, 2, v3
	v_add_co_u32_e32 v6, vcc, s0, v4
	s_lshr_b32 s0, s3, 2
	v_mad_u64_u32 v[9:10], s[2:3], s8, v11, 0
	v_addc_co_u32_e32 v0, vcc, v0, v5, vcc
	v_lshlrev_b32_e32 v7, 4, v23
	v_mul_lo_u32 v8, s0, v25
	v_mad_u64_u32 v[4:5], s[2:3], s8, v25, 0
	v_add_co_u32_e32 v12, vcc, v6, v7
	v_addc_co_u32_e32 v14, vcc, 0, v0, vcc
	v_mov_b32_e32 v0, v10
	v_mad_u64_u32 v[10:11], s[2:3], s0, v11, v[0:1]
	v_or_b32_e32 v5, v5, v8
	v_lshlrev_b64 v[4:5], 2, v[4:5]
	v_lshlrev_b64 v[9:10], 2, v[9:10]
	v_add_co_u32_e32 v4, vcc, v12, v4
	v_addc_co_u32_e32 v5, vcc, v14, v5, vcc
	v_add_co_u32_e32 v9, vcc, v12, v9
	global_load_dwordx4 v[5:8], v[4:5], off
	v_addc_co_u32_e32 v10, vcc, v14, v10, vcc
	global_load_dwordx4 v[9:12], v[9:10], off
	s_load_dword s0, s[4:5], 0x40
	v_lshlrev_b32_e32 v95, 3, v23
	v_lshlrev_b32_e32 v4, 9, v1
	v_add_u32_e32 v0, 0x4400, v95
	v_add_u32_e32 v14, v0, v4
	s_cmp_eq_u64 s[18:19], 0
	v_lshl_add_u32 v0, v13, 8, v0
	s_waitcnt vmcnt(1) lgkmcnt(0)
	v_fma_mixlo_f16 v5, s0, v5, 0
	v_fma_mixlo_f16 v6, s0, v6, 0
	;; [unrolled: 1-line block ×4, first 2 shown]
	s_waitcnt vmcnt(0)
	v_fma_mixlo_f16 v9, s0, v9, 0
	v_fma_mixlo_f16 v10, s0, v10, 0
	v_lshlrev_b32_e32 v6, 16, v6
	v_and_b32_e32 v5, 0xffff, v5
	v_fma_mixlo_f16 v11, s0, v11, 0
	v_fma_mixlo_f16 v12, s0, v12, 0
	v_lshlrev_b32_e32 v8, 16, v8
	v_and_b32_e32 v7, 0xffff, v7
	v_lshlrev_b32_e32 v10, 16, v10
	v_and_b32_e32 v9, 0xffff, v9
	v_or_b32_e32 v5, v6, v5
	v_lshlrev_b32_e32 v12, 16, v12
	v_and_b32_e32 v11, 0xffff, v11
	v_or3_b32 v6, v8, v7, 0
	v_or_b32_e32 v7, v10, v9
	v_or3_b32 v5, 0, 0, v5
	v_or3_b32 v8, v12, v11, 0
	;; [unrolled: 1-line block ×3, first 2 shown]
	ds_write_b64 v14, v[5:6]
	ds_write_b64 v0, v[7:8]
	s_waitcnt lgkmcnt(0)
	s_barrier
	s_cbranch_scc1 .LBB24_4
; %bb.3:
	s_load_dword s0, s[4:5], 0xd0
	s_mov_b32 s3, 0
	s_waitcnt lgkmcnt(0)
	s_mul_i32 s0, s0, s33
	s_add_i32 s2, s0, s6
	s_lshl_b64 s[2:3], s[2:3], 2
	s_add_u32 s2, s18, s2
	s_addc_u32 s3, s19, s3
	s_load_dword s28, s[2:3], 0x0
.LBB24_4:
	s_lshl_b32 s6, s7, 6
	s_waitcnt lgkmcnt(0)
	s_cmp_lt_i32 s6, s28
	v_mbcnt_lo_u32_b32 v5, -1, 0
	s_cbranch_scc1 .LBB24_7
; %bb.5:
	v_mbcnt_hi_u32_b32 v96, -1, v5
	v_and_b32_e32 v0, 0x60, v96
	v_add_u32_e32 v97, 32, v0
	v_xor_b32_e32 v102, 16, v96
	v_xor_b32_e32 v101, 8, v96
	;; [unrolled: 1-line block ×5, first 2 shown]
	v_lshlrev_b32_e32 v26, 2, v23
	s_cbranch_execz .LBB24_8
; %bb.6:
	v_mov_b32_e32 v14, 0
	v_mov_b32_e32 v125, 0
	;; [unrolled: 1-line block ×8, first 2 shown]
	s_branch .LBB24_11
.LBB24_7:
                                        ; implicit-def: $vgpr96
                                        ; implicit-def: $vgpr97
                                        ; implicit-def: $vgpr102
                                        ; implicit-def: $vgpr101
                                        ; implicit-def: $vgpr100
                                        ; implicit-def: $vgpr99
                                        ; implicit-def: $vgpr98
	v_lshlrev_b32_e32 v26, 2, v23
.LBB24_8:
	s_sub_i32 s0, 0, s34
	s_mul_i32 s0, s0, s36
	buffer_store_dword v25, off, s[44:47], 0 offset:12 ; 4-byte Folded Spill
	buffer_store_dword v24, off, s[44:47], 0 offset:8 ; 4-byte Folded Spill
	s_mul_hi_u32 s0, s36, s0
	v_add_u32_e32 v107, 0x4400, v4
	v_mov_b32_e32 v4, v23
	s_add_i32 s0, s36, s0
	s_load_dwordx2 s[2:3], s[4:5], 0x8c
	s_load_dwordx4 s[36:39], s[4:5], 0x98
	buffer_store_dword v4, off, s[44:47], 0 ; 4-byte Folded Spill
	s_nop 0
	buffer_store_dword v5, off, s[44:47], 0 offset:4 ; 4-byte Folded Spill
	s_ashr_i32 s24, s35, 31
	s_abs_i32 s14, s29
	s_waitcnt lgkmcnt(0)
	s_ashr_i32 s19, s2, 2
	s_ashr_i32 s2, s33, 31
	s_mul_hi_u32 s25, s36, s33
	s_mul_i32 s35, s36, s2
	s_add_i32 s25, s25, s35
	s_mul_i32 s35, s37, s33
	s_ashr_i32 s15, s29, 31
	s_ashr_i32 s18, s38, 2
	;; [unrolled: 1-line block ×3, first 2 shown]
	s_add_i32 s25, s25, s35
	s_mul_i32 s35, s36, s33
	s_mul_hi_u32 s0, s14, s0
	s_add_u32 s10, s10, s35
	s_addc_u32 s11, s11, s25
	s_xor_b32 s15, s15, s24
	s_mul_i32 s24, s0, s34
	s_sub_i32 s14, s14, s24
	s_add_i32 s24, s0, 1
	s_sub_i32 s25, s14, s34
	s_cmp_ge_u32 s14, s34
	s_cselect_b32 s0, s24, s0
	s_cselect_b32 s14, s25, s14
	s_add_i32 s24, s0, 1
	s_cmp_ge_u32 s14, s34
	s_load_dwordx2 s[8:9], s[4:5], 0xa8
	s_cselect_b32 s0, s24, s0
	s_xor_b32 s0, s0, s15
	s_sub_i32 s0, s0, s15
	s_mul_i32 s3, s0, s3
	s_ashr_i32 s14, s3, 31
	s_add_u32 s24, s10, s3
	s_waitcnt lgkmcnt(0)
	s_mul_hi_u32 s3, s8, s33
	s_mul_i32 s2, s8, s2
	s_addc_u32 s25, s11, s14
	s_add_i32 s2, s3, s2
	s_mul_i32 s3, s9, s33
	v_lshrrev_b32_e32 v0, 4, v23
	s_add_i32 s2, s2, s3
	s_mul_i32 s3, s8, s33
	v_add_u32_e32 v3, v0, v3
	s_add_u32 s3, s12, s3
	s_mul_i32 s0, s0, s39
	v_mul_lo_u32 v6, s19, v3
	s_addc_u32 s2, s13, s2
	s_ashr_i32 s8, s0, 31
	v_and_b32_e32 v10, 60, v26
	s_add_u32 s34, s3, s0
	v_lshlrev_b32_e32 v16, 2, v10
	s_movk_i32 s0, 0x110
	s_addc_u32 s35, s2, s8
	v_mad_u32_u24 v127, v3, s0, v16
	s_lshl_b32 s0, s19, 4
	v_add_u32_e32 v8, s0, v6
	v_add_u32_e32 v12, s0, v8
	;; [unrolled: 1-line block ×3, first 2 shown]
	v_mad_u64_u32 v[73:74], s[0:1], v2, s1, v[23:24]
	v_mul_lo_u32 v2, s18, v3
	s_lshl_b32 s0, s18, 4
	v_lshl_or_b32 v94, v3, 8, v16
	v_ashrrev_i32_e32 v7, 31, v6
	v_add_u32_e32 v16, s0, v2
	v_add_u32_e32 v18, s0, v16
	;; [unrolled: 1-line block ×3, first 2 shown]
	v_ashrrev_i32_e32 v9, 31, v8
	v_ashrrev_i32_e32 v13, 31, v12
	;; [unrolled: 1-line block ×3, first 2 shown]
	v_mov_b32_e32 v4, 0x5400
	v_ashrrev_i32_e32 v3, 31, v2
	v_ashrrev_i32_e32 v17, 31, v16
	;; [unrolled: 1-line block ×4, first 2 shown]
	v_lshl_add_u32 v109, v1, 8, v4
	s_add_u32 s14, s4, 0xd0
	v_lshlrev_b64 v[74:75], 2, v[6:7]
	v_lshlrev_b64 v[76:77], 2, v[8:9]
	v_mbcnt_hi_u32_b32 v96, -1, v5
	v_lshlrev_b64 v[78:79], 2, v[12:13]
	v_lshlrev_b64 v[80:81], 2, v[14:15]
	v_and_b32_e32 v1, 0x60, v96
	v_lshlrev_b64 v[82:83], 2, v[2:3]
	v_lshlrev_b64 v[84:85], 2, v[16:17]
	v_lshlrev_b64 v[86:87], 2, v[18:19]
	v_lshlrev_b64 v[88:89], 2, v[20:21]
	v_mov_b32_e32 v11, 0
	v_add_u32_e32 v0, 0x1100, v127
	v_mul_u32_u24_e32 v108, 0x110, v23
	v_add_u32_e32 v93, 0x1000, v94
	v_add_u32_e32 v92, 0x2000, v94
	s_addc_u32 s15, s5, 0
	v_mov_b32_e32 v90, 0xfeffffff
	v_lshlrev_b32_e32 v114, 2, v10
	v_add_u32_e32 v97, 32, v1
	v_xor_b32_e32 v102, 16, v96
	v_xor_b32_e32 v101, 8, v96
	;; [unrolled: 1-line block ×5, first 2 shown]
	v_mov_b32_e32 v115, s31
	s_mov_b32 s31, 0x3fb8aa3b
	s_mov_b32 s36, 0xc2ce8ed0
	;; [unrolled: 1-line block ×3, first 2 shown]
	v_mov_b32_e32 v116, 0x7f800000
	s_mov_b32 s38, 0x10001
	v_add_u32_e32 v117, v109, v26
	v_add_u32_e32 v118, 0x800, v95
	;; [unrolled: 1-line block ×8, first 2 shown]
	v_mov_b32_e32 v13, 0
	v_mov_b32_e32 v12, 0
	;; [unrolled: 1-line block ×6, first 2 shown]
	buffer_store_dword v26, off, s[44:47], 0 offset:16 ; 4-byte Folded Spill
.LBB24_9:                               ; =>This Inner Loop Header: Depth=1
	v_cmp_lt_i32_e32 vcc, v102, v97
	v_cndmask_b32_e32 v2, v96, v102, vcc
	v_cmp_lt_i32_e32 vcc, v101, v97
	s_mul_hi_i32 s1, s6, s19
	s_mul_i32 s0, s6, s19
	v_add_u32_e32 v1, s6, v73
	v_cndmask_b32_e32 v3, v96, v101, vcc
	v_cmp_lt_i32_e32 vcc, v100, v97
	v_cndmask_b32_e32 v4, v96, v100, vcc
	v_cmp_lt_i32_e32 vcc, v99, v97
	s_lshl_b64 s[0:1], s[0:1], 2
	v_lshlrev_b32_e32 v27, 2, v2
	v_ashrrev_i32_e32 v2, 31, v1
	v_cndmask_b32_e32 v5, v96, v99, vcc
	v_cmp_lt_i32_e32 vcc, v98, v97
	s_add_u32 s12, s24, s0
	v_lshlrev_b64 v[1:2], 1, v[1:2]
	v_cndmask_b32_e32 v6, v96, v98, vcc
	s_addc_u32 s8, s25, s1
	v_lshlrev_b32_e32 v26, 2, v3
	v_lshlrev_b32_e32 v25, 2, v4
	;; [unrolled: 1-line block ×3, first 2 shown]
	v_mov_b32_e32 v3, s8
	v_mov_b32_e32 v4, s8
	;; [unrolled: 1-line block ×4, first 2 shown]
	v_add_co_u32_e64 v1, s[8:9], s30, v1
	s_mul_hi_i32 s3, s6, s18
	s_mul_i32 s2, s6, s18
	v_addc_co_u32_e64 v2, s[8:9], v115, v2, s[8:9]
	v_lshlrev_b32_e32 v24, 2, v5
	s_lshl_b64 s[10:11], s[2:3], 2
	v_add_co_u32_e32 v5, vcc, s12, v76
	v_add_co_u32_e64 v7, s[0:1], s12, v78
	v_add_co_u32_e64 v9, s[2:3], s12, v80
	;; [unrolled: 1-line block ×3, first 2 shown]
	v_addc_co_u32_e64 v28, s[8:9], v3, v75, s[8:9]
	v_addc_co_u32_e32 v4, vcc, v4, v77, vcc
	v_addc_co_u32_e64 v6, s[0:1], v6, v79, s[0:1]
	v_addc_co_u32_e64 v8, s[2:3], v8, v81, s[2:3]
	v_add_co_u32_e32 v3, vcc, v5, v114
	v_add_co_u32_e64 v5, s[0:1], v7, v114
	v_add_co_u32_e64 v7, s[2:3], v9, v114
	;; [unrolled: 1-line block ×3, first 2 shown]
	v_addc_co_u32_e64 v10, s[8:9], 0, v28, s[8:9]
	v_addc_co_u32_e32 v4, vcc, 0, v4, vcc
	v_addc_co_u32_e64 v6, vcc, 0, v6, s[0:1]
	v_addc_co_u32_e64 v8, vcc, 0, v8, s[2:3]
	global_load_dwordx4 v[28:31], v[9:10], off
	global_load_dwordx4 v[32:35], v[3:4], off
	;; [unrolled: 1-line block ×4, first 2 shown]
	v_mov_b32_e32 v18, 0
	v_mov_b32_e32 v19, 0
	;; [unrolled: 1-line block ×4, first 2 shown]
	s_add_u32 s10, s34, s10
	s_addc_u32 s11, s35, s11
	v_mov_b32_e32 v44, s11
	v_add_co_u32_e32 v45, vcc, s10, v82
	v_mov_b32_e32 v46, s11
	v_add_co_u32_e64 v47, s[0:1], s10, v84
	v_mov_b32_e32 v48, s11
	v_add_co_u32_e64 v49, s[2:3], s10, v86
	;; [unrolled: 2-line block ×3, first 2 shown]
	v_addc_co_u32_e32 v4, vcc, v44, v83, vcc
	v_addc_co_u32_e64 v6, vcc, v46, v85, s[0:1]
	v_addc_co_u32_e64 v8, s[0:1], v48, v87, s[2:3]
	s_waitcnt vmcnt(3)
	ds_write_b128 v127, v[28:31]
	s_waitcnt vmcnt(2)
	ds_write_b128 v0, v[32:35]
	v_add_u32_e32 v28, 0x2200, v127
	s_waitcnt vmcnt(1)
	ds_write_b128 v28, v[36:39]
	v_add_u32_e32 v28, 0x3300, v127
	s_waitcnt vmcnt(0)
	ds_write_b128 v28, v[40:43]
	s_waitcnt lgkmcnt(0)
	s_barrier
	ds_read_b128 v[28:31], v107
	ds_read_b128 v[32:35], v108
	ds_read_b128 v[36:39], v108 offset:8704
	ds_read_b128 v[40:43], v107 offset:256
	s_waitcnt lgkmcnt(2)
	;;#ASMSTART
	v_dot2_f32_f16 v18, v32, v28, v18
	;;#ASMEND
	;;#ASMSTART
	v_dot2_f32_f16 v18, v33, v29, v18
	;;#ASMEND
	;;#ASMSTART
	v_dot2_f32_f16 v18, v34, v30, v18
	;;#ASMEND
	;;#ASMSTART
	v_dot2_f32_f16 v18, v35, v31, v18
	;;#ASMEND
	s_waitcnt lgkmcnt(0)
	;;#ASMSTART
	v_dot2_f32_f16 v19, v32, v40, v19
	;;#ASMEND
	;;#ASMSTART
	v_dot2_f32_f16 v19, v33, v41, v19
	;;#ASMEND
	;;#ASMSTART
	v_dot2_f32_f16 v19, v34, v42, v19
	;;#ASMEND
	;;#ASMSTART
	v_dot2_f32_f16 v19, v35, v43, v19
	;;#ASMEND
	;;#ASMSTART
	v_dot2_f32_f16 v20, v36, v28, v20
	;;#ASMEND
	;;#ASMSTART
	v_dot2_f32_f16 v20, v37, v29, v20
	;;#ASMEND
	;;#ASMSTART
	v_dot2_f32_f16 v20, v38, v30, v20
	;;#ASMEND
	;;#ASMSTART
	v_dot2_f32_f16 v20, v39, v31, v20
	;;#ASMEND
	;;#ASMSTART
	v_dot2_f32_f16 v21, v36, v40, v21
	;;#ASMEND
	;;#ASMSTART
	v_dot2_f32_f16 v21, v37, v41, v21
	;;#ASMEND
	;;#ASMSTART
	v_dot2_f32_f16 v21, v38, v42, v21
	;;#ASMEND
	;;#ASMSTART
	v_dot2_f32_f16 v21, v39, v43, v21
	;;#ASMEND
	ds_read_b128 v[28:31], v107 offset:16
	ds_read_b128 v[32:35], v108 offset:16
	ds_read_b128 v[36:39], v108 offset:8720
	ds_read_b128 v[40:43], v107 offset:272
	s_waitcnt lgkmcnt(2)
	;;#ASMSTART
	v_dot2_f32_f16 v18, v32, v28, v18
	;;#ASMEND
	;;#ASMSTART
	v_dot2_f32_f16 v18, v33, v29, v18
	;;#ASMEND
	;;#ASMSTART
	v_dot2_f32_f16 v18, v34, v30, v18
	;;#ASMEND
	;;#ASMSTART
	v_dot2_f32_f16 v18, v35, v31, v18
	;;#ASMEND
	s_waitcnt lgkmcnt(0)
	;;#ASMSTART
	v_dot2_f32_f16 v19, v32, v40, v19
	;;#ASMEND
	;;#ASMSTART
	v_dot2_f32_f16 v19, v33, v41, v19
	;;#ASMEND
	;;#ASMSTART
	v_dot2_f32_f16 v19, v34, v42, v19
	;;#ASMEND
	;;#ASMSTART
	v_dot2_f32_f16 v19, v35, v43, v19
	;;#ASMEND
	;;#ASMSTART
	v_dot2_f32_f16 v20, v36, v28, v20
	;;#ASMEND
	;;#ASMSTART
	v_dot2_f32_f16 v20, v37, v29, v20
	;;#ASMEND
	;;#ASMSTART
	v_dot2_f32_f16 v20, v38, v30, v20
	;;#ASMEND
	;;#ASMSTART
	v_dot2_f32_f16 v20, v39, v31, v20
	;;#ASMEND
	;;#ASMSTART
	v_dot2_f32_f16 v21, v36, v40, v21
	;;#ASMEND
	;;#ASMSTART
	v_dot2_f32_f16 v21, v37, v41, v21
	;;#ASMEND
	;;#ASMSTART
	v_dot2_f32_f16 v21, v38, v42, v21
	;;#ASMEND
	;;#ASMSTART
	v_dot2_f32_f16 v21, v39, v43, v21
	;;#ASMEND
	ds_read_b128 v[28:31], v107 offset:32
	ds_read_b128 v[32:35], v108 offset:32
	;; [unrolled: 54-line block ×15, first 2 shown]
	ds_read_b128 v[36:39], v108 offset:8944
	ds_read_b128 v[40:43], v107 offset:496
	s_waitcnt lgkmcnt(2)
	;;#ASMSTART
	v_dot2_f32_f16 v18, v32, v28, v18
	;;#ASMEND
	;;#ASMSTART
	v_dot2_f32_f16 v18, v33, v29, v18
	;;#ASMEND
	;; [unrolled: 3-line block ×4, first 2 shown]
	s_waitcnt lgkmcnt(0)
	;;#ASMSTART
	v_dot2_f32_f16 v19, v32, v40, v19
	;;#ASMEND
	;;#ASMSTART
	v_dot2_f32_f16 v19, v33, v41, v19
	;;#ASMEND
	;; [unrolled: 3-line block ×12, first 2 shown]
	global_load_ushort v36, v[1:2], off
	global_load_ushort v37, v[1:2], off offset:64
	v_addc_co_u32_e64 v44, s[2:3], v50, v89, s[8:9]
	v_add_co_u32_e32 v3, vcc, v47, v114
	v_add_co_u32_e64 v5, s[0:1], v49, v114
	v_add_co_u32_e64 v7, s[2:3], v51, v114
	;; [unrolled: 1-line block ×3, first 2 shown]
	v_addc_co_u32_e64 v10, s[8:9], 0, v4, s[8:9]
	v_addc_co_u32_e32 v4, vcc, 0, v6, vcc
	v_addc_co_u32_e64 v6, vcc, 0, v8, s[0:1]
	v_addc_co_u32_e64 v8, vcc, 0, v44, s[2:3]
	s_waitcnt vmcnt(0)
	s_barrier
	global_load_dwordx4 v[28:31], v[9:10], off
	s_nop 0
	global_load_dwordx4 v[1:4], v[3:4], off
	s_nop 0
	;; [unrolled: 2-line block ×3, first 2 shown]
	global_load_dwordx4 v[5:8], v[7:8], off
	v_mov_b32_e32 v16, v91
	v_mov_b32_e32 v17, v90
	;; [unrolled: 1-line block ×4, first 2 shown]
	v_cvt_f32_f16_e32 v9, v36
	v_cvt_f32_f16_e32 v10, v37
	v_add_f32_e32 v18, v18, v9
	v_add_f32_e32 v20, v20, v10
	;; [unrolled: 1-line block ×8, first 2 shown]
	v_max3_f32 v19, v17, v19, v21
	v_max3_f32 v21, v16, v36, v37
	ds_bpermute_b32 v36, v27, v19
	ds_bpermute_b32 v27, v27, v21
	s_waitcnt lgkmcnt(1)
	v_max_f32_e32 v36, v36, v36
	s_waitcnt lgkmcnt(0)
	v_max_f32_e32 v27, v27, v27
	v_max_f32_e32 v19, v19, v36
	v_max_f32_e32 v21, v21, v27
	ds_bpermute_b32 v27, v26, v19
	ds_bpermute_b32 v26, v26, v21
	s_waitcnt lgkmcnt(1)
	v_max_f32_e32 v27, v27, v27
	s_waitcnt lgkmcnt(0)
	v_max_f32_e32 v26, v26, v26
	v_max_f32_e32 v19, v19, v27
	v_max_f32_e32 v21, v21, v26
	;; [unrolled: 8-line block ×5, first 2 shown]
	v_sub_f32_e32 v17, v17, v90
	v_sub_f32_e32 v18, v18, v90
	;; [unrolled: 1-line block ×6, first 2 shown]
	v_mul_f32_e32 v20, 0x3fb8aa3b, v18
	v_mul_f32_e32 v21, 0x3fb8aa3b, v19
	;; [unrolled: 1-line block ×6, first 2 shown]
	v_fma_f32 v27, v18, s31, -v20
	v_rndne_f32_e32 v36, v20
	v_fma_f32 v37, v19, s31, -v21
	v_rndne_f32_e32 v38, v21
	;; [unrolled: 2-line block ×6, first 2 shown]
	v_fmac_f32_e32 v27, 0x32a5705f, v18
	v_sub_f32_e32 v20, v20, v36
	v_fmac_f32_e32 v37, 0x32a5705f, v19
	v_sub_f32_e32 v21, v21, v38
	v_fmac_f32_e32 v39, 0x32a5705f, v17
	v_sub_f32_e32 v23, v23, v40
	v_fmac_f32_e32 v41, 0x32a5705f, v9
	v_sub_f32_e32 v24, v24, v42
	v_fmac_f32_e32 v43, 0x32a5705f, v10
	v_sub_f32_e32 v25, v25, v44
	v_fmac_f32_e32 v45, 0x32a5705f, v16
	v_sub_f32_e32 v26, v26, v46
	v_add_f32_e32 v20, v20, v27
	v_add_f32_e32 v21, v21, v37
	;; [unrolled: 1-line block ×5, first 2 shown]
	v_cvt_i32_f32_e32 v36, v36
	v_cvt_i32_f32_e32 v38, v38
	;; [unrolled: 1-line block ×5, first 2 shown]
	v_add_f32_e32 v26, v26, v45
	v_exp_f32_e32 v20, v20
	v_exp_f32_e32 v21, v21
	;; [unrolled: 1-line block ×5, first 2 shown]
	v_cvt_i32_f32_e32 v46, v46
	v_exp_f32_e32 v26, v26
	v_ldexp_f32 v20, v20, v36
	v_ldexp_f32 v21, v21, v38
	v_cmp_ngt_f32_e32 vcc, s36, v19
	v_ldexp_f32 v23, v23, v40
	v_cmp_ngt_f32_e64 s[0:1], s36, v17
	v_ldexp_f32 v24, v24, v42
	v_cmp_ngt_f32_e64 s[2:3], s36, v9
	;; [unrolled: 2-line block ×3, first 2 shown]
	v_cmp_ngt_f32_e64 s[12:13], s36, v18
	v_ldexp_f32 v26, v26, v46
	v_cmp_ngt_f32_e64 s[10:11], s36, v16
	v_cndmask_b32_e64 v20, 0, v20, s[12:13]
	v_cndmask_b32_e32 v21, 0, v21, vcc
	v_cmp_nlt_f32_e32 vcc, s37, v19
	v_cndmask_b32_e64 v19, 0, v23, s[0:1]
	v_cmp_nlt_f32_e64 s[0:1], s37, v17
	v_cndmask_b32_e64 v17, 0, v24, s[2:3]
	v_cmp_nlt_f32_e64 s[2:3], s37, v9
	;; [unrolled: 2-line block ×3, first 2 shown]
	v_cmp_nlt_f32_e64 s[12:13], s37, v18
	v_cndmask_b32_e64 v10, 0, v26, s[10:11]
	v_cmp_nlt_f32_e64 s[10:11], s37, v16
	v_cndmask_b32_e64 v16, v116, v20, s[12:13]
	v_cndmask_b32_e32 v18, v116, v21, vcc
	v_cndmask_b32_e64 v17, v116, v17, s[2:3]
	v_cndmask_b32_e64 v9, v116, v9, s[8:9]
	v_cndmask_b32_e64 v19, v116, v19, s[0:1]
	v_cndmask_b32_e64 v10, v116, v10, s[10:11]
	v_cvt_f16_f32_e32 v20, v16
	v_add_f32_e32 v126, v16, v18
	v_cvt_f16_f32_e32 v16, v18
	v_cvt_f16_f32_e32 v21, v17
	v_add_f32_e32 v125, v17, v9
	v_cvt_f16_f32_e32 v9, v9
	v_cvt_f16_f32_e32 v18, v19
	;; [unrolled: 1-line block ×3, first 2 shown]
	v_fmac_f32_e32 v125, v22, v10
	v_pack_b32_f16 v10, v20, v21
	v_pack_b32_f16 v9, v16, v9
	v_mul_u32_u24_e32 v23, 0x10001, v18
	v_mul_u32_u24_e32 v24, 0x10001, v17
	ds_write2_b32 v117, v10, v9 offset1:32
	s_waitcnt vmcnt(3)
	ds_write_b128 v94, v[28:31]
	s_waitcnt vmcnt(2)
	ds_write_b128 v93, v[1:4]
	;; [unrolled: 2-line block ×3, first 2 shown]
	v_add_u32_e32 v1, 0x3000, v94
	v_fmac_f32_e32 v126, v15, v19
	v_pk_mul_f16 v36, v12, v23
	v_pk_mul_f16 v37, v11, v24
	s_waitcnt vmcnt(0)
	ds_write_b128 v1, v[5:8]
	s_waitcnt lgkmcnt(0)
	s_barrier
	ds_read2_b64 v[15:18], v95 offset1:32
	ds_read_b128 v[19:22], v109
	ds_read_b128 v[29:32], v109 offset:16
	ds_read_b128 v[5:8], v109 offset:32
	;; [unrolled: 1-line block ×3, first 2 shown]
	ds_read2_b64 v[41:44], v95 offset0:64 offset1:96
	ds_read2_b64 v[45:48], v95 offset0:128 offset1:160
	ds_read2_b64 v[57:60], v95 offset0:192 offset1:224
	ds_read2_b64 v[61:64], v118 offset1:32
	ds_read2_b64 v[103:106], v118 offset0:64 offset1:96
	ds_read2_b64 v[110:113], v118 offset0:128 offset1:160
	;; [unrolled: 1-line block ×3, first 2 shown]
	ds_read2_b64 v[65:68], v119 offset1:32
	ds_read_b128 v[49:52], v109 offset:64
	ds_read2_b64 v[25:28], v119 offset0:64 offset1:96
	ds_read2_b64 v[9:12], v119 offset0:128 offset1:160
	s_waitcnt lgkmcnt(14)
	v_mul_u32_u24_sdwa v33, v19, s38 dst_sel:DWORD dst_unused:UNUSED_PAD src0_sel:WORD_0 src1_sel:DWORD
	v_mul_u32_u24_sdwa v19, v19, s38 dst_sel:DWORD dst_unused:UNUSED_PAD src0_sel:WORD_1 src1_sel:DWORD
	v_pk_mul_f16 v34, v15, v33
	v_pk_mul_f16 v15, v15, v19
	v_pk_fma_f16 v14, v14, v23, v34
	v_mul_u32_u24_sdwa v23, v20, s38 dst_sel:DWORD dst_unused:UNUSED_PAD src0_sel:WORD_0 src1_sel:DWORD
	v_pk_fma_f16 v33, v16, v33, v36
	v_mul_u32_u24_sdwa v20, v20, s38 dst_sel:DWORD dst_unused:UNUSED_PAD src0_sel:WORD_1 src1_sel:DWORD
	v_pk_fma_f16 v16, v16, v19, v37
	v_pk_fma_f16 v13, v13, v24, v15
	v_pk_fma_f16 v15, v18, v23, v33
	v_pk_fma_f16 v16, v18, v20, v16
	v_pk_fma_f16 v14, v17, v23, v14
	v_pk_fma_f16 v13, v17, v20, v13
	v_mul_u32_u24_sdwa v17, v21, s38 dst_sel:DWORD dst_unused:UNUSED_PAD src0_sel:WORD_0 src1_sel:DWORD
	v_mul_u32_u24_sdwa v18, v21, s38 dst_sel:DWORD dst_unused:UNUSED_PAD src0_sel:WORD_1 src1_sel:DWORD
	v_mul_u32_u24_sdwa v19, v22, s38 dst_sel:DWORD dst_unused:UNUSED_PAD src0_sel:WORD_0 src1_sel:DWORD
	v_mul_u32_u24_sdwa v20, v22, s38 dst_sel:DWORD dst_unused:UNUSED_PAD src0_sel:WORD_1 src1_sel:DWORD
	s_waitcnt lgkmcnt(10)
	v_pk_fma_f16 v15, v42, v17, v15
	v_pk_fma_f16 v16, v42, v18, v16
	v_pk_fma_f16 v14, v41, v17, v14
	v_pk_fma_f16 v13, v41, v18, v13
	v_pk_fma_f16 v17, v44, v19, v15
	v_pk_fma_f16 v18, v44, v20, v16
	v_pk_fma_f16 v19, v43, v19, v14
	v_pk_fma_f16 v20, v43, v20, v13
	v_mul_u32_u24_sdwa v21, v29, s38 dst_sel:DWORD dst_unused:UNUSED_PAD src0_sel:WORD_0 src1_sel:DWORD
	v_mul_u32_u24_sdwa v22, v29, s38 dst_sel:DWORD dst_unused:UNUSED_PAD src0_sel:WORD_1 src1_sel:DWORD
	v_mul_u32_u24_sdwa v23, v30, s38 dst_sel:DWORD dst_unused:UNUSED_PAD src0_sel:WORD_0 src1_sel:DWORD
	v_mul_u32_u24_sdwa v24, v30, s38 dst_sel:DWORD dst_unused:UNUSED_PAD src0_sel:WORD_1 src1_sel:DWORD
	s_waitcnt lgkmcnt(9)
	v_pk_fma_f16 v17, v46, v21, v17
	v_pk_fma_f16 v18, v46, v22, v18
	;; [unrolled: 13-line block ×6, first 2 shown]
	v_pk_fma_f16 v6, v110, v8, v6
	v_pk_fma_f16 v1, v110, v1, v5
	;; [unrolled: 1-line block ×6, first 2 shown]
	v_mul_u32_u24_sdwa v2, v3, s38 dst_sel:DWORD dst_unused:UNUSED_PAD src0_sel:WORD_0 src1_sel:DWORD
	v_mul_u32_u24_sdwa v3, v3, s38 dst_sel:DWORD dst_unused:UNUSED_PAD src0_sel:WORD_1 src1_sel:DWORD
	ds_read_b128 v[33:36], v109 offset:80
	ds_read_b128 v[53:56], v109 offset:96
	v_mul_u32_u24_sdwa v8, v4, s38 dst_sel:DWORD dst_unused:UNUSED_PAD src0_sel:WORD_0 src1_sel:DWORD
	v_mul_u32_u24_sdwa v4, v4, s38 dst_sel:DWORD dst_unused:UNUSED_PAD src0_sel:WORD_1 src1_sel:DWORD
	s_waitcnt lgkmcnt(6)
	v_pk_fma_f16 v5, v70, v2, v5
	v_pk_fma_f16 v7, v70, v3, v7
	;; [unrolled: 1-line block ×8, first 2 shown]
	s_waitcnt lgkmcnt(4)
	v_mul_u32_u24_sdwa v4, v49, s38 dst_sel:DWORD dst_unused:UNUSED_PAD src0_sel:WORD_0 src1_sel:DWORD
	v_mul_u32_u24_sdwa v49, v49, s38 dst_sel:DWORD dst_unused:UNUSED_PAD src0_sel:WORD_1 src1_sel:DWORD
	v_mul_u32_u24_sdwa v70, v50, s38 dst_sel:DWORD dst_unused:UNUSED_PAD src0_sel:WORD_0 src1_sel:DWORD
	v_mul_u32_u24_sdwa v50, v50, s38 dst_sel:DWORD dst_unused:UNUSED_PAD src0_sel:WORD_1 src1_sel:DWORD
	v_pk_fma_f16 v3, v66, v4, v3
	v_pk_fma_f16 v66, v66, v49, v69
	;; [unrolled: 1-line block ×4, first 2 shown]
	ds_read2_b64 v[37:40], v119 offset0:192 offset1:224
	v_pk_fma_f16 v3, v68, v70, v3
	v_pk_fma_f16 v4, v68, v50, v66
	;; [unrolled: 1-line block ×4, first 2 shown]
	v_mul_u32_u24_sdwa v69, v51, s38 dst_sel:DWORD dst_unused:UNUSED_PAD src0_sel:WORD_0 src1_sel:DWORD
	v_mul_u32_u24_sdwa v70, v51, s38 dst_sel:DWORD dst_unused:UNUSED_PAD src0_sel:WORD_1 src1_sel:DWORD
	v_mul_u32_u24_sdwa v71, v52, s38 dst_sel:DWORD dst_unused:UNUSED_PAD src0_sel:WORD_0 src1_sel:DWORD
	v_mul_u32_u24_sdwa v72, v52, s38 dst_sel:DWORD dst_unused:UNUSED_PAD src0_sel:WORD_1 src1_sel:DWORD
	s_waitcnt lgkmcnt(4)
	v_pk_fma_f16 v3, v26, v69, v3
	v_pk_fma_f16 v4, v26, v70, v4
	;; [unrolled: 1-line block ×4, first 2 shown]
	ds_read2_b64 v[13:16], v120 offset1:32
	v_pk_fma_f16 v3, v28, v71, v3
	v_pk_fma_f16 v4, v28, v72, v4
	;; [unrolled: 1-line block ×4, first 2 shown]
	s_waitcnt lgkmcnt(3)
	v_mul_u32_u24_sdwa v69, v33, s38 dst_sel:DWORD dst_unused:UNUSED_PAD src0_sel:WORD_0 src1_sel:DWORD
	v_mul_u32_u24_sdwa v33, v33, s38 dst_sel:DWORD dst_unused:UNUSED_PAD src0_sel:WORD_1 src1_sel:DWORD
	v_mul_u32_u24_sdwa v70, v34, s38 dst_sel:DWORD dst_unused:UNUSED_PAD src0_sel:WORD_0 src1_sel:DWORD
	v_mul_u32_u24_sdwa v34, v34, s38 dst_sel:DWORD dst_unused:UNUSED_PAD src0_sel:WORD_1 src1_sel:DWORD
	v_pk_fma_f16 v3, v10, v69, v3
	v_pk_fma_f16 v4, v10, v33, v4
	;; [unrolled: 1-line block ×4, first 2 shown]
	ds_read2_b64 v[41:44], v120 offset0:64 offset1:96
	v_pk_fma_f16 v3, v12, v70, v3
	v_pk_fma_f16 v4, v12, v34, v4
	v_pk_fma_f16 v2, v11, v70, v2
	v_pk_fma_f16 v1, v11, v34, v1
	v_mul_u32_u24_sdwa v9, v35, s38 dst_sel:DWORD dst_unused:UNUSED_PAD src0_sel:WORD_0 src1_sel:DWORD
	v_mul_u32_u24_sdwa v10, v35, s38 dst_sel:DWORD dst_unused:UNUSED_PAD src0_sel:WORD_1 src1_sel:DWORD
	ds_read_b128 v[57:60], v109 offset:112
	ds_read_b128 v[61:64], v109 offset:128
	v_mul_u32_u24_sdwa v11, v36, s38 dst_sel:DWORD dst_unused:UNUSED_PAD src0_sel:WORD_0 src1_sel:DWORD
	v_mul_u32_u24_sdwa v12, v36, s38 dst_sel:DWORD dst_unused:UNUSED_PAD src0_sel:WORD_1 src1_sel:DWORD
	s_waitcnt lgkmcnt(4)
	v_pk_fma_f16 v3, v38, v9, v3
	v_pk_fma_f16 v4, v38, v10, v4
	;; [unrolled: 1-line block ×4, first 2 shown]
	ds_read2_b64 v[17:20], v120 offset0:128 offset1:160
	v_pk_fma_f16 v3, v40, v11, v3
	v_pk_fma_f16 v4, v40, v12, v4
	;; [unrolled: 1-line block ×4, first 2 shown]
	v_mul_u32_u24_sdwa v9, v53, s38 dst_sel:DWORD dst_unused:UNUSED_PAD src0_sel:WORD_0 src1_sel:DWORD
	v_mul_u32_u24_sdwa v10, v53, s38 dst_sel:DWORD dst_unused:UNUSED_PAD src0_sel:WORD_1 src1_sel:DWORD
	v_mul_u32_u24_sdwa v11, v54, s38 dst_sel:DWORD dst_unused:UNUSED_PAD src0_sel:WORD_0 src1_sel:DWORD
	v_mul_u32_u24_sdwa v12, v54, s38 dst_sel:DWORD dst_unused:UNUSED_PAD src0_sel:WORD_1 src1_sel:DWORD
	s_waitcnt lgkmcnt(4)
	v_pk_fma_f16 v3, v14, v9, v3
	v_pk_fma_f16 v4, v14, v10, v4
	v_pk_fma_f16 v2, v13, v9, v2
	v_pk_fma_f16 v1, v13, v10, v1
	ds_read2_b64 v[45:48], v120 offset0:192 offset1:224
	v_pk_fma_f16 v9, v16, v11, v3
	v_pk_fma_f16 v10, v16, v12, v4
	;; [unrolled: 1-line block ×4, first 2 shown]
	v_mul_u32_u24_sdwa v13, v55, s38 dst_sel:DWORD dst_unused:UNUSED_PAD src0_sel:WORD_0 src1_sel:DWORD
	v_mul_u32_u24_sdwa v14, v55, s38 dst_sel:DWORD dst_unused:UNUSED_PAD src0_sel:WORD_1 src1_sel:DWORD
	v_mul_u32_u24_sdwa v15, v56, s38 dst_sel:DWORD dst_unused:UNUSED_PAD src0_sel:WORD_0 src1_sel:DWORD
	v_mul_u32_u24_sdwa v16, v56, s38 dst_sel:DWORD dst_unused:UNUSED_PAD src0_sel:WORD_1 src1_sel:DWORD
	s_waitcnt lgkmcnt(4)
	v_pk_fma_f16 v9, v42, v13, v9
	v_pk_fma_f16 v10, v42, v14, v10
	;; [unrolled: 1-line block ×4, first 2 shown]
	ds_read2_b64 v[21:24], v121 offset1:32
	v_pk_fma_f16 v13, v44, v15, v9
	v_pk_fma_f16 v14, v44, v16, v10
	;; [unrolled: 1-line block ×4, first 2 shown]
	s_waitcnt lgkmcnt(4)
	v_mul_u32_u24_sdwa v41, v57, s38 dst_sel:DWORD dst_unused:UNUSED_PAD src0_sel:WORD_0 src1_sel:DWORD
	v_mul_u32_u24_sdwa v42, v57, s38 dst_sel:DWORD dst_unused:UNUSED_PAD src0_sel:WORD_1 src1_sel:DWORD
	v_mul_u32_u24_sdwa v43, v58, s38 dst_sel:DWORD dst_unused:UNUSED_PAD src0_sel:WORD_0 src1_sel:DWORD
	v_mul_u32_u24_sdwa v44, v58, s38 dst_sel:DWORD dst_unused:UNUSED_PAD src0_sel:WORD_1 src1_sel:DWORD
	s_waitcnt lgkmcnt(2)
	v_pk_fma_f16 v13, v18, v41, v13
	v_pk_fma_f16 v14, v18, v42, v14
	;; [unrolled: 1-line block ×4, first 2 shown]
	ds_read2_b64 v[29:32], v121 offset0:64 offset1:96
	v_pk_fma_f16 v17, v20, v43, v13
	v_pk_fma_f16 v18, v20, v44, v14
	;; [unrolled: 1-line block ×4, first 2 shown]
	v_mul_u32_u24_sdwa v53, v59, s38 dst_sel:DWORD dst_unused:UNUSED_PAD src0_sel:WORD_0 src1_sel:DWORD
	v_mul_u32_u24_sdwa v54, v59, s38 dst_sel:DWORD dst_unused:UNUSED_PAD src0_sel:WORD_1 src1_sel:DWORD
	ds_read_b128 v[65:68], v109 offset:144
	ds_read_b128 v[69:72], v109 offset:160
	v_mul_u32_u24_sdwa v55, v60, s38 dst_sel:DWORD dst_unused:UNUSED_PAD src0_sel:WORD_0 src1_sel:DWORD
	v_mul_u32_u24_sdwa v56, v60, s38 dst_sel:DWORD dst_unused:UNUSED_PAD src0_sel:WORD_1 src1_sel:DWORD
	s_waitcnt lgkmcnt(4)
	v_pk_fma_f16 v17, v46, v53, v17
	v_pk_fma_f16 v18, v46, v54, v18
	;; [unrolled: 1-line block ×4, first 2 shown]
	ds_read2_b64 v[5:8], v121 offset0:128 offset1:160
	v_pk_fma_f16 v45, v48, v55, v17
	v_pk_fma_f16 v46, v48, v56, v18
	;; [unrolled: 1-line block ×4, first 2 shown]
	v_mul_u32_u24_sdwa v53, v61, s38 dst_sel:DWORD dst_unused:UNUSED_PAD src0_sel:WORD_0 src1_sel:DWORD
	v_mul_u32_u24_sdwa v54, v61, s38 dst_sel:DWORD dst_unused:UNUSED_PAD src0_sel:WORD_1 src1_sel:DWORD
	v_mul_u32_u24_sdwa v55, v62, s38 dst_sel:DWORD dst_unused:UNUSED_PAD src0_sel:WORD_0 src1_sel:DWORD
	v_mul_u32_u24_sdwa v56, v62, s38 dst_sel:DWORD dst_unused:UNUSED_PAD src0_sel:WORD_1 src1_sel:DWORD
	s_waitcnt lgkmcnt(4)
	v_pk_fma_f16 v45, v22, v53, v45
	v_pk_fma_f16 v22, v22, v54, v46
	;; [unrolled: 1-line block ×4, first 2 shown]
	ds_read2_b64 v[49:52], v121 offset0:192 offset1:224
	v_pk_fma_f16 v53, v24, v55, v45
	v_pk_fma_f16 v54, v24, v56, v22
	;; [unrolled: 1-line block ×4, first 2 shown]
	v_mul_u32_u24_sdwa v57, v63, s38 dst_sel:DWORD dst_unused:UNUSED_PAD src0_sel:WORD_0 src1_sel:DWORD
	v_mul_u32_u24_sdwa v58, v63, s38 dst_sel:DWORD dst_unused:UNUSED_PAD src0_sel:WORD_1 src1_sel:DWORD
	v_mul_u32_u24_sdwa v59, v64, s38 dst_sel:DWORD dst_unused:UNUSED_PAD src0_sel:WORD_0 src1_sel:DWORD
	v_mul_u32_u24_sdwa v60, v64, s38 dst_sel:DWORD dst_unused:UNUSED_PAD src0_sel:WORD_1 src1_sel:DWORD
	s_waitcnt lgkmcnt(4)
	v_pk_fma_f16 v53, v30, v57, v53
	v_pk_fma_f16 v55, v29, v57, v55
	;; [unrolled: 1-line block ×4, first 2 shown]
	ds_read2_b64 v[25:28], v122 offset1:32
	s_waitcnt lgkmcnt(4)
	v_mul_u32_u24_sdwa v57, v65, s38 dst_sel:DWORD dst_unused:UNUSED_PAD src0_sel:WORD_0 src1_sel:DWORD
	v_mul_u32_u24_sdwa v54, v65, s38 dst_sel:DWORD dst_unused:UNUSED_PAD src0_sel:WORD_1 src1_sel:DWORD
	v_pk_fma_f16 v53, v32, v59, v53
	v_pk_fma_f16 v55, v31, v59, v55
	;; [unrolled: 1-line block ×4, first 2 shown]
	v_mul_u32_u24_sdwa v56, v66, s38 dst_sel:DWORD dst_unused:UNUSED_PAD src0_sel:WORD_0 src1_sel:DWORD
	v_mul_u32_u24_sdwa v60, v66, s38 dst_sel:DWORD dst_unused:UNUSED_PAD src0_sel:WORD_1 src1_sel:DWORD
	s_waitcnt lgkmcnt(2)
	v_pk_fma_f16 v53, v6, v57, v53
	v_pk_fma_f16 v55, v5, v57, v55
	v_pk_fma_f16 v6, v6, v54, v58
	v_pk_fma_f16 v5, v5, v54, v59
	ds_read2_b64 v[33:36], v122 offset0:64 offset1:96
	v_mul_u32_u24_sdwa v61, v67, s38 dst_sel:DWORD dst_unused:UNUSED_PAD src0_sel:WORD_0 src1_sel:DWORD
	v_mul_u32_u24_sdwa v62, v67, s38 dst_sel:DWORD dst_unused:UNUSED_PAD src0_sel:WORD_1 src1_sel:DWORD
	v_pk_fma_f16 v53, v8, v56, v53
	v_pk_fma_f16 v55, v7, v56, v55
	;; [unrolled: 1-line block ×4, first 2 shown]
	ds_read_b128 v[103:106], v109 offset:176
	ds_read_b128 v[41:44], v109 offset:192
	v_mul_u32_u24_sdwa v63, v68, s38 dst_sel:DWORD dst_unused:UNUSED_PAD src0_sel:WORD_0 src1_sel:DWORD
	v_mul_u32_u24_sdwa v64, v68, s38 dst_sel:DWORD dst_unused:UNUSED_PAD src0_sel:WORD_1 src1_sel:DWORD
	s_waitcnt lgkmcnt(4)
	v_pk_fma_f16 v53, v50, v61, v53
	v_pk_fma_f16 v55, v49, v61, v55
	;; [unrolled: 1-line block ×4, first 2 shown]
	ds_read2_b64 v[37:40], v122 offset0:128 offset1:160
	v_mul_u32_u24_sdwa v57, v69, s38 dst_sel:DWORD dst_unused:UNUSED_PAD src0_sel:WORD_0 src1_sel:DWORD
	v_mul_u32_u24_sdwa v54, v69, s38 dst_sel:DWORD dst_unused:UNUSED_PAD src0_sel:WORD_1 src1_sel:DWORD
	v_pk_fma_f16 v53, v52, v63, v53
	v_pk_fma_f16 v55, v51, v63, v55
	;; [unrolled: 1-line block ×4, first 2 shown]
	v_mul_u32_u24_sdwa v56, v70, s38 dst_sel:DWORD dst_unused:UNUSED_PAD src0_sel:WORD_0 src1_sel:DWORD
	v_mul_u32_u24_sdwa v60, v70, s38 dst_sel:DWORD dst_unused:UNUSED_PAD src0_sel:WORD_1 src1_sel:DWORD
	s_waitcnt lgkmcnt(4)
	v_pk_fma_f16 v53, v26, v57, v53
	v_pk_fma_f16 v55, v25, v57, v55
	;; [unrolled: 1-line block ×4, first 2 shown]
	ds_read2_b64 v[1:4], v122 offset0:192 offset1:224
	v_mul_u32_u24_sdwa v65, v71, s38 dst_sel:DWORD dst_unused:UNUSED_PAD src0_sel:WORD_0 src1_sel:DWORD
	v_mul_u32_u24_sdwa v66, v71, s38 dst_sel:DWORD dst_unused:UNUSED_PAD src0_sel:WORD_1 src1_sel:DWORD
	v_pk_fma_f16 v53, v28, v56, v53
	v_pk_fma_f16 v54, v27, v56, v55
	;; [unrolled: 1-line block ×4, first 2 shown]
	v_mul_u32_u24_sdwa v67, v72, s38 dst_sel:DWORD dst_unused:UNUSED_PAD src0_sel:WORD_0 src1_sel:DWORD
	v_mul_u32_u24_sdwa v68, v72, s38 dst_sel:DWORD dst_unused:UNUSED_PAD src0_sel:WORD_1 src1_sel:DWORD
	s_waitcnt lgkmcnt(4)
	v_pk_fma_f16 v53, v34, v65, v53
	v_pk_fma_f16 v54, v33, v65, v54
	;; [unrolled: 1-line block ×4, first 2 shown]
	ds_read2_b64 v[9:12], v123 offset1:32
	s_waitcnt lgkmcnt(4)
	v_mul_u32_u24_sdwa v61, v103, s38 dst_sel:DWORD dst_unused:UNUSED_PAD src0_sel:WORD_0 src1_sel:DWORD
	v_mul_u32_u24_sdwa v58, v103, s38 dst_sel:DWORD dst_unused:UNUSED_PAD src0_sel:WORD_1 src1_sel:DWORD
	v_pk_fma_f16 v53, v36, v67, v53
	v_pk_fma_f16 v54, v35, v67, v54
	;; [unrolled: 1-line block ×4, first 2 shown]
	v_mul_u32_u24_sdwa v59, v104, s38 dst_sel:DWORD dst_unused:UNUSED_PAD src0_sel:WORD_0 src1_sel:DWORD
	v_mul_u32_u24_sdwa v64, v104, s38 dst_sel:DWORD dst_unused:UNUSED_PAD src0_sel:WORD_1 src1_sel:DWORD
	s_waitcnt lgkmcnt(2)
	v_pk_fma_f16 v53, v38, v61, v53
	v_pk_fma_f16 v54, v37, v61, v54
	;; [unrolled: 1-line block ×4, first 2 shown]
	ds_read2_b64 v[13:16], v123 offset0:64 offset1:96
	v_mul_u32_u24_sdwa v69, v105, s38 dst_sel:DWORD dst_unused:UNUSED_PAD src0_sel:WORD_0 src1_sel:DWORD
	v_mul_u32_u24_sdwa v70, v105, s38 dst_sel:DWORD dst_unused:UNUSED_PAD src0_sel:WORD_1 src1_sel:DWORD
	v_pk_fma_f16 v38, v40, v59, v53
	v_pk_fma_f16 v53, v39, v59, v54
	;; [unrolled: 1-line block ×4, first 2 shown]
	ds_read_b128 v[21:24], v109 offset:208
	ds_read_b128 v[5:8], v109 offset:224
	v_mul_u32_u24_sdwa v71, v106, s38 dst_sel:DWORD dst_unused:UNUSED_PAD src0_sel:WORD_0 src1_sel:DWORD
	v_mul_u32_u24_sdwa v72, v106, s38 dst_sel:DWORD dst_unused:UNUSED_PAD src0_sel:WORD_1 src1_sel:DWORD
	s_waitcnt lgkmcnt(4)
	v_pk_fma_f16 v38, v2, v69, v38
	v_pk_fma_f16 v53, v1, v69, v53
	;; [unrolled: 1-line block ×4, first 2 shown]
	ds_read2_b64 v[17:20], v123 offset0:128 offset1:160
	v_mul_u32_u24_sdwa v57, v41, s38 dst_sel:DWORD dst_unused:UNUSED_PAD src0_sel:WORD_0 src1_sel:DWORD
	v_mul_u32_u24_sdwa v41, v41, s38 dst_sel:DWORD dst_unused:UNUSED_PAD src0_sel:WORD_1 src1_sel:DWORD
	v_pk_fma_f16 v33, v4, v71, v38
	v_pk_fma_f16 v34, v3, v71, v53
	;; [unrolled: 1-line block ×4, first 2 shown]
	v_mul_u32_u24_sdwa v55, v42, s38 dst_sel:DWORD dst_unused:UNUSED_PAD src0_sel:WORD_0 src1_sel:DWORD
	v_mul_u32_u24_sdwa v42, v42, s38 dst_sel:DWORD dst_unused:UNUSED_PAD src0_sel:WORD_1 src1_sel:DWORD
	s_waitcnt lgkmcnt(4)
	v_pk_fma_f16 v33, v10, v57, v33
	v_pk_fma_f16 v2, v10, v41, v2
	;; [unrolled: 1-line block ×4, first 2 shown]
	ds_read2_b64 v[45:48], v123 offset0:192 offset1:224
	v_mul_u32_u24_sdwa v62, v43, s38 dst_sel:DWORD dst_unused:UNUSED_PAD src0_sel:WORD_0 src1_sel:DWORD
	v_mul_u32_u24_sdwa v43, v43, s38 dst_sel:DWORD dst_unused:UNUSED_PAD src0_sel:WORD_1 src1_sel:DWORD
	v_pk_fma_f16 v9, v12, v55, v33
	v_pk_fma_f16 v2, v12, v42, v2
	;; [unrolled: 1-line block ×4, first 2 shown]
	v_mul_u32_u24_sdwa v63, v44, s38 dst_sel:DWORD dst_unused:UNUSED_PAD src0_sel:WORD_0 src1_sel:DWORD
	v_mul_u32_u24_sdwa v44, v44, s38 dst_sel:DWORD dst_unused:UNUSED_PAD src0_sel:WORD_1 src1_sel:DWORD
	s_waitcnt lgkmcnt(4)
	v_pk_fma_f16 v9, v14, v62, v9
	v_pk_fma_f16 v2, v14, v43, v2
	v_pk_fma_f16 v10, v13, v62, v10
	v_pk_fma_f16 v1, v13, v43, v1
	ds_read2_b64 v[29:32], v124 offset1:32
	s_waitcnt lgkmcnt(4)
	v_mul_u32_u24_sdwa v65, v21, s38 dst_sel:DWORD dst_unused:UNUSED_PAD src0_sel:WORD_0 src1_sel:DWORD
	v_mul_u32_u24_sdwa v56, v21, s38 dst_sel:DWORD dst_unused:UNUSED_PAD src0_sel:WORD_1 src1_sel:DWORD
	v_pk_fma_f16 v9, v16, v63, v9
	v_pk_fma_f16 v2, v16, v44, v2
	;; [unrolled: 1-line block ×4, first 2 shown]
	v_mul_u32_u24_sdwa v60, v22, s38 dst_sel:DWORD dst_unused:UNUSED_PAD src0_sel:WORD_0 src1_sel:DWORD
	v_mul_u32_u24_sdwa v35, v22, s38 dst_sel:DWORD dst_unused:UNUSED_PAD src0_sel:WORD_1 src1_sel:DWORD
	s_waitcnt lgkmcnt(2)
	v_pk_fma_f16 v9, v18, v65, v9
	v_pk_fma_f16 v2, v18, v56, v2
	;; [unrolled: 1-line block ×4, first 2 shown]
	ds_read2_b64 v[49:52], v124 offset0:64 offset1:96
	v_mul_u32_u24_sdwa v36, v23, s38 dst_sel:DWORD dst_unused:UNUSED_PAD src0_sel:WORD_0 src1_sel:DWORD
	v_mul_u32_u24_sdwa v66, v23, s38 dst_sel:DWORD dst_unused:UNUSED_PAD src0_sel:WORD_1 src1_sel:DWORD
	v_pk_fma_f16 v9, v20, v60, v9
	v_pk_fma_f16 v2, v20, v35, v2
	;; [unrolled: 1-line block ×4, first 2 shown]
	v_mul_u32_u24_sdwa v67, v24, s38 dst_sel:DWORD dst_unused:UNUSED_PAD src0_sel:WORD_0 src1_sel:DWORD
	v_mul_u32_u24_sdwa v68, v24, s38 dst_sel:DWORD dst_unused:UNUSED_PAD src0_sel:WORD_1 src1_sel:DWORD
	ds_read_b128 v[21:24], v109 offset:240
	s_waitcnt lgkmcnt(3)
	v_pk_fma_f16 v9, v46, v36, v9
	v_pk_fma_f16 v2, v46, v66, v2
	;; [unrolled: 1-line block ×4, first 2 shown]
	ds_read2_b64 v[25:28], v124 offset0:128 offset1:160
	v_mul_u32_u24_sdwa v61, v5, s38 dst_sel:DWORD dst_unused:UNUSED_PAD src0_sel:WORD_0 src1_sel:DWORD
	v_mul_u32_u24_sdwa v37, v5, s38 dst_sel:DWORD dst_unused:UNUSED_PAD src0_sel:WORD_1 src1_sel:DWORD
	v_pk_fma_f16 v9, v48, v67, v9
	v_pk_fma_f16 v2, v48, v68, v2
	;; [unrolled: 1-line block ×4, first 2 shown]
	v_mul_u32_u24_sdwa v54, v6, s38 dst_sel:DWORD dst_unused:UNUSED_PAD src0_sel:WORD_0 src1_sel:DWORD
	v_mul_u32_u24_sdwa v39, v6, s38 dst_sel:DWORD dst_unused:UNUSED_PAD src0_sel:WORD_1 src1_sel:DWORD
	v_mul_u32_u24_sdwa v40, v7, s38 dst_sel:DWORD dst_unused:UNUSED_PAD src0_sel:WORD_0 src1_sel:DWORD
	v_mul_u32_u24_sdwa v58, v7, s38 dst_sel:DWORD dst_unused:UNUSED_PAD src0_sel:WORD_1 src1_sel:DWORD
	;; [unrolled: 2-line block ×3, first 2 shown]
	ds_read2_b64 v[5:8], v124 offset0:192 offset1:224
	s_waitcnt lgkmcnt(0)
	s_barrier
	s_load_dword s0, s[14:15], 0x4
	v_pk_fma_f16 v9, v30, v61, v9
	v_pk_fma_f16 v2, v30, v37, v2
	;; [unrolled: 1-line block ×12, first 2 shown]
	v_mul_u32_u24_sdwa v69, v21, s38 dst_sel:DWORD dst_unused:UNUSED_PAD src0_sel:WORD_0 src1_sel:DWORD
	v_mul_u32_u24_sdwa v21, v21, s38 dst_sel:DWORD dst_unused:UNUSED_PAD src0_sel:WORD_1 src1_sel:DWORD
	v_pk_fma_f16 v9, v52, v59, v9
	v_pk_fma_f16 v2, v52, v64, v2
	v_pk_fma_f16 v10, v51, v59, v10
	v_pk_fma_f16 v1, v51, v64, v1
	v_mul_u32_u24_sdwa v38, v22, s38 dst_sel:DWORD dst_unused:UNUSED_PAD src0_sel:WORD_0 src1_sel:DWORD
	v_mul_u32_u24_sdwa v3, v22, s38 dst_sel:DWORD dst_unused:UNUSED_PAD src0_sel:WORD_1 src1_sel:DWORD
	v_pk_fma_f16 v9, v26, v69, v9
	v_pk_fma_f16 v2, v26, v21, v2
	;; [unrolled: 1-line block ×4, first 2 shown]
	v_mul_u32_u24_sdwa v4, v23, s38 dst_sel:DWORD dst_unused:UNUSED_PAD src0_sel:WORD_0 src1_sel:DWORD
	v_mul_u32_u24_sdwa v22, v23, s38 dst_sel:DWORD dst_unused:UNUSED_PAD src0_sel:WORD_1 src1_sel:DWORD
	s_waitcnt lgkmcnt(0)
	s_lshl_b32 s0, s0, 6
	v_pk_fma_f16 v9, v28, v38, v9
	v_pk_fma_f16 v2, v28, v3, v2
	v_pk_fma_f16 v10, v27, v38, v10
	v_pk_fma_f16 v1, v27, v3, v1
	v_mul_u32_u24_sdwa v23, v24, s38 dst_sel:DWORD dst_unused:UNUSED_PAD src0_sel:WORD_0 src1_sel:DWORD
	v_mul_u32_u24_sdwa v24, v24, s38 dst_sel:DWORD dst_unused:UNUSED_PAD src0_sel:WORD_1 src1_sel:DWORD
	s_add_i32 s6, s0, s6
	v_pk_fma_f16 v3, v6, v4, v9
	v_pk_fma_f16 v2, v6, v22, v2
	;; [unrolled: 1-line block ×4, first 2 shown]
	s_cmp_ge_i32 s6, s28
	v_pk_fma_f16 v12, v8, v23, v3
	v_pk_fma_f16 v11, v8, v24, v2
	;; [unrolled: 1-line block ×4, first 2 shown]
	s_cbranch_scc0 .LBB24_9
; %bb.10:
	buffer_load_dword v23, off, s[44:47], 0 ; 4-byte Folded Reload
	buffer_load_dword v24, off, s[44:47], 0 offset:4 ; 4-byte Folded Reload
	buffer_load_dword v24, off, s[44:47], 0 offset:8 ; 4-byte Folded Reload
	;; [unrolled: 1-line block ×4, first 2 shown]
.LBB24_11:
	v_cmp_lt_i32_e32 vcc, v102, v97
	v_cndmask_b32_e32 v0, v96, v102, vcc
	v_lshlrev_b32_e32 v0, 2, v0
	ds_bpermute_b32 v1, v0, v126
	ds_bpermute_b32 v0, v0, v125
	v_cmp_lt_i32_e32 vcc, v101, v97
	v_cndmask_b32_e32 v2, v96, v101, vcc
	v_lshlrev_b32_e32 v2, 2, v2
	s_waitcnt lgkmcnt(1)
	v_add_f32_e32 v1, v126, v1
	s_waitcnt lgkmcnt(0)
	v_add_f32_e32 v0, v125, v0
	ds_bpermute_b32 v3, v2, v1
	ds_bpermute_b32 v2, v2, v0
	v_cmp_lt_i32_e32 vcc, v100, v97
	v_cndmask_b32_e32 v4, v96, v100, vcc
	v_lshlrev_b32_e32 v4, 2, v4
	s_waitcnt lgkmcnt(1)
	v_add_f32_e32 v1, v1, v3
	s_waitcnt lgkmcnt(0)
	v_add_f32_e32 v0, v0, v2
	;; [unrolled: 9-line block ×4, first 2 shown]
	ds_bpermute_b32 v3, v4, v1
	ds_bpermute_b32 v2, v4, v0
	s_cmp_lg_u64 s[16:17], 0
	s_cselect_b64 s[0:1], -1, 0
	s_cmp_eq_u32 s7, 0
	s_cselect_b64 s[2:3], -1, 0
	s_and_b64 s[0:1], s[2:3], s[0:1]
	s_waitcnt lgkmcnt(1)
	v_add_f32_e32 v1, v1, v3
	s_waitcnt lgkmcnt(0)
	v_add_f32_e32 v2, v0, v2
	s_and_b64 vcc, exec, s[0:1]
	s_cbranch_vccz .LBB24_14
; %bb.12:
	s_waitcnt vmcnt(1)
	v_add_u32_e32 v3, s29, v25
	v_ashrrev_i32_e32 v4, 31, v3
	v_lshlrev_b64 v[3:4], 2, v[3:4]
	v_mov_b32_e32 v0, s17
	v_add_co_u32_e32 v3, vcc, s16, v3
	v_addc_co_u32_e32 v4, vcc, v0, v4, vcc
	global_load_dwordx2 v[3:4], v[3:4], off
	v_max_f32_e32 v0, v90, v90
	v_max_f32_e32 v6, v91, v91
	s_mov_b32 s0, 0x3fb8aa3b
	s_mov_b32 s1, 0xc2ce8ed0
	s_mov_b32 s2, 0x42b17218
	v_mov_b32_e32 v7, 0x7f800000
	s_waitcnt vmcnt(0)
	v_max_f32_e32 v5, v3, v3
	v_max_f32_e32 v8, v4, v4
	;; [unrolled: 1-line block ×4, first 2 shown]
	v_sub_f32_e32 v0, v90, v5
	v_sub_f32_e32 v8, v91, v6
	v_mov_b32_e32 v91, v6
	v_sub_f32_e32 v3, v3, v5
	v_mov_b32_e32 v90, v5
	v_mul_f32_e32 v5, 0x3fb8aa3b, v0
	v_sub_f32_e32 v4, v4, v6
	v_mul_f32_e32 v6, 0x3fb8aa3b, v3
	v_fma_f32 v15, v0, s0, -v5
	v_rndne_f32_e32 v16, v5
	v_mul_f32_e32 v9, 0x3fb8aa3b, v8
	v_fma_f32 v17, v3, s0, -v6
	v_rndne_f32_e32 v18, v6
	v_fmac_f32_e32 v15, 0x32a5705f, v0
	v_sub_f32_e32 v5, v5, v16
	v_mul_f32_e32 v10, 0x3fb8aa3b, v4
	v_fma_f32 v19, v8, s0, -v9
	v_rndne_f32_e32 v20, v9
	v_fmac_f32_e32 v17, 0x32a5705f, v3
	v_sub_f32_e32 v6, v6, v18
	v_add_f32_e32 v5, v5, v15
	v_fma_f32 v21, v4, s0, -v10
	v_rndne_f32_e32 v22, v10
	v_cvt_i32_f32_e32 v16, v16
	v_fmac_f32_e32 v19, 0x32a5705f, v8
	v_sub_f32_e32 v9, v9, v20
	v_add_f32_e32 v6, v6, v17
	v_exp_f32_e32 v5, v5
	v_cvt_i32_f32_e32 v18, v18
	v_fmac_f32_e32 v21, 0x32a5705f, v4
	v_sub_f32_e32 v10, v10, v22
	v_add_f32_e32 v9, v9, v19
	v_exp_f32_e32 v6, v6
	v_cvt_i32_f32_e32 v20, v20
	v_add_f32_e32 v10, v10, v21
	v_exp_f32_e32 v9, v9
	v_cvt_i32_f32_e32 v22, v22
	v_exp_f32_e32 v10, v10
	v_ldexp_f32 v5, v5, v16
	v_cmp_ngt_f32_e32 vcc, s1, v0
	v_ldexp_f32 v6, v6, v18
	v_cndmask_b32_e32 v5, 0, v5, vcc
	v_cmp_ngt_f32_e32 vcc, s1, v3
	v_ldexp_f32 v9, v9, v20
	v_cndmask_b32_e32 v6, 0, v6, vcc
	;; [unrolled: 3-line block ×3, first 2 shown]
	v_cmp_ngt_f32_e32 vcc, s1, v4
	v_cndmask_b32_e32 v10, 0, v10, vcc
	v_cmp_nlt_f32_e32 vcc, s2, v0
	v_cndmask_b32_e32 v0, v7, v5, vcc
	v_cmp_nlt_f32_e32 vcc, s2, v3
	;; [unrolled: 2-line block ×3, first 2 shown]
	v_cndmask_b32_e32 v5, v7, v9, vcc
	v_fmac_f32_e32 v3, v1, v0
	v_cvt_f16_f32_e32 v0, v0
	v_cvt_f16_f32_e32 v6, v5
	v_cmp_nlt_f32_e32 vcc, s2, v4
	v_cndmask_b32_e32 v4, v7, v10, vcc
	v_fmac_f32_e32 v4, v2, v5
	v_mul_u32_u24_e32 v0, 0x10001, v0
	v_mul_u32_u24_e32 v2, 0x10001, v6
	v_mov_b32_e32 v1, v3
	v_pk_mul_f16 v14, v14, v0
	v_pk_mul_f16 v12, v12, v0
	;; [unrolled: 1-line block ×4, first 2 shown]
	v_mov_b32_e32 v2, v4
	v_cmp_gt_i32_e32 vcc, s26, v24
	s_and_saveexec_b64 s[0:1], vcc
	s_cbranch_execnz .LBB24_15
.LBB24_13:
	s_endpgm
.LBB24_14:
	v_mov_b32_e32 v4, v2
	v_mov_b32_e32 v3, v1
	s_waitcnt vmcnt(2)
	v_cmp_gt_i32_e32 vcc, s26, v24
	s_and_saveexec_b64 s[0:1], vcc
	s_cbranch_execz .LBB24_13
.LBB24_15:
	s_load_dword s6, s[4:5], 0xd4
	v_mov_b32_e32 v5, 1.0
	s_waitcnt lgkmcnt(0)
	s_cmp_lg_u32 s6, 1
	s_cselect_b64 s[0:1], -1, 0
	s_cmp_eq_u32 s6, 1
	s_cselect_b64 s[2:3], -1, 0
	s_and_b64 vcc, exec, s[0:1]
	s_cbranch_vccnz .LBB24_17
; %bb.16:
	v_div_scale_f32 v0, s[4:5], v1, v1, 1.0
	v_div_scale_f32 v5, vcc, 1.0, v1, 1.0
	v_rcp_f32_e32 v6, v0
	v_fma_f32 v7, -v0, v6, 1.0
	v_fmac_f32_e32 v6, v7, v6
	v_mul_f32_e32 v7, v5, v6
	v_fma_f32 v8, -v0, v7, v5
	v_fmac_f32_e32 v7, v8, v6
	v_fma_f32 v0, -v0, v7, v5
	v_div_fmas_f32 v0, v0, v6, v7
	v_div_fixup_f32 v5, v0, v1, 1.0
.LBB24_17:
	s_mul_i32 s33, s33, s26
	v_add_u32_e32 v0, s33, v24
	v_mul_lo_u32 v0, v0, s27
	v_cvt_f32_f16_e32 v1, v14
	v_mov_b32_e32 v15, 0
	v_cvt_f32_f16_sdwa v7, v14 dst_sel:DWORD dst_unused:UNUSED_PAD src0_sel:WORD_1
	s_waitcnt vmcnt(1)
	v_add3_u32 v0, s29, v25, v0
	v_mul_lo_u32 v0, s6, v0
	v_cvt_f32_f16_e32 v8, v12
	v_cvt_f32_f16_sdwa v9, v12 dst_sel:DWORD dst_unused:UNUSED_PAD src0_sel:WORD_1
	v_cmp_eq_u32_e32 vcc, 0, v23
	v_add_u32_e32 v0, s7, v0
	s_waitcnt vmcnt(0)
	v_lshl_add_u32 v14, v0, 7, v26
	v_lshlrev_b64 v[14:15], 2, v[14:15]
	s_and_b64 s[0:1], vcc, s[0:1]
	v_mul_f32_e32 v6, v5, v1
	v_mov_b32_e32 v1, s21
	v_add_co_u32_e32 v14, vcc, s20, v14
	v_mul_f32_e32 v7, v5, v7
	v_mul_f32_e32 v8, v5, v8
	;; [unrolled: 1-line block ×3, first 2 shown]
	v_addc_co_u32_e32 v15, vcc, v1, v15, vcc
	global_store_dwordx4 v[14:15], v[6:9], off
	s_and_saveexec_b64 s[4:5], s[0:1]
	s_cbranch_execz .LBB24_19
; %bb.18:
	v_ashrrev_i32_e32 v1, 31, v0
	v_lshlrev_b64 v[5:6], 3, v[0:1]
	v_mov_b32_e32 v1, s23
	v_add_co_u32_e32 v5, vcc, s22, v5
	v_addc_co_u32_e32 v6, vcc, v1, v6, vcc
	v_mov_b32_e32 v7, v90
	v_mov_b32_e32 v8, v3
	global_store_dwordx2 v[5:6], v[7:8], off
.LBB24_19:
	s_or_b64 exec, exec, s[4:5]
	s_andn2_b64 vcc, exec, s[2:3]
	v_mov_b32_e32 v1, 1.0
	s_cbranch_vccnz .LBB24_21
; %bb.20:
	v_div_scale_f32 v1, s[2:3], v2, v2, 1.0
	v_div_scale_f32 v3, vcc, 1.0, v2, 1.0
	v_rcp_f32_e32 v5, v1
	v_fma_f32 v6, -v1, v5, 1.0
	v_fmac_f32_e32 v5, v6, v5
	v_mul_f32_e32 v6, v3, v5
	v_fma_f32 v7, -v1, v6, v3
	v_fmac_f32_e32 v6, v7, v5
	v_fma_f32 v1, -v1, v6, v3
	v_div_fmas_f32 v1, v1, v5, v6
	v_div_fixup_f32 v1, v1, v2, 1.0
.LBB24_21:
	v_cvt_f32_f16_e32 v5, v13
	v_cvt_f32_f16_sdwa v6, v13 dst_sel:DWORD dst_unused:UNUSED_PAD src0_sel:WORD_1
	v_cvt_f32_f16_e32 v7, v11
	v_cvt_f32_f16_sdwa v8, v11 dst_sel:DWORD dst_unused:UNUSED_PAD src0_sel:WORD_1
	v_add_u32_e32 v0, s6, v0
	v_lshl_add_u32 v2, v0, 7, v26
	v_mov_b32_e32 v3, 0
	v_mul_f32_e32 v5, v1, v5
	v_mul_f32_e32 v6, v1, v6
	;; [unrolled: 1-line block ×4, first 2 shown]
	v_lshlrev_b64 v[1:2], 2, v[2:3]
	v_mov_b32_e32 v3, s21
	v_add_co_u32_e32 v1, vcc, s20, v1
	v_addc_co_u32_e32 v2, vcc, v3, v2, vcc
	global_store_dwordx4 v[1:2], v[5:8], off
	s_and_b64 exec, exec, s[0:1]
	s_cbranch_execz .LBB24_13
; %bb.22:
	v_ashrrev_i32_e32 v1, 31, v0
	v_lshlrev_b64 v[0:1], 3, v[0:1]
	v_mov_b32_e32 v2, s23
	v_add_co_u32_e32 v0, vcc, s22, v0
	v_addc_co_u32_e32 v1, vcc, v2, v1, vcc
	v_mov_b32_e32 v3, v91
	global_store_dwordx2 v[0:1], v[3:4], off
	s_endpgm
	.section	.rodata,"a",@progbits
	.p2align	6, 0x0
	.amdhsa_kernel _ZL15flash_attn_tileILi128ELi128ELi4ELi4ELb0EEvPKcS1_S1_S1_S1_PKiPfP15HIP_vector_typeIfLj2EEffffjfiS5_IjLj3EEiiiiiiiiiiiliiliiiiil
		.amdhsa_group_segment_fixed_size 23552
		.amdhsa_private_segment_fixed_size 24
		.amdhsa_kernarg_size 464
		.amdhsa_user_sgpr_count 6
		.amdhsa_user_sgpr_private_segment_buffer 1
		.amdhsa_user_sgpr_dispatch_ptr 0
		.amdhsa_user_sgpr_queue_ptr 0
		.amdhsa_user_sgpr_kernarg_segment_ptr 1
		.amdhsa_user_sgpr_dispatch_id 0
		.amdhsa_user_sgpr_flat_scratch_init 0
		.amdhsa_user_sgpr_private_segment_size 0
		.amdhsa_uses_dynamic_stack 0
		.amdhsa_system_sgpr_private_segment_wavefront_offset 1
		.amdhsa_system_sgpr_workgroup_id_x 1
		.amdhsa_system_sgpr_workgroup_id_y 1
		.amdhsa_system_sgpr_workgroup_id_z 1
		.amdhsa_system_sgpr_workgroup_info 0
		.amdhsa_system_vgpr_workitem_id 1
		.amdhsa_next_free_vgpr 128
		.amdhsa_next_free_sgpr 98
		.amdhsa_reserve_vcc 1
		.amdhsa_reserve_flat_scratch 0
		.amdhsa_float_round_mode_32 0
		.amdhsa_float_round_mode_16_64 0
		.amdhsa_float_denorm_mode_32 3
		.amdhsa_float_denorm_mode_16_64 3
		.amdhsa_dx10_clamp 1
		.amdhsa_ieee_mode 1
		.amdhsa_fp16_overflow 0
		.amdhsa_exception_fp_ieee_invalid_op 0
		.amdhsa_exception_fp_denorm_src 0
		.amdhsa_exception_fp_ieee_div_zero 0
		.amdhsa_exception_fp_ieee_overflow 0
		.amdhsa_exception_fp_ieee_underflow 0
		.amdhsa_exception_fp_ieee_inexact 0
		.amdhsa_exception_int_div_zero 0
	.end_amdhsa_kernel
	.section	.text._ZL15flash_attn_tileILi128ELi128ELi4ELi4ELb0EEvPKcS1_S1_S1_S1_PKiPfP15HIP_vector_typeIfLj2EEffffjfiS5_IjLj3EEiiiiiiiiiiiliiliiiiil,"axG",@progbits,_ZL15flash_attn_tileILi128ELi128ELi4ELi4ELb0EEvPKcS1_S1_S1_S1_PKiPfP15HIP_vector_typeIfLj2EEffffjfiS5_IjLj3EEiiiiiiiiiiiliiliiiiil,comdat
.Lfunc_end24:
	.size	_ZL15flash_attn_tileILi128ELi128ELi4ELi4ELb0EEvPKcS1_S1_S1_S1_PKiPfP15HIP_vector_typeIfLj2EEffffjfiS5_IjLj3EEiiiiiiiiiiiliiliiiiil, .Lfunc_end24-_ZL15flash_attn_tileILi128ELi128ELi4ELi4ELb0EEvPKcS1_S1_S1_S1_PKiPfP15HIP_vector_typeIfLj2EEffffjfiS5_IjLj3EEiiiiiiiiiiiliiliiiiil
                                        ; -- End function
	.set _ZL15flash_attn_tileILi128ELi128ELi4ELi4ELb0EEvPKcS1_S1_S1_S1_PKiPfP15HIP_vector_typeIfLj2EEffffjfiS5_IjLj3EEiiiiiiiiiiiliiliiiiil.num_vgpr, 128
	.set _ZL15flash_attn_tileILi128ELi128ELi4ELi4ELb0EEvPKcS1_S1_S1_S1_PKiPfP15HIP_vector_typeIfLj2EEffffjfiS5_IjLj3EEiiiiiiiiiiiliiliiiiil.num_agpr, 0
	.set _ZL15flash_attn_tileILi128ELi128ELi4ELi4ELb0EEvPKcS1_S1_S1_S1_PKiPfP15HIP_vector_typeIfLj2EEffffjfiS5_IjLj3EEiiiiiiiiiiiliiliiiiil.numbered_sgpr, 48
	.set _ZL15flash_attn_tileILi128ELi128ELi4ELi4ELb0EEvPKcS1_S1_S1_S1_PKiPfP15HIP_vector_typeIfLj2EEffffjfiS5_IjLj3EEiiiiiiiiiiiliiliiiiil.num_named_barrier, 0
	.set _ZL15flash_attn_tileILi128ELi128ELi4ELi4ELb0EEvPKcS1_S1_S1_S1_PKiPfP15HIP_vector_typeIfLj2EEffffjfiS5_IjLj3EEiiiiiiiiiiiliiliiiiil.private_seg_size, 24
	.set _ZL15flash_attn_tileILi128ELi128ELi4ELi4ELb0EEvPKcS1_S1_S1_S1_PKiPfP15HIP_vector_typeIfLj2EEffffjfiS5_IjLj3EEiiiiiiiiiiiliiliiiiil.uses_vcc, 1
	.set _ZL15flash_attn_tileILi128ELi128ELi4ELi4ELb0EEvPKcS1_S1_S1_S1_PKiPfP15HIP_vector_typeIfLj2EEffffjfiS5_IjLj3EEiiiiiiiiiiiliiliiiiil.uses_flat_scratch, 0
	.set _ZL15flash_attn_tileILi128ELi128ELi4ELi4ELb0EEvPKcS1_S1_S1_S1_PKiPfP15HIP_vector_typeIfLj2EEffffjfiS5_IjLj3EEiiiiiiiiiiiliiliiiiil.has_dyn_sized_stack, 0
	.set _ZL15flash_attn_tileILi128ELi128ELi4ELi4ELb0EEvPKcS1_S1_S1_S1_PKiPfP15HIP_vector_typeIfLj2EEffffjfiS5_IjLj3EEiiiiiiiiiiiliiliiiiil.has_recursion, 0
	.set _ZL15flash_attn_tileILi128ELi128ELi4ELi4ELb0EEvPKcS1_S1_S1_S1_PKiPfP15HIP_vector_typeIfLj2EEffffjfiS5_IjLj3EEiiiiiiiiiiiliiliiiiil.has_indirect_call, 0
	.section	.AMDGPU.csdata,"",@progbits
; Kernel info:
; codeLenInByte = 11012
; TotalNumSgprs: 52
; NumVgprs: 128
; ScratchSize: 24
; MemoryBound: 0
; FloatMode: 240
; IeeeMode: 1
; LDSByteSize: 23552 bytes/workgroup (compile time only)
; SGPRBlocks: 12
; VGPRBlocks: 31
; NumSGPRsForWavesPerEU: 102
; NumVGPRsForWavesPerEU: 128
; Occupancy: 2
; WaveLimiterHint : 1
; COMPUTE_PGM_RSRC2:SCRATCH_EN: 1
; COMPUTE_PGM_RSRC2:USER_SGPR: 6
; COMPUTE_PGM_RSRC2:TRAP_HANDLER: 0
; COMPUTE_PGM_RSRC2:TGID_X_EN: 1
; COMPUTE_PGM_RSRC2:TGID_Y_EN: 1
; COMPUTE_PGM_RSRC2:TGID_Z_EN: 1
; COMPUTE_PGM_RSRC2:TIDIG_COMP_CNT: 1
	.section	.text._ZL33flash_attn_stream_k_fixup_uniformILi128ELi4ELi4EEvPfPK15HIP_vector_typeIfLj2EEiiiiiiS1_IjLj3EES5_S5_,"axG",@progbits,_ZL33flash_attn_stream_k_fixup_uniformILi128ELi4ELi4EEvPfPK15HIP_vector_typeIfLj2EEiiiiiiS1_IjLj3EES5_S5_,comdat
	.globl	_ZL33flash_attn_stream_k_fixup_uniformILi128ELi4ELi4EEvPfPK15HIP_vector_typeIfLj2EEiiiiiiS1_IjLj3EES5_S5_ ; -- Begin function _ZL33flash_attn_stream_k_fixup_uniformILi128ELi4ELi4EEvPfPK15HIP_vector_typeIfLj2EEiiiiiiS1_IjLj3EES5_S5_
	.p2align	8
	.type	_ZL33flash_attn_stream_k_fixup_uniformILi128ELi4ELi4EEvPfPK15HIP_vector_typeIfLj2EEiiiiiiS1_IjLj3EES5_S5_,@function
_ZL33flash_attn_stream_k_fixup_uniformILi128ELi4ELi4EEvPfPK15HIP_vector_typeIfLj2EEiiiiiiS1_IjLj3EES5_S5_: ; @_ZL33flash_attn_stream_k_fixup_uniformILi128ELi4ELi4EEvPfPK15HIP_vector_typeIfLj2EEiiiiiiS1_IjLj3EES5_S5_
; %bb.0:
	s_load_dwordx8 s[12:19], s[4:5], 0x1c
	s_load_dwordx2 s[10:11], s[4:5], 0x10
	s_load_dwordx4 s[0:3], s[4:5], 0x3c
	s_waitcnt lgkmcnt(0)
	s_mul_hi_u32 s9, s15, s6
	s_add_i32 s9, s6, s9
	s_lshr_b32 s9, s9, s16
	s_mul_i32 s15, s9, s17
	s_sub_i32 s15, s6, s15
	s_mul_hi_u32 s16, s15, s18
	s_add_i32 s16, s15, s16
	s_lshr_b32 s16, s16, s19
	s_mul_i32 s0, s16, s0
	s_sub_i32 s0, s15, s0
	;; [unrolled: 5-line block ×3, first 2 shown]
	s_lshl_b32 s0, s17, 2
	s_lshl_b32 s15, s1, 2
	s_add_i32 s0, s0, s7
	s_cmp_lt_i32 s0, s10
	s_cselect_b64 s[0:1], -1, 0
	s_add_i32 s2, s15, s8
	s_cmp_lt_i32 s2, s13
	s_cselect_b64 s[2:3], -1, 0
	s_and_b64 s[0:1], s[0:1], s[2:3]
	s_andn2_b64 vcc, exec, s[0:1]
	s_cbranch_vccnz .LBB25_6
; %bb.1:
	s_load_dwordx4 s[0:3], s[4:5], 0x0
	s_mul_i32 s4, s9, s10
	s_add_i32 s4, s4, s7
	s_mul_i32 s4, s4, s11
	s_mul_i32 s16, s16, s13
	s_add_i32 s4, s4, s8
	s_add_i32 s4, s4, s16
	s_mul_i32 s5, s11, s17
	s_add_i32 s4, s4, s15
	s_lshl_b32 s5, s5, 9
	s_lshl_b32 s4, s4, 7
	s_add_i32 s5, s5, s4
	v_or_b32_e32 v1, s5, v0
	v_ashrrev_i32_e32 v2, 31, v1
	v_lshlrev_b64 v[1:2], 2, v[1:2]
	s_waitcnt lgkmcnt(0)
	v_mov_b32_e32 v3, s1
	v_add_co_u32_e32 v1, vcc, s0, v1
	v_addc_co_u32_e32 v2, vcc, v3, v2, vcc
	global_load_dword v8, v[1:2], off
	s_mul_i32 s9, s14, s6
	s_lshl_b32 s4, s7, 2
	s_add_i32 s11, s9, s14
	s_add_i32 s0, s4, s8
	s_lshl_b32 s1, s11, 4
	s_add_i32 s0, s0, s1
	s_add_i32 s0, s0, -16
	s_ashr_i32 s1, s0, 31
	s_lshl_b64 s[0:1], s[0:1], 3
	s_add_u32 s0, s2, s0
	s_addc_u32 s1, s3, s1
	s_load_dword s5, s[0:1], 0x4
	s_add_i32 s10, s11, -2
	s_cmp_lt_i32 s10, s9
	s_cbranch_scc1 .LBB25_4
; %bb.2:
	s_lshl_b32 s16, s12, 6
	s_ashr_i32 s17, s16, 31
	s_lshl_b64 s[16:17], s[16:17], 2
	s_add_u32 s10, s2, s16
	s_addc_u32 s13, s3, s17
	s_add_i32 s6, s6, 1
	s_load_dword s0, s[0:1], 0x0
	s_mul_i32 s1, s14, s6
	s_lshl_b32 s7, s7, 9
	s_lshl_b32 s14, s8, 7
	s_lshl_b32 s6, s1, 11
	s_add_i32 s7, s14, s7
	s_lshl_b32 s1, s1, 4
	s_add_i32 s7, s7, s6
	s_add_i32 s1, s8, s1
	s_lshl_b32 s6, s12, 4
	s_add_i32 s1, s1, s6
	v_or_b32_e32 v0, s7, v0
	s_add_i32 s1, s1, s4
	s_add_i32 s11, s11, -1
	v_add_u32_e32 v3, 0xfffff000, v0
	s_sub_i32 s4, s1, 32
	s_waitcnt lgkmcnt(0)
	v_mov_b32_e32 v7, s5
	v_mov_b32_e32 v6, s0
	v_mov_b32_e32 v0, s13
	s_mov_b32 s6, 0x3fb8aa3b
	s_mov_b32 s7, 0xc2ce8ed0
	;; [unrolled: 1-line block ×3, first 2 shown]
	v_mov_b32_e32 v5, 0x7f800000
	s_mov_b32 s12, 0xc1a00000
.LBB25_3:                               ; =>This Inner Loop Header: Depth=1
	v_ashrrev_i32_e32 v4, 31, v3
	v_lshlrev_b64 v[9:10], 2, v[3:4]
	s_ashr_i32 s5, s4, 31
	v_add_co_u32_e32 v9, vcc, s10, v9
	v_addc_co_u32_e32 v10, vcc, v0, v10, vcc
	global_load_dword v4, v[9:10], off
	s_lshl_b64 s[0:1], s[4:5], 3
	s_add_u32 s0, s2, s0
	s_addc_u32 s1, s3, s1
	s_load_dwordx2 s[14:15], s[0:1], 0x0
	s_waitcnt vmcnt(1)
	v_mov_b32_e32 v9, v8
	v_max_f32_e32 v8, v6, v6
	v_mov_b32_e32 v10, v7
	s_add_i32 s11, s11, -1
	s_waitcnt lgkmcnt(0)
	v_max_f32_e64 v7, s14, s14
	v_max_f32_e32 v7, v8, v7
	v_sub_f32_e32 v11, s14, v7
	v_sub_f32_e32 v8, v6, v7
	v_mul_f32_e32 v12, 0x3fb8aa3b, v11
	v_mov_b32_e32 v6, v7
	v_mul_f32_e32 v7, 0x3fb8aa3b, v8
	v_fma_f32 v15, v11, s6, -v12
	v_rndne_f32_e32 v16, v12
	v_fma_f32 v13, v8, s6, -v7
	v_rndne_f32_e32 v14, v7
	v_fmac_f32_e32 v15, 0x32a5705f, v11
	v_sub_f32_e32 v12, v12, v16
	v_fmac_f32_e32 v13, 0x32a5705f, v8
	v_sub_f32_e32 v7, v7, v14
	v_add_f32_e32 v12, v12, v15
	v_cvt_i32_f32_e32 v16, v16
	v_add_f32_e32 v7, v7, v13
	v_exp_f32_e32 v12, v12
	v_cvt_i32_f32_e32 v14, v14
	v_exp_f32_e32 v7, v7
	v_cmp_ngt_f32_e32 vcc, s7, v11
	v_ldexp_f32 v12, v12, v16
	v_cmp_ngt_f32_e64 s[0:1], s7, v8
	v_ldexp_f32 v7, v7, v14
	v_cndmask_b32_e32 v12, 0, v12, vcc
	v_cmp_nlt_f32_e32 vcc, s8, v11
	v_cndmask_b32_e64 v7, 0, v7, s[0:1]
	v_cmp_nlt_f32_e64 s[0:1], s8, v8
	v_cndmask_b32_e32 v12, v5, v12, vcc
	v_cmp_le_f32_e32 vcc, s12, v11
	v_cndmask_b32_e64 v7, v5, v7, s[0:1]
	v_cmp_le_f32_e64 s[0:1], s12, v8
	v_cndmask_b32_e32 v8, 0, v12, vcc
	s_add_i32 s4, s4, -16
	v_cndmask_b32_e64 v11, 0, v7, s[0:1]
	v_mul_f32_e32 v7, s15, v8
	v_add_u32_e32 v3, 0xfffff800, v3
	s_cmp_le_i32 s11, s9
	v_fmac_f32_e32 v7, v10, v11
	s_waitcnt vmcnt(0)
	v_mul_f32_e32 v8, v4, v8
	v_fmac_f32_e32 v8, v9, v11
	s_cbranch_scc0 .LBB25_3
	s_branch .LBB25_5
.LBB25_4:
	s_waitcnt lgkmcnt(0)
	v_mov_b32_e32 v7, s5
.LBB25_5:
	s_waitcnt vmcnt(0)
	v_div_scale_f32 v0, s[0:1], v7, v7, v8
	v_div_scale_f32 v3, vcc, v8, v7, v8
	v_rcp_f32_e32 v4, v0
	v_fma_f32 v5, -v0, v4, 1.0
	v_fmac_f32_e32 v4, v5, v4
	v_mul_f32_e32 v5, v3, v4
	v_fma_f32 v6, -v0, v5, v3
	v_fmac_f32_e32 v5, v6, v4
	v_fma_f32 v0, -v0, v5, v3
	v_div_fmas_f32 v0, v0, v4, v5
	v_div_fixup_f32 v0, v0, v7, v8
	global_store_dword v[1:2], v0, off
.LBB25_6:
	s_endpgm
	.section	.rodata,"a",@progbits
	.p2align	6, 0x0
	.amdhsa_kernel _ZL33flash_attn_stream_k_fixup_uniformILi128ELi4ELi4EEvPfPK15HIP_vector_typeIfLj2EEiiiiiiS1_IjLj3EES5_S5_
		.amdhsa_group_segment_fixed_size 0
		.amdhsa_private_segment_fixed_size 0
		.amdhsa_kernarg_size 76
		.amdhsa_user_sgpr_count 6
		.amdhsa_user_sgpr_private_segment_buffer 1
		.amdhsa_user_sgpr_dispatch_ptr 0
		.amdhsa_user_sgpr_queue_ptr 0
		.amdhsa_user_sgpr_kernarg_segment_ptr 1
		.amdhsa_user_sgpr_dispatch_id 0
		.amdhsa_user_sgpr_flat_scratch_init 0
		.amdhsa_user_sgpr_private_segment_size 0
		.amdhsa_uses_dynamic_stack 0
		.amdhsa_system_sgpr_private_segment_wavefront_offset 0
		.amdhsa_system_sgpr_workgroup_id_x 1
		.amdhsa_system_sgpr_workgroup_id_y 1
		.amdhsa_system_sgpr_workgroup_id_z 1
		.amdhsa_system_sgpr_workgroup_info 0
		.amdhsa_system_vgpr_workitem_id 0
		.amdhsa_next_free_vgpr 17
		.amdhsa_next_free_sgpr 20
		.amdhsa_reserve_vcc 1
		.amdhsa_reserve_flat_scratch 0
		.amdhsa_float_round_mode_32 0
		.amdhsa_float_round_mode_16_64 0
		.amdhsa_float_denorm_mode_32 3
		.amdhsa_float_denorm_mode_16_64 3
		.amdhsa_dx10_clamp 1
		.amdhsa_ieee_mode 1
		.amdhsa_fp16_overflow 0
		.amdhsa_exception_fp_ieee_invalid_op 0
		.amdhsa_exception_fp_denorm_src 0
		.amdhsa_exception_fp_ieee_div_zero 0
		.amdhsa_exception_fp_ieee_overflow 0
		.amdhsa_exception_fp_ieee_underflow 0
		.amdhsa_exception_fp_ieee_inexact 0
		.amdhsa_exception_int_div_zero 0
	.end_amdhsa_kernel
	.section	.text._ZL33flash_attn_stream_k_fixup_uniformILi128ELi4ELi4EEvPfPK15HIP_vector_typeIfLj2EEiiiiiiS1_IjLj3EES5_S5_,"axG",@progbits,_ZL33flash_attn_stream_k_fixup_uniformILi128ELi4ELi4EEvPfPK15HIP_vector_typeIfLj2EEiiiiiiS1_IjLj3EES5_S5_,comdat
.Lfunc_end25:
	.size	_ZL33flash_attn_stream_k_fixup_uniformILi128ELi4ELi4EEvPfPK15HIP_vector_typeIfLj2EEiiiiiiS1_IjLj3EES5_S5_, .Lfunc_end25-_ZL33flash_attn_stream_k_fixup_uniformILi128ELi4ELi4EEvPfPK15HIP_vector_typeIfLj2EEiiiiiiS1_IjLj3EES5_S5_
                                        ; -- End function
	.set _ZL33flash_attn_stream_k_fixup_uniformILi128ELi4ELi4EEvPfPK15HIP_vector_typeIfLj2EEiiiiiiS1_IjLj3EES5_S5_.num_vgpr, 17
	.set _ZL33flash_attn_stream_k_fixup_uniformILi128ELi4ELi4EEvPfPK15HIP_vector_typeIfLj2EEiiiiiiS1_IjLj3EES5_S5_.num_agpr, 0
	.set _ZL33flash_attn_stream_k_fixup_uniformILi128ELi4ELi4EEvPfPK15HIP_vector_typeIfLj2EEiiiiiiS1_IjLj3EES5_S5_.numbered_sgpr, 20
	.set _ZL33flash_attn_stream_k_fixup_uniformILi128ELi4ELi4EEvPfPK15HIP_vector_typeIfLj2EEiiiiiiS1_IjLj3EES5_S5_.num_named_barrier, 0
	.set _ZL33flash_attn_stream_k_fixup_uniformILi128ELi4ELi4EEvPfPK15HIP_vector_typeIfLj2EEiiiiiiS1_IjLj3EES5_S5_.private_seg_size, 0
	.set _ZL33flash_attn_stream_k_fixup_uniformILi128ELi4ELi4EEvPfPK15HIP_vector_typeIfLj2EEiiiiiiS1_IjLj3EES5_S5_.uses_vcc, 1
	.set _ZL33flash_attn_stream_k_fixup_uniformILi128ELi4ELi4EEvPfPK15HIP_vector_typeIfLj2EEiiiiiiS1_IjLj3EES5_S5_.uses_flat_scratch, 0
	.set _ZL33flash_attn_stream_k_fixup_uniformILi128ELi4ELi4EEvPfPK15HIP_vector_typeIfLj2EEiiiiiiS1_IjLj3EES5_S5_.has_dyn_sized_stack, 0
	.set _ZL33flash_attn_stream_k_fixup_uniformILi128ELi4ELi4EEvPfPK15HIP_vector_typeIfLj2EEiiiiiiS1_IjLj3EES5_S5_.has_recursion, 0
	.set _ZL33flash_attn_stream_k_fixup_uniformILi128ELi4ELi4EEvPfPK15HIP_vector_typeIfLj2EEiiiiiiS1_IjLj3EES5_S5_.has_indirect_call, 0
	.section	.AMDGPU.csdata,"",@progbits
; Kernel info:
; codeLenInByte = 856
; TotalNumSgprs: 24
; NumVgprs: 17
; ScratchSize: 0
; MemoryBound: 0
; FloatMode: 240
; IeeeMode: 1
; LDSByteSize: 0 bytes/workgroup (compile time only)
; SGPRBlocks: 2
; VGPRBlocks: 4
; NumSGPRsForWavesPerEU: 24
; NumVGPRsForWavesPerEU: 17
; Occupancy: 10
; WaveLimiterHint : 0
; COMPUTE_PGM_RSRC2:SCRATCH_EN: 0
; COMPUTE_PGM_RSRC2:USER_SGPR: 6
; COMPUTE_PGM_RSRC2:TRAP_HANDLER: 0
; COMPUTE_PGM_RSRC2:TGID_X_EN: 1
; COMPUTE_PGM_RSRC2:TGID_Y_EN: 1
; COMPUTE_PGM_RSRC2:TGID_Z_EN: 1
; COMPUTE_PGM_RSRC2:TIDIG_COMP_CNT: 0
	.section	.text._ZL33flash_attn_stream_k_fixup_generalILi128ELi4ELi4EEvPfPK15HIP_vector_typeIfLj2EEiiiiS1_IjLj3EES5_S5_S5_,"axG",@progbits,_ZL33flash_attn_stream_k_fixup_generalILi128ELi4ELi4EEvPfPK15HIP_vector_typeIfLj2EEiiiiS1_IjLj3EES5_S5_S5_,comdat
	.globl	_ZL33flash_attn_stream_k_fixup_generalILi128ELi4ELi4EEvPfPK15HIP_vector_typeIfLj2EEiiiiS1_IjLj3EES5_S5_S5_ ; -- Begin function _ZL33flash_attn_stream_k_fixup_generalILi128ELi4ELi4EEvPfPK15HIP_vector_typeIfLj2EEiiiiS1_IjLj3EES5_S5_S5_
	.p2align	8
	.type	_ZL33flash_attn_stream_k_fixup_generalILi128ELi4ELi4EEvPfPK15HIP_vector_typeIfLj2EEiiiiS1_IjLj3EES5_S5_S5_,@function
_ZL33flash_attn_stream_k_fixup_generalILi128ELi4ELi4EEvPfPK15HIP_vector_typeIfLj2EEiiiiS1_IjLj3EES5_S5_S5_: ; @_ZL33flash_attn_stream_k_fixup_generalILi128ELi4ELi4EEvPfPK15HIP_vector_typeIfLj2EEiiiiS1_IjLj3EES5_S5_S5_
; %bb.0:
	s_load_dwordx4 s[0:3], s[4:5], 0x10
	s_load_dword s22, s[4:5], 0x50
	s_mov_b32 s12, 0
	s_waitcnt lgkmcnt(0)
	s_mul_hi_i32 s13, s3, s6
	s_cmp_lg_u64 s[12:13], 0
	s_mul_i32 s9, s3, s6
	s_cbranch_scc0 .LBB26_20
; %bb.1:
	s_add_u32 s10, s22, 0
	s_addc_u32 s11, 0, 0
	s_xor_b64 s[10:11], s[10:11], 0
	v_cvt_f32_u32_e32 v1, s10
	v_cvt_f32_u32_e32 v2, s11
	s_sub_u32 s12, 0, s10
	s_subb_u32 s18, 0, s11
	v_madmk_f32 v1, v2, 0x4f800000, v1
	v_rcp_f32_e32 v1, v1
	v_mul_f32_e32 v1, 0x5f7ffffc, v1
	v_mul_f32_e32 v2, 0x2f800000, v1
	v_trunc_f32_e32 v2, v2
	v_madmk_f32 v1, v2, 0xcf800000, v1
	v_cvt_u32_f32_e32 v2, v2
	v_cvt_u32_f32_e32 v1, v1
	v_readfirstlane_b32 s19, v2
	v_readfirstlane_b32 s14, v1
	s_mul_i32 s15, s12, s19
	s_mul_hi_u32 s21, s12, s14
	s_mul_i32 s20, s18, s14
	s_add_i32 s15, s21, s15
	s_add_i32 s15, s15, s20
	s_mul_i32 s23, s12, s14
	s_mul_i32 s21, s14, s15
	s_mul_hi_u32 s24, s14, s23
	s_mul_hi_u32 s20, s14, s15
	s_add_u32 s21, s24, s21
	s_addc_u32 s20, 0, s20
	s_mul_hi_u32 s25, s19, s23
	s_mul_i32 s23, s19, s23
	s_add_u32 s21, s21, s23
	s_mul_hi_u32 s24, s19, s15
	s_addc_u32 s20, s20, s25
	s_addc_u32 s21, s24, 0
	s_mul_i32 s15, s19, s15
	s_add_u32 s15, s20, s15
	s_addc_u32 s20, 0, s21
	s_add_u32 s21, s14, s15
	s_cselect_b64 s[14:15], -1, 0
	s_cmp_lg_u64 s[14:15], 0
	s_addc_u32 s19, s19, s20
	s_mul_i32 s14, s12, s19
	s_mul_hi_u32 s15, s12, s21
	s_add_i32 s14, s15, s14
	s_mul_i32 s18, s18, s21
	s_add_i32 s14, s14, s18
	s_mul_i32 s12, s12, s21
	s_mul_hi_u32 s18, s19, s12
	s_mul_i32 s20, s19, s12
	s_mul_i32 s24, s21, s14
	s_mul_hi_u32 s12, s21, s12
	s_mul_hi_u32 s23, s21, s14
	s_add_u32 s12, s12, s24
	s_addc_u32 s23, 0, s23
	s_add_u32 s12, s12, s20
	s_mul_hi_u32 s15, s19, s14
	s_addc_u32 s12, s23, s18
	s_addc_u32 s15, s15, 0
	s_mul_i32 s14, s19, s14
	s_add_u32 s12, s12, s14
	s_addc_u32 s18, 0, s15
	s_add_u32 s20, s21, s12
	s_cselect_b64 s[14:15], -1, 0
	s_cmp_lg_u64 s[14:15], 0
	s_addc_u32 s18, s19, s18
	s_ashr_i32 s14, s13, 31
	s_add_u32 s12, s9, s14
	s_mov_b32 s15, s14
	s_addc_u32 s13, s13, s14
	s_xor_b64 s[12:13], s[12:13], s[14:15]
	s_mul_i32 s21, s12, s18
	s_mul_hi_u32 s23, s12, s20
	s_mul_hi_u32 s19, s12, s18
	s_add_u32 s21, s23, s21
	s_addc_u32 s19, 0, s19
	s_mul_hi_u32 s24, s13, s20
	s_mul_i32 s20, s13, s20
	s_add_u32 s20, s21, s20
	s_mul_hi_u32 s23, s13, s18
	s_addc_u32 s19, s19, s24
	s_addc_u32 s20, s23, 0
	s_mul_i32 s18, s13, s18
	s_add_u32 s23, s19, s18
	s_addc_u32 s24, 0, s20
	s_mul_i32 s18, s10, s24
	s_mul_hi_u32 s19, s10, s23
	s_add_i32 s18, s19, s18
	s_mul_i32 s19, s11, s23
	s_add_i32 s25, s18, s19
	s_sub_i32 s20, s13, s25
	s_mul_i32 s18, s10, s23
	s_sub_u32 s12, s12, s18
	s_cselect_b64 s[18:19], -1, 0
	s_cmp_lg_u64 s[18:19], 0
	s_subb_u32 s26, s20, s11
	s_sub_u32 s27, s12, s10
	s_cselect_b64 s[20:21], -1, 0
	s_cmp_lg_u64 s[20:21], 0
	s_subb_u32 s20, s26, 0
	s_cmp_ge_u32 s20, s11
	s_cselect_b32 s21, -1, 0
	s_cmp_ge_u32 s27, s10
	s_cselect_b32 s26, -1, 0
	s_cmp_eq_u32 s20, s11
	s_cselect_b32 s20, s26, s21
	s_add_u32 s21, s23, 1
	s_addc_u32 s26, s24, 0
	s_add_u32 s27, s23, 2
	s_addc_u32 s28, s24, 0
	s_cmp_lg_u32 s20, 0
	s_cselect_b32 s20, s27, s21
	s_cselect_b32 s21, s28, s26
	s_cmp_lg_u64 s[18:19], 0
	s_subb_u32 s13, s13, s25
	s_cmp_ge_u32 s13, s11
	s_cselect_b32 s18, -1, 0
	s_cmp_ge_u32 s12, s10
	s_cselect_b32 s10, -1, 0
	s_cmp_eq_u32 s13, s11
	s_cselect_b32 s10, s10, s18
	s_cmp_lg_u32 s10, 0
	s_cselect_b32 s11, s21, s24
	s_cselect_b32 s10, s20, s23
	s_xor_b64 s[12:13], s[14:15], 0
	s_xor_b64 s[10:11], s[10:11], s[12:13]
	s_sub_u32 s10, s10, s12
	s_load_dwordx4 s[12:15], s[4:5], 0x44
	s_cbranch_execnz .LBB26_3
.LBB26_2:
	v_cvt_f32_u32_e32 v1, s22
	s_sub_i32 s10, 0, s22
	v_rcp_iflag_f32_e32 v1, v1
	v_mul_f32_e32 v1, 0x4f7ffffe, v1
	v_cvt_u32_f32_e32 v1, v1
	v_readfirstlane_b32 s11, v1
	s_mul_i32 s10, s10, s11
	s_mul_hi_u32 s10, s11, s10
	s_add_i32 s11, s11, s10
	s_mul_hi_u32 s10, s9, s11
	s_waitcnt lgkmcnt(0)
	s_mul_i32 s15, s10, s22
	s_sub_i32 s9, s9, s15
	s_add_i32 s11, s10, 1
	s_sub_i32 s15, s9, s22
	s_cmp_ge_u32 s9, s22
	s_cselect_b32 s10, s11, s10
	s_cselect_b32 s9, s15, s9
	s_add_i32 s11, s10, 1
	s_cmp_ge_u32 s9, s22
	s_cselect_b32 s10, s11, s10
.LBB26_3:
	s_add_i32 s9, s6, 1
	s_mul_hi_i32 s21, s3, s9
	s_mov_b32 s20, 0
	s_cmp_lg_u64 s[20:21], 0
	s_mul_i32 s9, s3, s9
	s_cbranch_scc0 .LBB26_21
; %bb.4:
	s_add_u32 s16, s22, 0
	s_addc_u32 s17, 0, 0
	s_xor_b64 s[18:19], s[16:17], 0
	v_cvt_f32_u32_e32 v1, s18
	v_cvt_f32_u32_e32 v2, s19
	s_sub_u32 s11, 0, s18
	s_waitcnt lgkmcnt(0)
	s_subb_u32 s15, 0, s19
	v_madmk_f32 v1, v2, 0x4f800000, v1
	v_rcp_f32_e32 v1, v1
	v_mul_f32_e32 v1, 0x5f7ffffc, v1
	v_mul_f32_e32 v2, 0x2f800000, v1
	v_trunc_f32_e32 v2, v2
	v_madmk_f32 v1, v2, 0xcf800000, v1
	v_cvt_u32_f32_e32 v2, v2
	v_cvt_u32_f32_e32 v1, v1
	v_readfirstlane_b32 s20, v2
	v_readfirstlane_b32 s23, v1
	s_mul_i32 s24, s11, s20
	s_mul_hi_u32 s26, s11, s23
	s_mul_i32 s25, s15, s23
	s_add_i32 s24, s26, s24
	s_add_i32 s24, s24, s25
	s_mul_i32 s27, s11, s23
	s_mul_i32 s26, s23, s24
	s_mul_hi_u32 s28, s23, s27
	s_mul_hi_u32 s25, s23, s24
	s_add_u32 s26, s28, s26
	s_addc_u32 s25, 0, s25
	s_mul_hi_u32 s29, s20, s27
	s_mul_i32 s27, s20, s27
	s_add_u32 s26, s26, s27
	s_mul_hi_u32 s28, s20, s24
	s_addc_u32 s25, s25, s29
	s_addc_u32 s26, s28, 0
	s_mul_i32 s24, s20, s24
	s_add_u32 s24, s25, s24
	s_addc_u32 s26, 0, s26
	s_add_u32 s23, s23, s24
	s_cselect_b64 s[24:25], -1, 0
	s_cmp_lg_u64 s[24:25], 0
	s_addc_u32 s20, s20, s26
	s_mul_i32 s24, s11, s20
	s_mul_hi_u32 s25, s11, s23
	s_add_i32 s24, s25, s24
	s_mul_i32 s15, s15, s23
	s_add_i32 s24, s24, s15
	s_mul_i32 s11, s11, s23
	s_mul_hi_u32 s25, s20, s11
	s_mul_i32 s26, s20, s11
	s_mul_i32 s28, s23, s24
	s_mul_hi_u32 s11, s23, s11
	s_mul_hi_u32 s27, s23, s24
	s_add_u32 s11, s11, s28
	s_addc_u32 s27, 0, s27
	s_add_u32 s11, s11, s26
	s_mul_hi_u32 s15, s20, s24
	s_addc_u32 s11, s27, s25
	s_addc_u32 s15, s15, 0
	s_mul_i32 s24, s20, s24
	s_add_u32 s11, s11, s24
	s_addc_u32 s15, 0, s15
	s_add_u32 s11, s23, s11
	s_cselect_b64 s[24:25], -1, 0
	s_cmp_lg_u64 s[24:25], 0
	s_addc_u32 s15, s20, s15
	s_ashr_i32 s24, s21, 31
	s_add_u32 s20, s9, s24
	s_mov_b32 s25, s24
	s_addc_u32 s21, s21, s24
	s_xor_b64 s[20:21], s[20:21], s[24:25]
	s_mul_i32 s26, s20, s15
	s_mul_hi_u32 s27, s20, s11
	s_mul_hi_u32 s23, s20, s15
	s_add_u32 s26, s27, s26
	s_addc_u32 s23, 0, s23
	s_mul_hi_u32 s28, s21, s11
	s_mul_i32 s11, s21, s11
	s_add_u32 s11, s26, s11
	s_mul_hi_u32 s27, s21, s15
	s_addc_u32 s11, s23, s28
	s_addc_u32 s23, s27, 0
	s_mul_i32 s15, s21, s15
	s_add_u32 s11, s11, s15
	s_addc_u32 s15, 0, s23
	s_mul_i32 s23, s18, s15
	s_mul_hi_u32 s26, s18, s11
	s_add_i32 s23, s26, s23
	s_mul_i32 s26, s19, s11
	s_add_i32 s23, s23, s26
	s_sub_i32 s28, s21, s23
	s_mul_i32 s26, s18, s11
	s_sub_u32 s20, s20, s26
	s_cselect_b64 s[26:27], -1, 0
	s_cmp_lg_u64 s[26:27], 0
	s_subb_u32 s30, s28, s19
	s_sub_u32 s31, s20, s18
	s_cselect_b64 s[28:29], -1, 0
	s_cmp_lg_u64 s[28:29], 0
	s_subb_u32 s28, s30, 0
	s_cmp_ge_u32 s28, s19
	s_cselect_b32 s29, -1, 0
	s_cmp_ge_u32 s31, s18
	s_cselect_b32 s30, -1, 0
	s_cmp_eq_u32 s28, s19
	s_cselect_b32 s28, s30, s29
	s_add_u32 s29, s11, 1
	s_addc_u32 s30, s15, 0
	s_add_u32 s31, s11, 2
	s_addc_u32 s33, s15, 0
	s_cmp_lg_u32 s28, 0
	s_cselect_b32 s28, s31, s29
	s_cselect_b32 s29, s33, s30
	s_cmp_lg_u64 s[26:27], 0
	s_subb_u32 s21, s21, s23
	s_cmp_ge_u32 s21, s19
	s_cselect_b32 s23, -1, 0
	s_cmp_ge_u32 s20, s18
	s_cselect_b32 s18, -1, 0
	s_cmp_eq_u32 s21, s19
	s_cselect_b32 s18, s18, s23
	s_cmp_lg_u32 s18, 0
	s_cselect_b32 s19, s29, s15
	s_cselect_b32 s18, s28, s11
	s_xor_b64 s[20:21], s[24:25], 0
	s_xor_b64 s[18:19], s[18:19], s[20:21]
	s_sub_u32 s18, s18, s20
	s_cbranch_execnz .LBB26_6
.LBB26_5:
	v_cvt_f32_u32_e32 v1, s22
	s_sub_i32 s11, 0, s22
	v_rcp_iflag_f32_e32 v1, v1
	v_mul_f32_e32 v1, 0x4f7ffffe, v1
	v_cvt_u32_f32_e32 v1, v1
	s_waitcnt lgkmcnt(0)
	v_readfirstlane_b32 s15, v1
	s_mul_i32 s11, s11, s15
	s_mul_hi_u32 s11, s15, s11
	s_add_i32 s15, s15, s11
	s_mul_hi_u32 s11, s9, s15
	s_mul_i32 s16, s11, s22
	s_sub_i32 s9, s9, s16
	s_add_i32 s15, s11, 1
	s_sub_i32 s16, s9, s22
	s_cmp_ge_u32 s9, s22
	s_cselect_b32 s11, s15, s11
	s_cselect_b32 s9, s16, s9
	s_add_i32 s15, s11, 1
	s_cmp_ge_u32 s9, s22
	s_cselect_b32 s18, s15, s11
.LBB26_6:
	s_cmp_eq_u32 s10, s18
	s_waitcnt lgkmcnt(0)
	s_mul_hi_u32 s9, s10, s12
	s_cselect_b64 s[16:17], -1, 0
	s_add_i32 s9, s9, s10
	s_lshr_b32 s11, s9, s13
	s_mul_i32 s9, s11, s14
	s_cmp_eq_u32 s9, s10
	s_mul_hi_u32 s9, s18, s12
	s_cselect_b64 s[20:21], -1, 0
	s_add_i32 s9, s9, s18
	s_lshr_b32 s9, s9, s13
	s_cmp_eq_u32 s11, s9
	s_mul_i32 s9, s9, s14
	s_cselect_b64 s[24:25], -1, 0
	s_cmp_lg_u32 s9, s18
	s_cselect_b64 s[18:19], -1, 0
	s_and_b64 s[18:19], s[24:25], s[18:19]
	s_or_b64 s[16:17], s[16:17], s[20:21]
	s_or_b64 s[16:17], s[16:17], s[18:19]
	s_and_b64 vcc, exec, s[16:17]
	s_cbranch_vccnz .LBB26_23
; %bb.7:
	s_load_dwordx8 s[24:31], s[4:5], 0x20
	s_load_dword s15, s[4:5], 0x40
	s_waitcnt lgkmcnt(0)
	s_mul_hi_u32 s9, s10, s24
	s_add_i32 s9, s9, s10
	s_lshr_b32 s9, s9, s25
	s_mul_i32 s16, s9, s26
	s_sub_i32 s16, s10, s16
	s_mul_hi_u32 s17, s16, s27
	s_add_i32 s17, s16, s17
	s_lshr_b32 s23, s17, s28
	s_mul_i32 s17, s23, s29
	s_sub_i32 s16, s16, s17
	;; [unrolled: 5-line block ×3, first 2 shown]
	s_mul_hi_u32 s16, s15, s12
	s_add_i32 s15, s15, s16
	s_lshr_b32 s25, s15, s13
	s_lshl_b32 s15, s25, 2
	s_lshl_b32 s24, s17, 2
	s_add_i32 s15, s15, s7
	s_cmp_lt_i32 s15, s0
	s_cselect_b64 s[16:17], -1, 0
	s_add_i32 s15, s24, s8
	s_cmp_lt_i32 s15, s2
	s_cselect_b64 s[18:19], -1, 0
	s_and_b64 s[16:17], s[16:17], s[18:19]
	s_andn2_b64 vcc, exec, s[16:17]
	s_cbranch_vccnz .LBB26_23
; %bb.8:
	s_load_dwordx4 s[16:19], s[4:5], 0x0
	s_mov_b32 s4, 0
	s_lshl_b32 s15, s7, 2
	s_lshl_b32 s20, s22, 6
	s_mov_b32 s21, s4
	s_add_i32 s15, s15, s8
	s_lshl_b64 s[20:21], s[20:21], 2
	s_waitcnt lgkmcnt(0)
	s_add_u32 s20, s18, s20
	s_mul_i32 s0, s9, s0
	s_addc_u32 s21, s19, s21
	s_add_i32 s0, s0, s7
	s_mul_i32 s0, s0, s1
	s_mul_i32 s23, s23, s2
	s_add_i32 s0, s0, s8
	s_add_i32 s0, s0, s23
	s_mul_i32 s2, s1, s25
	s_add_i32 s0, s0, s24
	s_lshl_b32 s2, s2, 9
	s_lshl_b32 s0, s0, 7
	s_add_i32 s2, s2, s0
	v_or_b32_e32 v1, s2, v0
	v_ashrrev_i32_e32 v2, 31, v1
	v_lshlrev_b64 v[1:2], 2, v[1:2]
	v_mov_b32_e32 v3, s17
	v_add_co_u32_e32 v1, vcc, s16, v1
	v_addc_co_u32_e32 v2, vcc, v3, v2, vcc
	global_load_dword v3, v[1:2], off
	v_cvt_f32_u32_e32 v4, s22
	s_lshl_b32 s0, s6, 4
	s_add_i32 s0, s15, s0
	s_ashr_i32 s1, s0, 31
	s_lshl_b64 s[0:1], s[0:1], 3
	v_rcp_iflag_f32_e32 v4, v4
	s_add_u32 s0, s18, s0
	s_addc_u32 s1, s19, s1
	s_load_dwordx2 s[0:1], s[0:1], 0x0
	v_mul_f32_e32 v4, 0x4f7ffffe, v4
	v_cvt_u32_f32_e32 v4, v4
	s_add_i32 s24, s6, -1
	v_lshl_or_b32 v0, s15, 7, v0
	s_waitcnt lgkmcnt(0)
	v_mov_b32_e32 v6, s1
	v_mov_b32_e32 v7, s0
	s_mov_b32 s2, 0x3fb8aa3b
	s_mov_b32 s16, 0xc2ce8ed0
	;; [unrolled: 1-line block ×4, first 2 shown]
	v_mov_b32_e32 v5, 0x7f800000
	s_mul_hi_i32 s5, s24, s3
	s_cmp_lg_u64 s[4:5], 0
	s_mul_i32 s8, s24, s3
	s_cbranch_scc0 .LBB26_19
.LBB26_9:
	s_add_u32 s0, s22, 0
	s_addc_u32 s1, 0, 0
	s_xor_b64 s[0:1], s[0:1], 0
	v_cvt_f32_u32_e32 v8, s0
	v_cvt_f32_u32_e32 v9, s1
	s_sub_u32 s9, 0, s0
	s_subb_u32 s25, 0, s1
	v_mac_f32_e32 v8, 0x4f800000, v9
	v_rcp_f32_e32 v8, v8
	v_mul_f32_e32 v8, 0x5f7ffffc, v8
	v_mul_f32_e32 v9, 0x2f800000, v8
	v_trunc_f32_e32 v9, v9
	v_mac_f32_e32 v8, 0xcf800000, v9
	v_cvt_u32_f32_e32 v9, v9
	v_cvt_u32_f32_e32 v8, v8
	v_readfirstlane_b32 s26, v9
	v_readfirstlane_b32 s6, v8
	s_mul_i32 s7, s9, s26
	s_mul_hi_u32 s28, s9, s6
	s_mul_i32 s27, s25, s6
	s_add_i32 s7, s28, s7
	s_mul_i32 s29, s9, s6
	s_add_i32 s7, s7, s27
	s_mul_i32 s28, s6, s7
	s_mul_hi_u32 s30, s6, s29
	s_mul_hi_u32 s27, s6, s7
	s_add_u32 s28, s30, s28
	s_addc_u32 s27, 0, s27
	s_mul_hi_u32 s31, s26, s29
	s_mul_i32 s29, s26, s29
	s_add_u32 s28, s28, s29
	s_mul_hi_u32 s30, s26, s7
	s_addc_u32 s27, s27, s31
	s_addc_u32 s28, s30, 0
	s_mul_i32 s7, s26, s7
	s_add_u32 s7, s27, s7
	s_addc_u32 s27, 0, s28
	s_add_u32 s28, s6, s7
	s_cselect_b64 s[6:7], -1, 0
	s_cmp_lg_u64 s[6:7], 0
	s_addc_u32 s26, s26, s27
	s_mul_i32 s6, s9, s26
	s_mul_hi_u32 s7, s9, s28
	s_add_i32 s6, s7, s6
	s_mul_i32 s25, s25, s28
	s_add_i32 s6, s6, s25
	s_mul_i32 s9, s9, s28
	s_mul_hi_u32 s25, s26, s9
	s_mul_i32 s27, s26, s9
	s_mul_i32 s30, s28, s6
	s_mul_hi_u32 s9, s28, s9
	s_mul_hi_u32 s29, s28, s6
	s_add_u32 s9, s9, s30
	s_addc_u32 s29, 0, s29
	s_add_u32 s9, s9, s27
	s_mul_hi_u32 s7, s26, s6
	s_addc_u32 s9, s29, s25
	s_addc_u32 s7, s7, 0
	s_mul_i32 s6, s26, s6
	s_add_u32 s6, s9, s6
	s_addc_u32 s9, 0, s7
	s_add_u32 s25, s28, s6
	s_cselect_b64 s[6:7], -1, 0
	s_cmp_lg_u64 s[6:7], 0
	s_addc_u32 s9, s26, s9
	s_ashr_i32 s6, s5, 31
	s_add_u32 s26, s8, s6
	s_mov_b32 s7, s6
	s_addc_u32 s27, s5, s6
	s_xor_b64 s[26:27], s[26:27], s[6:7]
	s_mul_i32 s28, s26, s9
	s_mul_hi_u32 s29, s26, s25
	s_mul_hi_u32 s5, s26, s9
	s_add_u32 s28, s29, s28
	s_addc_u32 s5, 0, s5
	s_mul_hi_u32 s30, s27, s25
	s_mul_i32 s25, s27, s25
	s_add_u32 s25, s28, s25
	s_mul_hi_u32 s29, s27, s9
	s_addc_u32 s5, s5, s30
	s_addc_u32 s25, s29, 0
	s_mul_i32 s9, s27, s9
	s_add_u32 s5, s5, s9
	s_addc_u32 s9, 0, s25
	s_mul_i32 s25, s0, s9
	s_mul_hi_u32 s28, s0, s5
	s_add_i32 s25, s28, s25
	s_mul_i32 s28, s1, s5
	s_add_i32 s25, s25, s28
	s_sub_i32 s30, s27, s25
	s_mul_i32 s28, s0, s5
	s_sub_u32 s26, s26, s28
	s_cselect_b64 s[28:29], -1, 0
	s_cmp_lg_u64 s[28:29], 0
	s_subb_u32 s33, s30, s1
	s_sub_u32 s34, s26, s0
	s_cselect_b64 s[30:31], -1, 0
	s_cmp_lg_u64 s[30:31], 0
	s_subb_u32 s30, s33, 0
	s_cmp_ge_u32 s30, s1
	s_cselect_b32 s31, -1, 0
	s_cmp_ge_u32 s34, s0
	s_cselect_b32 s33, -1, 0
	s_cmp_eq_u32 s30, s1
	s_cselect_b32 s30, s33, s31
	s_add_u32 s31, s5, 1
	s_addc_u32 s33, s9, 0
	s_add_u32 s34, s5, 2
	s_addc_u32 s35, s9, 0
	s_cmp_lg_u32 s30, 0
	s_cselect_b32 s30, s34, s31
	s_cselect_b32 s31, s35, s33
	s_cmp_lg_u64 s[28:29], 0
	s_subb_u32 s25, s27, s25
	s_cmp_ge_u32 s25, s1
	s_cselect_b32 s27, -1, 0
	s_cmp_ge_u32 s26, s0
	s_cselect_b32 s0, -1, 0
	s_cmp_eq_u32 s25, s1
	s_cselect_b32 s0, s0, s27
	s_cmp_lg_u32 s0, 0
	s_cselect_b32 s1, s31, s9
	s_cselect_b32 s0, s30, s5
	s_xor_b64 s[6:7], s[6:7], 0
	s_xor_b64 s[0:1], s[0:1], s[6:7]
	s_sub_u32 s6, s0, s6
	s_cbranch_execnz .LBB26_11
.LBB26_10:
	s_sub_i32 s0, 0, s22
	v_readfirstlane_b32 s1, v4
	s_mul_i32 s0, s0, s1
	s_mul_hi_u32 s0, s1, s0
	s_add_i32 s1, s1, s0
	s_mul_hi_u32 s0, s8, s1
	s_mul_i32 s5, s0, s22
	s_sub_i32 s5, s8, s5
	s_add_i32 s1, s0, 1
	s_sub_i32 s6, s5, s22
	s_cmp_ge_u32 s5, s22
	s_cselect_b32 s0, s1, s0
	s_cselect_b32 s5, s6, s5
	s_add_i32 s1, s0, 1
	s_cmp_ge_u32 s5, s22
	s_cselect_b32 s6, s1, s0
.LBB26_11:
	s_cmp_lg_u32 s10, s6
	s_mov_b64 s[8:9], -1
                                        ; implicit-def: $sgpr0_sgpr1
                                        ; implicit-def: $vgpr10
                                        ; implicit-def: $vgpr8
                                        ; implicit-def: $vgpr9
                                        ; implicit-def: $sgpr5
                                        ; implicit-def: $sgpr7
	s_cbranch_scc1 .LBB26_14
; %bb.12:
	s_andn2_b64 vcc, exec, s[8:9]
	s_cbranch_vccz .LBB26_17
.LBB26_13:
	s_andn2_b64 vcc, exec, s[0:1]
	s_cbranch_vccnz .LBB26_18
	s_branch .LBB26_22
.LBB26_14:
	s_add_i32 s0, s24, s22
	s_lshl_b32 s0, s0, 4
	s_add_i32 s0, s0, s15
	s_mov_b32 s1, s4
	s_lshl_b64 s[0:1], s[0:1], 3
	s_add_u32 s8, s18, s0
	s_mul_hi_u32 s0, s6, s12
	s_addc_u32 s9, s19, s1
	s_add_i32 s0, s0, s6
	s_lshr_b32 s5, s0, s13
	s_mul_i32 s0, s5, s14
	s_cmp_eq_u32 s0, s6
	s_cselect_b64 s[0:1], -1, 0
	s_cmp_lt_u32 s5, s11
	s_cselect_b64 s[26:27], -1, 0
	s_or_b64 s[26:27], s[26:27], s[0:1]
	s_mov_b64 s[0:1], -1
	s_and_b64 vcc, exec, s[26:27]
	s_mov_b32 s5, s24
	s_mov_b32 s7, s10
	s_cbranch_vccnz .LBB26_16
; %bb.15:
	s_add_i32 s5, s24, -1
	s_mov_b64 s[0:1], 0
	s_mov_b32 s7, s6
.LBB26_16:
	v_lshl_add_u32 v8, s24, 11, v0
	v_ashrrev_i32_e32 v9, 31, v8
	v_lshlrev_b64 v[8:9], 2, v[8:9]
	v_mov_b32_e32 v10, s21
	v_add_co_u32_e32 v8, vcc, s20, v8
	v_addc_co_u32_e32 v9, vcc, v10, v9, vcc
	global_load_dword v10, v[8:9], off
	s_load_dwordx2 s[8:9], s[8:9], 0x0
	v_max_f32_e32 v8, v7, v7
	s_waitcnt lgkmcnt(0)
	v_max_f32_e64 v9, s8, s8
	v_max_f32_e32 v8, v8, v9
	v_sub_f32_e32 v9, v7, v8
	v_sub_f32_e32 v11, s8, v8
	v_mul_f32_e32 v12, 0x3fb8aa3b, v9
	v_mul_f32_e32 v13, 0x3fb8aa3b, v11
	v_fma_f32 v14, v9, s2, -v12
	v_rndne_f32_e32 v15, v12
	v_fma_f32 v16, v11, s2, -v13
	v_rndne_f32_e32 v17, v13
	v_fmac_f32_e32 v14, 0x32a5705f, v9
	v_sub_f32_e32 v12, v12, v15
	v_fmac_f32_e32 v16, 0x32a5705f, v11
	v_sub_f32_e32 v13, v13, v17
	v_add_f32_e32 v12, v12, v14
	v_cvt_i32_f32_e32 v15, v15
	v_add_f32_e32 v13, v13, v16
	v_exp_f32_e32 v12, v12
	v_cvt_i32_f32_e32 v17, v17
	v_exp_f32_e32 v13, v13
	v_cmp_ngt_f32_e32 vcc, s16, v9
	v_ldexp_f32 v12, v12, v15
	v_cndmask_b32_e32 v12, 0, v12, vcc
	v_ldexp_f32 v13, v13, v17
	v_cmp_ngt_f32_e32 vcc, s16, v11
	v_cndmask_b32_e32 v13, 0, v13, vcc
	v_cmp_nlt_f32_e32 vcc, s17, v9
	v_cndmask_b32_e32 v12, v5, v12, vcc
	v_cmp_nlt_f32_e32 vcc, s17, v11
	v_cndmask_b32_e32 v13, v5, v13, vcc
	v_cmp_le_f32_e32 vcc, s23, v9
	v_cndmask_b32_e32 v12, 0, v12, vcc
	v_cmp_le_f32_e32 vcc, s23, v11
	v_cndmask_b32_e32 v11, 0, v13, vcc
	v_mul_f32_e32 v9, s9, v11
	v_fmac_f32_e32 v9, v6, v12
	s_waitcnt vmcnt(0)
	v_mul_f32_e32 v10, v10, v11
	v_fmac_f32_e32 v10, v3, v12
	s_cbranch_execnz .LBB26_13
.LBB26_17:
	s_add_i32 s5, s24, -1
	s_mov_b32 s7, s10
	v_mov_b32_e32 v9, v6
	v_mov_b32_e32 v8, v7
	s_waitcnt vmcnt(0)
	v_mov_b32_e32 v10, v3
	s_cbranch_execz .LBB26_22
.LBB26_18:
	s_mov_b32 s10, s7
	s_mov_b32 s24, s5
	v_mov_b32_e32 v6, v9
	v_mov_b32_e32 v7, v8
	s_waitcnt vmcnt(0)
	v_mov_b32_e32 v3, v10
	s_mul_hi_i32 s5, s24, s3
	s_cmp_lg_u64 s[4:5], 0
	s_mul_i32 s8, s24, s3
	s_cbranch_scc1 .LBB26_9
.LBB26_19:
                                        ; implicit-def: $sgpr6_sgpr7
	s_branch .LBB26_10
.LBB26_20:
                                        ; implicit-def: $sgpr10_sgpr11
	s_load_dwordx4 s[12:15], s[4:5], 0x44
	s_branch .LBB26_2
.LBB26_21:
                                        ; implicit-def: $sgpr18_sgpr19
	s_branch .LBB26_5
.LBB26_22:
	v_div_scale_f32 v0, s[0:1], v9, v9, v10
	s_waitcnt vmcnt(0)
	v_div_scale_f32 v3, vcc, v10, v9, v10
	v_rcp_f32_e32 v4, v0
	v_fma_f32 v5, -v0, v4, 1.0
	v_fmac_f32_e32 v4, v5, v4
	v_mul_f32_e32 v5, v3, v4
	v_fma_f32 v6, -v0, v5, v3
	v_fmac_f32_e32 v5, v6, v4
	v_fma_f32 v0, -v0, v5, v3
	v_div_fmas_f32 v0, v0, v4, v5
	v_div_fixup_f32 v0, v0, v9, v10
	global_store_dword v[1:2], v0, off
.LBB26_23:
	s_endpgm
	.section	.rodata,"a",@progbits
	.p2align	6, 0x0
	.amdhsa_kernel _ZL33flash_attn_stream_k_fixup_generalILi128ELi4ELi4EEvPfPK15HIP_vector_typeIfLj2EEiiiiS1_IjLj3EES5_S5_S5_
		.amdhsa_group_segment_fixed_size 0
		.amdhsa_private_segment_fixed_size 0
		.amdhsa_kernarg_size 336
		.amdhsa_user_sgpr_count 6
		.amdhsa_user_sgpr_private_segment_buffer 1
		.amdhsa_user_sgpr_dispatch_ptr 0
		.amdhsa_user_sgpr_queue_ptr 0
		.amdhsa_user_sgpr_kernarg_segment_ptr 1
		.amdhsa_user_sgpr_dispatch_id 0
		.amdhsa_user_sgpr_flat_scratch_init 0
		.amdhsa_user_sgpr_private_segment_size 0
		.amdhsa_uses_dynamic_stack 0
		.amdhsa_system_sgpr_private_segment_wavefront_offset 0
		.amdhsa_system_sgpr_workgroup_id_x 1
		.amdhsa_system_sgpr_workgroup_id_y 1
		.amdhsa_system_sgpr_workgroup_id_z 1
		.amdhsa_system_sgpr_workgroup_info 0
		.amdhsa_system_vgpr_workitem_id 0
		.amdhsa_next_free_vgpr 18
		.amdhsa_next_free_sgpr 36
		.amdhsa_reserve_vcc 1
		.amdhsa_reserve_flat_scratch 0
		.amdhsa_float_round_mode_32 0
		.amdhsa_float_round_mode_16_64 0
		.amdhsa_float_denorm_mode_32 3
		.amdhsa_float_denorm_mode_16_64 3
		.amdhsa_dx10_clamp 1
		.amdhsa_ieee_mode 1
		.amdhsa_fp16_overflow 0
		.amdhsa_exception_fp_ieee_invalid_op 0
		.amdhsa_exception_fp_denorm_src 0
		.amdhsa_exception_fp_ieee_div_zero 0
		.amdhsa_exception_fp_ieee_overflow 0
		.amdhsa_exception_fp_ieee_underflow 0
		.amdhsa_exception_fp_ieee_inexact 0
		.amdhsa_exception_int_div_zero 0
	.end_amdhsa_kernel
	.section	.text._ZL33flash_attn_stream_k_fixup_generalILi128ELi4ELi4EEvPfPK15HIP_vector_typeIfLj2EEiiiiS1_IjLj3EES5_S5_S5_,"axG",@progbits,_ZL33flash_attn_stream_k_fixup_generalILi128ELi4ELi4EEvPfPK15HIP_vector_typeIfLj2EEiiiiS1_IjLj3EES5_S5_S5_,comdat
.Lfunc_end26:
	.size	_ZL33flash_attn_stream_k_fixup_generalILi128ELi4ELi4EEvPfPK15HIP_vector_typeIfLj2EEiiiiS1_IjLj3EES5_S5_S5_, .Lfunc_end26-_ZL33flash_attn_stream_k_fixup_generalILi128ELi4ELi4EEvPfPK15HIP_vector_typeIfLj2EEiiiiS1_IjLj3EES5_S5_S5_
                                        ; -- End function
	.set _ZL33flash_attn_stream_k_fixup_generalILi128ELi4ELi4EEvPfPK15HIP_vector_typeIfLj2EEiiiiS1_IjLj3EES5_S5_S5_.num_vgpr, 18
	.set _ZL33flash_attn_stream_k_fixup_generalILi128ELi4ELi4EEvPfPK15HIP_vector_typeIfLj2EEiiiiS1_IjLj3EES5_S5_S5_.num_agpr, 0
	.set _ZL33flash_attn_stream_k_fixup_generalILi128ELi4ELi4EEvPfPK15HIP_vector_typeIfLj2EEiiiiS1_IjLj3EES5_S5_S5_.numbered_sgpr, 36
	.set _ZL33flash_attn_stream_k_fixup_generalILi128ELi4ELi4EEvPfPK15HIP_vector_typeIfLj2EEiiiiS1_IjLj3EES5_S5_S5_.num_named_barrier, 0
	.set _ZL33flash_attn_stream_k_fixup_generalILi128ELi4ELi4EEvPfPK15HIP_vector_typeIfLj2EEiiiiS1_IjLj3EES5_S5_S5_.private_seg_size, 0
	.set _ZL33flash_attn_stream_k_fixup_generalILi128ELi4ELi4EEvPfPK15HIP_vector_typeIfLj2EEiiiiS1_IjLj3EES5_S5_S5_.uses_vcc, 1
	.set _ZL33flash_attn_stream_k_fixup_generalILi128ELi4ELi4EEvPfPK15HIP_vector_typeIfLj2EEiiiiS1_IjLj3EES5_S5_S5_.uses_flat_scratch, 0
	.set _ZL33flash_attn_stream_k_fixup_generalILi128ELi4ELi4EEvPfPK15HIP_vector_typeIfLj2EEiiiiS1_IjLj3EES5_S5_S5_.has_dyn_sized_stack, 0
	.set _ZL33flash_attn_stream_k_fixup_generalILi128ELi4ELi4EEvPfPK15HIP_vector_typeIfLj2EEiiiiS1_IjLj3EES5_S5_S5_.has_recursion, 0
	.set _ZL33flash_attn_stream_k_fixup_generalILi128ELi4ELi4EEvPfPK15HIP_vector_typeIfLj2EEiiiiS1_IjLj3EES5_S5_S5_.has_indirect_call, 0
	.section	.AMDGPU.csdata,"",@progbits
; Kernel info:
; codeLenInByte = 2940
; TotalNumSgprs: 40
; NumVgprs: 18
; ScratchSize: 0
; MemoryBound: 0
; FloatMode: 240
; IeeeMode: 1
; LDSByteSize: 0 bytes/workgroup (compile time only)
; SGPRBlocks: 4
; VGPRBlocks: 4
; NumSGPRsForWavesPerEU: 40
; NumVGPRsForWavesPerEU: 18
; Occupancy: 10
; WaveLimiterHint : 0
; COMPUTE_PGM_RSRC2:SCRATCH_EN: 0
; COMPUTE_PGM_RSRC2:USER_SGPR: 6
; COMPUTE_PGM_RSRC2:TRAP_HANDLER: 0
; COMPUTE_PGM_RSRC2:TGID_X_EN: 1
; COMPUTE_PGM_RSRC2:TGID_Y_EN: 1
; COMPUTE_PGM_RSRC2:TGID_Z_EN: 1
; COMPUTE_PGM_RSRC2:TIDIG_COMP_CNT: 0
	.section	.text._ZL15flash_attn_tileILi128ELi128ELi2ELi4ELb0EEvPKcS1_S1_S1_S1_PKiPfP15HIP_vector_typeIfLj2EEffffjfiS5_IjLj3EEiiiiiiiiiiiliiliiiiil,"axG",@progbits,_ZL15flash_attn_tileILi128ELi128ELi2ELi4ELb0EEvPKcS1_S1_S1_S1_PKiPfP15HIP_vector_typeIfLj2EEffffjfiS5_IjLj3EEiiiiiiiiiiiliiliiiiil,comdat
	.globl	_ZL15flash_attn_tileILi128ELi128ELi2ELi4ELb0EEvPKcS1_S1_S1_S1_PKiPfP15HIP_vector_typeIfLj2EEffffjfiS5_IjLj3EEiiiiiiiiiiiliiliiiiil ; -- Begin function _ZL15flash_attn_tileILi128ELi128ELi2ELi4ELb0EEvPKcS1_S1_S1_S1_PKiPfP15HIP_vector_typeIfLj2EEffffjfiS5_IjLj3EEiiiiiiiiiiiliiliiiiil
	.p2align	8
	.type	_ZL15flash_attn_tileILi128ELi128ELi2ELi4ELb0EEvPKcS1_S1_S1_S1_PKiPfP15HIP_vector_typeIfLj2EEffffjfiS5_IjLj3EEiiiiiiiiiiiliiliiiiil,@function
_ZL15flash_attn_tileILi128ELi128ELi2ELi4ELb0EEvPKcS1_S1_S1_S1_PKiPfP15HIP_vector_typeIfLj2EEffffjfiS5_IjLj3EEiiiiiiiiiiiliiliiiiil: ; @_ZL15flash_attn_tileILi128ELi128ELi2ELi4ELb0EEvPKcS1_S1_S1_S1_PKiPfP15HIP_vector_typeIfLj2EEffffjfiS5_IjLj3EEiiiiiiiiiiiliiliiiiil
; %bb.0:
	s_load_dwordx4 s[0:3], s[4:5], 0x5c
	s_load_dwordx2 s[28:29], s[4:5], 0x80
	s_load_dwordx2 s[34:35], s[4:5], 0xb8
	s_mov_b64 s[30:31], 0
	s_waitcnt lgkmcnt(0)
	s_ashr_i32 s9, s3, 31
	s_lshr_b32 s9, s9, 30
	s_add_i32 s9, s3, s9
	s_ashr_i32 s9, s9, 2
	v_cvt_f32_u32_e32 v2, s9
	s_sub_i32 s10, 0, s9
	v_rcp_iflag_f32_e32 v2, v2
	v_mul_f32_e32 v2, 0x4f7ffffe, v2
	v_cvt_u32_f32_e32 v2, v2
	v_readfirstlane_b32 s11, v2
	s_mul_i32 s10, s10, s11
	s_mul_hi_u32 s10, s11, s10
	s_add_i32 s11, s11, s10
	s_mul_hi_u32 s10, s8, s11
	s_mul_i32 s11, s10, s9
	s_sub_i32 s11, s8, s11
	s_add_i32 s12, s10, 1
	s_sub_i32 s13, s11, s9
	s_cmp_ge_u32 s11, s9
	s_cselect_b32 s10, s12, s10
	s_cselect_b32 s11, s13, s11
	s_add_i32 s12, s10, 1
	s_cmp_ge_u32 s11, s9
	s_cselect_b32 s33, s12, s10
	s_abs_i32 s9, s29
	v_cvt_f32_u32_e32 v2, s9
	s_lshl_b32 s8, s8, 2
	s_mul_i32 s12, s33, s3
	s_xor_b32 s10, s3, s29
	v_rcp_iflag_f32_e32 v2, v2
	s_sub_i32 s13, 0, s9
	s_sub_i32 s29, s8, s12
	s_abs_i32 s11, s3
	v_mul_f32_e32 v2, 0x4f7ffffe, v2
	v_cvt_u32_f32_e32 v2, v2
	s_ashr_i32 s10, s10, 31
	v_readfirstlane_b32 s8, v2
	s_mul_i32 s13, s13, s8
	s_mul_hi_u32 s12, s8, s13
	s_add_i32 s8, s8, s12
	s_mul_hi_u32 s8, s11, s8
	s_mul_i32 s12, s8, s9
	s_sub_i32 s11, s11, s12
	s_add_i32 s13, s8, 1
	s_sub_i32 s12, s11, s9
	s_cmp_ge_u32 s11, s9
	s_cselect_b32 s8, s13, s8
	s_cselect_b32 s11, s12, s11
	s_add_i32 s12, s8, 1
	s_cmp_ge_u32 s11, s9
	s_cselect_b32 s8, s12, s8
	s_xor_b32 s8, s8, s10
	s_sub_i32 s37, s8, s10
	s_abs_i32 s36, s37
	v_cvt_f32_u32_e32 v2, s36
	s_load_dwordx16 s[8:23], s[4:5], 0x0
	v_rcp_iflag_f32_e32 v2, v2
	s_waitcnt lgkmcnt(0)
	s_cmp_eq_u64 s[14:15], 0
	v_mul_f32_e32 v2, 0x4f7ffffe, v2
	v_cvt_u32_f32_e32 v2, v2
	v_readfirstlane_b32 s38, v2
	s_cbranch_scc1 .LBB27_2
; %bb.1:
	s_abs_i32 s26, s34
	v_cvt_f32_u32_e32 v2, s26
	s_sub_i32 s31, 0, s26
	s_abs_i32 s30, s33
	s_ashr_i32 s27, s33, 31
	v_rcp_iflag_f32_e32 v2, v2
	s_load_dwordx2 s[24:25], s[4:5], 0xc8
	v_mul_f32_e32 v2, 0x4f7ffffe, v2
	v_cvt_u32_f32_e32 v2, v2
	v_readfirstlane_b32 s34, v2
	s_mul_i32 s31, s31, s34
	s_mul_hi_u32 s31, s34, s31
	s_add_i32 s34, s34, s31
	s_mul_hi_u32 s31, s30, s34
	s_mul_i32 s31, s31, s26
	s_sub_i32 s30, s30, s31
	s_sub_i32 s31, s30, s26
	s_cmp_ge_u32 s30, s26
	s_cselect_b32 s30, s31, s30
	s_sub_i32 s31, s30, s26
	s_cmp_ge_u32 s30, s26
	s_cselect_b32 s26, s31, s30
	s_xor_b32 s26, s26, s27
	s_sub_i32 s26, s26, s27
	s_ashr_i32 s27, s26, 31
	s_waitcnt lgkmcnt(0)
	s_mul_hi_u32 s30, s24, s26
	s_mul_i32 s27, s24, s27
	s_mul_i32 s25, s25, s26
	s_add_i32 s27, s30, s27
	s_add_i32 s27, s27, s25
	s_mul_i32 s24, s24, s26
	s_add_u32 s30, s14, s24
	s_addc_u32 s31, s15, s27
.LBB27_2:
	v_lshrrev_b32_e32 v2, 2, v1
	s_load_dwordx4 s[24:27], s[4:5], 0x70
	v_lshl_add_u32 v25, s6, 1, v2
	v_mul_hi_u32 v2, s0, v25
	v_and_b32_e32 v24, 3, v1
	v_lshlrev_b32_e32 v23, 3, v0
	s_waitcnt lgkmcnt(0)
	s_mul_i32 s14, s33, s26
	v_add_u32_e32 v2, v25, v2
	s_ashr_i32 s26, s14, 31
	v_lshrrev_b32_e32 v2, s1, v2
	s_mul_i32 s15, s29, s25
	s_add_u32 s8, s8, s14
	v_mul_lo_u32 v2, v2, s2
	s_addc_u32 s9, s9, s26
	s_ashr_i32 s14, s15, 31
	s_add_u32 s26, s8, s15
	s_addc_u32 s27, s9, s14
	s_ashr_i32 s9, s25, 31
	s_mov_b32 s8, s25
	s_ashr_i32 s25, s24, 31
	s_lshr_b64 s[14:15], s[8:9], 2
	v_sub_u32_e32 v2, v25, v2
	s_lshr_b64 s[0:1], s[24:25], 2
	v_mad_u64_u32 v[3:4], s[14:15], s14, v24, 0
	v_mad_u64_u32 v[5:6], s[0:1], s0, v2, 0
	s_lshr_b32 s0, s9, 2
	v_mad_u64_u32 v[7:8], s[0:1], s0, v24, v[4:5]
	v_mov_b32_e32 v4, v6
	s_lshr_b32 s0, s25, 2
	v_mad_u64_u32 v[8:9], s[0:1], s0, v2, v[4:5]
	v_mov_b32_e32 v4, v7
	v_lshlrev_b64 v[3:4], 2, v[3:4]
	v_mov_b32_e32 v6, v8
	v_mov_b32_e32 v7, s27
	v_add_co_u32_e32 v8, vcc, s26, v3
	v_addc_co_u32_e32 v7, vcc, v7, v4, vcc
	v_lshlrev_b64 v[3:4], 2, v[5:6]
	v_lshlrev_b32_e32 v5, 4, v0
	v_add_co_u32_e32 v3, vcc, v8, v3
	v_addc_co_u32_e32 v4, vcc, v7, v4, vcc
	v_add_co_u32_e32 v3, vcc, v3, v5
	v_addc_co_u32_e32 v4, vcc, 0, v4, vcc
	global_load_dwordx4 v[3:6], v[3:4], off
	s_load_dword s0, s[4:5], 0x40
	v_mov_b32_e32 v7, 0x4400
	v_lshl_add_u32 v27, v1, 8, v7
	v_add_u32_e32 v7, v27, v23
	s_cmp_eq_u64 s[18:19], 0
	s_waitcnt vmcnt(0) lgkmcnt(0)
	v_fma_mixlo_f16 v3, s0, v3, 0
	v_fma_mixlo_f16 v4, s0, v4, 0
	;; [unrolled: 1-line block ×4, first 2 shown]
	v_lshlrev_b32_e32 v4, 16, v4
	v_and_b32_e32 v3, 0xffff, v3
	v_lshlrev_b32_e32 v6, 16, v6
	v_and_b32_e32 v5, 0xffff, v5
	v_or_b32_e32 v3, v4, v3
	v_or3_b32 v4, v6, v5, 0
	v_or3_b32 v3, 0, 0, v3
	ds_write_b64 v7, v[3:4]
	s_waitcnt lgkmcnt(0)
	s_barrier
	s_cbranch_scc1 .LBB27_4
; %bb.3:
	s_load_dword s0, s[4:5], 0xd0
	s_mov_b32 s1, 0
	s_waitcnt lgkmcnt(0)
	s_mul_i32 s0, s0, s33
	s_add_i32 s0, s0, s6
	s_lshl_b64 s[0:1], s[0:1], 2
	s_add_u32 s0, s18, s0
	s_addc_u32 s1, s19, s1
	s_load_dword s28, s[0:1], 0x0
.LBB27_4:
	s_lshl_b32 s6, s7, 6
	s_waitcnt lgkmcnt(0)
	s_cmp_lt_i32 s6, s28
	v_mbcnt_lo_u32_b32 v3, -1, 0
	s_cbranch_scc1 .LBB27_7
; %bb.5:
	v_mbcnt_hi_u32_b32 v28, -1, v3
	v_and_b32_e32 v4, 0x60, v28
	v_add_u32_e32 v29, 32, v4
	v_xor_b32_e32 v34, 16, v28
	v_xor_b32_e32 v33, 8, v28
	;; [unrolled: 1-line block ×5, first 2 shown]
	v_lshlrev_b32_e32 v26, 2, v0
	s_cbranch_execz .LBB27_8
; %bb.6:
	v_mov_b32_e32 v58, 0
	v_mov_b32_e32 v41, 0
	;; [unrolled: 1-line block ×4, first 2 shown]
	s_branch .LBB27_10
.LBB27_7:
                                        ; implicit-def: $vgpr28
                                        ; implicit-def: $vgpr29
                                        ; implicit-def: $vgpr34
                                        ; implicit-def: $vgpr33
                                        ; implicit-def: $vgpr32
                                        ; implicit-def: $vgpr31
                                        ; implicit-def: $vgpr30
	v_lshlrev_b32_e32 v26, 2, v0
.LBB27_8:
	s_sub_i32 s0, 0, s36
	s_mul_i32 s0, s0, s38
	s_mul_hi_u32 s0, s38, s0
	s_add_i32 s38, s38, s0
	s_load_dwordx2 s[0:1], s[4:5], 0x8c
	s_load_dwordx4 s[24:27], s[4:5], 0x98
	s_abs_i32 s18, s29
	s_mul_hi_u32 s19, s18, s38
	s_ashr_i32 s34, s29, 31
	s_waitcnt lgkmcnt(0)
	s_ashr_i32 s9, s0, 2
	s_ashr_i32 s0, s33, 31
	;; [unrolled: 1-line block ×4, first 2 shown]
	s_mul_hi_u32 s35, s24, s33
	s_mul_i32 s38, s24, s0
	s_add_i32 s35, s35, s38
	s_mul_i32 s25, s25, s33
	s_ashr_i32 s37, s37, 31
	s_add_i32 s35, s35, s25
	s_mul_i32 s24, s24, s33
	s_add_u32 s10, s10, s24
	s_mul_i32 s25, s19, s36
	s_addc_u32 s11, s11, s35
	s_sub_i32 s18, s18, s25
	s_xor_b32 s24, s34, s37
	s_add_i32 s25, s19, 1
	s_sub_i32 s34, s18, s36
	s_cmp_ge_u32 s18, s36
	s_cselect_b32 s19, s25, s19
	s_cselect_b32 s18, s34, s18
	s_add_i32 s25, s19, 1
	s_cmp_ge_u32 s18, s36
	s_load_dwordx2 s[14:15], s[4:5], 0xa8
	s_cselect_b32 s18, s25, s19
	s_xor_b32 s18, s18, s24
	s_sub_i32 s18, s18, s24
	s_mul_i32 s1, s18, s1
	s_ashr_i32 s19, s1, 31
	s_add_u32 s10, s10, s1
	s_waitcnt lgkmcnt(0)
	s_mul_hi_u32 s1, s14, s33
	s_mul_i32 s0, s14, s0
	s_addc_u32 s11, s11, s19
	s_add_i32 s0, s1, s0
	s_mul_i32 s1, s15, s33
	s_add_i32 s0, s0, s1
	s_mul_i32 s1, s14, s33
	v_lshrrev_b32_e32 v4, 4, v0
	s_add_u32 s1, s12, s1
	s_mul_i32 s18, s18, s27
	v_lshl_add_u32 v4, v1, 1, v4
	s_addc_u32 s0, s13, s0
	s_ashr_i32 s13, s18, 31
	v_mul_lo_u32 v7, s9, v4
	s_add_u32 s12, s1, s18
	v_and_b32_e32 v17, 60, v26
	s_addc_u32 s13, s0, s13
	v_lshlrev_b32_e32 v16, 2, v17
	s_movk_i32 s0, 0x110
	v_mad_u32_u24 v35, v4, s0, v16
	s_lshl_b32 s0, s9, 4
	v_add_u32_e32 v9, s0, v7
	v_mul_lo_u32 v15, s8, v4
	v_add_u32_e32 v11, s0, v9
	v_add_u32_e32 v13, s0, v11
	v_mad_u64_u32 v[5:6], s[0:1], v2, s26, v[0:1]
	v_mov_b32_e32 v2, 0x4c00
	s_lshl_b32 s0, s8, 4
	v_lshl_add_u32 v40, v1, 7, v2
	v_add_u32_e32 v1, s0, v15
	v_add_u32_e32 v18, s0, v1
	;; [unrolled: 1-line block ×3, first 2 shown]
	v_ashrrev_i32_e32 v8, 31, v7
	v_ashrrev_i32_e32 v10, 31, v9
	;; [unrolled: 1-line block ×4, first 2 shown]
	v_lshl_or_b32 v43, v4, 8, v16
	v_ashrrev_i32_e32 v16, 31, v15
	v_ashrrev_i32_e32 v2, 31, v1
	;; [unrolled: 1-line block ×4, first 2 shown]
	v_mbcnt_hi_u32_b32 v28, -1, v3
	s_add_u32 s0, s4, 0xd0
	v_lshlrev_b64 v[6:7], 2, v[7:8]
	v_lshlrev_b32_e32 v47, 2, v17
	v_lshlrev_b64 v[8:9], 2, v[9:10]
	v_lshlrev_b64 v[10:11], 2, v[11:12]
	;; [unrolled: 1-line block ×3, first 2 shown]
	v_and_b32_e32 v3, 0x60, v28
	v_lshlrev_b64 v[14:15], 2, v[15:16]
	v_lshlrev_b64 v[16:17], 2, v[1:2]
	;; [unrolled: 1-line block ×4, first 2 shown]
	v_mov_b32_e32 v57, 0
	v_add_u32_e32 v36, 0x1100, v35
	v_add_u32_e32 v37, 0x2200, v35
	;; [unrolled: 1-line block ×3, first 2 shown]
	v_mul_u32_u24_e32 v39, 0x110, v0
	v_lshl_add_u32 v42, v0, 1, v40
	v_add_u32_e32 v44, 0x1000, v43
	v_add_u32_e32 v45, 0x2000, v43
	;; [unrolled: 1-line block ×3, first 2 shown]
	s_addc_u32 s1, s5, 0
	v_mov_b32_e32 v22, 0xfeffffff
	v_add_u32_e32 v29, 32, v3
	v_xor_b32_e32 v34, 16, v28
	v_xor_b32_e32 v33, 8, v28
	;; [unrolled: 1-line block ×5, first 2 shown]
	v_mov_b32_e32 v48, s31
	s_mov_b32 s14, 0x3fb8aa3b
	s_mov_b32 s15, 0xc2ce8ed0
	;; [unrolled: 1-line block ×3, first 2 shown]
	v_mov_b32_e32 v49, 0x7f800000
	s_mov_b32 s19, 0x10001
	v_add_u32_e32 v50, 0x800, v23
	v_add_u32_e32 v51, 0x1000, v23
	;; [unrolled: 1-line block ×7, first 2 shown]
	v_mov_b32_e32 v58, 0
	v_mov_b32_e32 v41, 0
.LBB27_9:                               ; =>This Inner Loop Header: Depth=1
	s_mul_hi_i32 s25, s6, s9
	s_mul_i32 s24, s6, s9
	s_lshl_b64 s[24:25], s[24:25], 2
	s_add_u32 s24, s10, s24
	s_addc_u32 s25, s11, s25
	v_add_co_u32_e32 v2, vcc, s24, v6
	v_mov_b32_e32 v3, s25
	v_addc_co_u32_e32 v3, vcc, v3, v7, vcc
	v_add_co_u32_e32 v2, vcc, v2, v47
	v_addc_co_u32_e32 v3, vcc, 0, v3, vcc
	global_load_dwordx4 v[59:62], v[2:3], off
	v_add_co_u32_e32 v2, vcc, s24, v8
	v_mov_b32_e32 v3, s25
	v_addc_co_u32_e32 v3, vcc, v3, v9, vcc
	v_add_co_u32_e32 v2, vcc, v2, v47
	v_addc_co_u32_e32 v3, vcc, 0, v3, vcc
	v_mov_b32_e32 v1, v22
	s_waitcnt vmcnt(0)
	ds_write_b128 v35, v[59:62]
	global_load_dwordx4 v[59:62], v[2:3], off
	v_add_co_u32_e32 v2, vcc, s24, v10
	v_mov_b32_e32 v3, s25
	v_addc_co_u32_e32 v3, vcc, v3, v11, vcc
	v_add_co_u32_e32 v2, vcc, v2, v47
	v_addc_co_u32_e32 v3, vcc, 0, v3, vcc
	s_waitcnt vmcnt(0)
	ds_write_b128 v36, v[59:62]
	global_load_dwordx4 v[59:62], v[2:3], off
	v_add_co_u32_e32 v2, vcc, s24, v12
	v_mov_b32_e32 v3, s25
	v_addc_co_u32_e32 v3, vcc, v3, v13, vcc
	v_add_co_u32_e32 v2, vcc, v2, v47
	v_addc_co_u32_e32 v3, vcc, 0, v3, vcc
	v_cmp_lt_i32_e32 vcc, v34, v29
	v_cndmask_b32_e32 v4, v28, v34, vcc
	v_cmp_lt_i32_e32 vcc, v33, v29
	v_cndmask_b32_e32 v22, v28, v33, vcc
	v_cmp_lt_i32_e32 vcc, v32, v29
	v_lshlrev_b32_e32 v4, 2, v4
	v_lshlrev_b32_e32 v22, 2, v22
	s_mul_hi_i32 s25, s6, s8
	s_mul_i32 s24, s6, s8
	s_lshl_b64 s[24:25], s[24:25], 2
	s_add_u32 s24, s12, s24
	s_addc_u32 s25, s13, s25
	s_waitcnt vmcnt(0)
	ds_write_b128 v37, v[59:62]
	global_load_dwordx4 v[59:62], v[2:3], off
	v_mov_b32_e32 v2, 0
	v_mov_b32_e32 v3, 0
	s_waitcnt vmcnt(0)
	ds_write_b128 v38, v[59:62]
	s_waitcnt lgkmcnt(0)
	s_barrier
	ds_read_b128 v[59:62], v39
	ds_read_b128 v[63:66], v39 offset:8704
	ds_read_b128 v[67:70], v27
	s_waitcnt lgkmcnt(0)
	;;#ASMSTART
	v_dot2_f32_f16 v2, v59, v67, v2
	;;#ASMEND
	;;#ASMSTART
	v_dot2_f32_f16 v2, v60, v68, v2
	;;#ASMEND
	;;#ASMSTART
	v_dot2_f32_f16 v2, v61, v69, v2
	;;#ASMEND
	;;#ASMSTART
	v_dot2_f32_f16 v2, v62, v70, v2
	;;#ASMEND
	;;#ASMSTART
	v_dot2_f32_f16 v3, v63, v67, v3
	;;#ASMEND
	;;#ASMSTART
	v_dot2_f32_f16 v3, v64, v68, v3
	;;#ASMEND
	;;#ASMSTART
	v_dot2_f32_f16 v3, v65, v69, v3
	;;#ASMEND
	;;#ASMSTART
	v_dot2_f32_f16 v3, v66, v70, v3
	;;#ASMEND
	ds_read_b128 v[59:62], v39 offset:16
	ds_read_b128 v[63:66], v39 offset:8720
	ds_read_b128 v[67:70], v27 offset:16
	s_waitcnt lgkmcnt(0)
	;;#ASMSTART
	v_dot2_f32_f16 v2, v59, v67, v2
	;;#ASMEND
	;;#ASMSTART
	v_dot2_f32_f16 v2, v60, v68, v2
	;;#ASMEND
	;;#ASMSTART
	v_dot2_f32_f16 v2, v61, v69, v2
	;;#ASMEND
	;;#ASMSTART
	v_dot2_f32_f16 v2, v62, v70, v2
	;;#ASMEND
	;;#ASMSTART
	v_dot2_f32_f16 v3, v63, v67, v3
	;;#ASMEND
	;;#ASMSTART
	v_dot2_f32_f16 v3, v64, v68, v3
	;;#ASMEND
	;;#ASMSTART
	v_dot2_f32_f16 v3, v65, v69, v3
	;;#ASMEND
	;;#ASMSTART
	v_dot2_f32_f16 v3, v66, v70, v3
	;;#ASMEND
	ds_read_b128 v[59:62], v39 offset:32
	ds_read_b128 v[63:66], v39 offset:8736
	ds_read_b128 v[67:70], v27 offset:32
	;; [unrolled: 28-line block ×15, first 2 shown]
	s_waitcnt lgkmcnt(0)
	;;#ASMSTART
	v_dot2_f32_f16 v2, v59, v67, v2
	;;#ASMEND
	v_add_u32_e32 v59, s6, v5
	;;#ASMSTART
	v_dot2_f32_f16 v2, v60, v68, v2
	;;#ASMEND
	v_ashrrev_i32_e32 v60, 31, v59
	;;#ASMSTART
	v_dot2_f32_f16 v2, v61, v69, v2
	;;#ASMEND
	v_cndmask_b32_e32 v61, v28, v32, vcc
	v_cmp_lt_i32_e32 vcc, v31, v29
	v_lshlrev_b64 v[59:60], 1, v[59:60]
	;;#ASMSTART
	v_dot2_f32_f16 v2, v62, v70, v2
	;;#ASMEND
	;;#ASMSTART
	v_dot2_f32_f16 v3, v63, v67, v3
	;;#ASMEND
	v_cndmask_b32_e32 v62, v28, v31, vcc
	v_cmp_lt_i32_e32 vcc, v30, v29
	;;#ASMSTART
	v_dot2_f32_f16 v3, v64, v68, v3
	;;#ASMEND
	v_cndmask_b32_e32 v63, v28, v30, vcc
	v_add_co_u32_e32 v59, vcc, s30, v59
	;;#ASMSTART
	v_dot2_f32_f16 v3, v65, v69, v3
	;;#ASMEND
	v_addc_co_u32_e32 v60, vcc, v48, v60, vcc
	;;#ASMSTART
	v_dot2_f32_f16 v3, v66, v70, v3
	;;#ASMEND
	global_load_ushort v64, v[59:60], off
	s_waitcnt vmcnt(0)
	v_cvt_f32_f16_e32 v64, v64
	global_load_ushort v59, v[59:60], off offset:64
	v_lshlrev_b32_e32 v60, 2, v61
	v_lshlrev_b32_e32 v61, 2, v62
	v_add_f32_e32 v2, v2, v64
	v_add_f32_e32 v64, 0x40051340, v2
	v_lshlrev_b32_e32 v62, 2, v63
	s_waitcnt vmcnt(0)
	s_barrier
	v_cvt_f32_f16_e32 v59, v59
	v_add_f32_e32 v3, v3, v59
	v_add_f32_e32 v59, 0x40051340, v3
	v_max3_f32 v59, v1, v64, v59
	ds_bpermute_b32 v4, v4, v59
	s_waitcnt lgkmcnt(0)
	v_max_f32_e32 v4, v4, v4
	v_max_f32_e32 v4, v59, v4
	ds_bpermute_b32 v22, v22, v4
	s_waitcnt lgkmcnt(0)
	v_max_f32_e32 v22, v22, v22
	v_max_f32_e32 v4, v4, v22
	;; [unrolled: 4-line block ×5, first 2 shown]
	v_sub_f32_e32 v2, v2, v22
	v_mul_f32_e32 v4, 0x3fb8aa3b, v2
	v_fma_f32 v59, v2, s14, -v4
	v_rndne_f32_e32 v60, v4
	v_fmac_f32_e32 v59, 0x32a5705f, v2
	v_sub_f32_e32 v4, v4, v60
	v_add_f32_e32 v4, v4, v59
	v_exp_f32_e32 v4, v4
	v_cvt_i32_f32_e32 v59, v60
	v_sub_f32_e32 v3, v3, v22
	v_cmp_ngt_f32_e32 vcc, s15, v2
	v_sub_f32_e32 v1, v1, v22
	v_ldexp_f32 v4, v4, v59
	v_mul_f32_e32 v59, 0x3fb8aa3b, v3
	v_fma_f32 v60, v3, s14, -v59
	v_rndne_f32_e32 v61, v59
	v_fmac_f32_e32 v60, 0x32a5705f, v3
	v_sub_f32_e32 v59, v59, v61
	v_add_f32_e32 v59, v59, v60
	v_exp_f32_e32 v59, v59
	v_cvt_i32_f32_e32 v60, v61
	v_cndmask_b32_e32 v4, 0, v4, vcc
	v_cmp_nlt_f32_e32 vcc, s18, v2
	v_cndmask_b32_e32 v2, v49, v4, vcc
	v_ldexp_f32 v59, v59, v60
	v_cmp_ngt_f32_e32 vcc, s15, v3
	v_cndmask_b32_e32 v59, 0, v59, vcc
	v_cmp_nlt_f32_e32 vcc, s18, v3
	v_cndmask_b32_e32 v3, v49, v59, vcc
	v_mul_f32_e32 v59, 0x3fb8aa3b, v1
	v_fma_f32 v60, v1, s14, -v59
	v_rndne_f32_e32 v61, v59
	v_fmac_f32_e32 v60, 0x32a5705f, v1
	v_sub_f32_e32 v59, v59, v61
	v_add_f32_e32 v59, v59, v60
	v_exp_f32_e32 v59, v59
	v_cvt_i32_f32_e32 v60, v61
	v_cmp_ngt_f32_e32 vcc, s15, v1
	v_cvt_f16_f32_e32 v4, v2
	v_add_f32_e32 v2, v2, v3
	v_ldexp_f32 v59, v59, v60
	v_cndmask_b32_e32 v59, 0, v59, vcc
	v_cmp_nlt_f32_e32 vcc, s18, v1
	v_cndmask_b32_e32 v1, v49, v59, vcc
	v_mov_b32_e32 v59, v41
	v_mov_b32_e32 v41, v2
	v_fmac_f32_e32 v41, v59, v1
	v_cvt_f16_f32_e32 v1, v1
	v_mov_b32_e32 v2, s25
	v_cvt_f16_f32_e32 v3, v3
	ds_write_b16 v42, v4
	ds_write_b16 v42, v3 offset:64
	v_mul_u32_u24_e32 v59, 0x10001, v1
	v_add_co_u32_e32 v1, vcc, s24, v14
	v_addc_co_u32_e32 v2, vcc, v2, v15, vcc
	v_add_co_u32_e32 v1, vcc, v1, v47
	v_addc_co_u32_e32 v2, vcc, 0, v2, vcc
	v_add_co_u32_e32 v3, vcc, s24, v16
	v_mov_b32_e32 v4, s25
	v_addc_co_u32_e32 v4, vcc, v4, v17, vcc
	v_add_co_u32_e32 v60, vcc, v3, v47
	v_addc_co_u32_e32 v61, vcc, 0, v4, vcc
	v_add_co_u32_e32 v3, vcc, s24, v18
	v_mov_b32_e32 v4, s25
	;; [unrolled: 5-line block ×3, first 2 shown]
	v_addc_co_u32_e32 v4, vcc, v4, v21, vcc
	v_add_co_u32_e32 v64, vcc, v3, v47
	v_addc_co_u32_e32 v65, vcc, 0, v4, vcc
	global_load_dwordx4 v[1:4], v[1:2], off
	s_waitcnt vmcnt(0)
	ds_write_b128 v43, v[1:4]
	global_load_dwordx4 v[1:4], v[60:61], off
	s_waitcnt vmcnt(0)
	ds_write_b128 v44, v[1:4]
	;; [unrolled: 3-line block ×4, first 2 shown]
	s_waitcnt lgkmcnt(0)
	s_barrier
	ds_read2_b64 v[60:63], v23 offset1:32
	ds_read_b128 v[64:67], v40
	ds_read_b128 v[68:71], v40 offset:16
	ds_read_b128 v[72:75], v40 offset:32
	;; [unrolled: 1-line block ×3, first 2 shown]
	s_waitcnt lgkmcnt(3)
	v_mul_u32_u24_sdwa v76, v64, s19 dst_sel:DWORD dst_unused:UNUSED_PAD src0_sel:WORD_0 src1_sel:DWORD
	v_pk_mul_f16 v60, v60, v76
	v_pk_fma_f16 v57, v57, v59, v60
	v_pk_mul_f16 v60, v61, v76
	v_pk_fma_f16 v58, v58, v59, v60
	v_mul_u32_u24_sdwa v59, v64, s19 dst_sel:DWORD dst_unused:UNUSED_PAD src0_sel:WORD_1 src1_sel:DWORD
	v_pk_fma_f16 v61, v62, v59, v57
	v_pk_fma_f16 v62, v63, v59, v58
	ds_read2_b64 v[57:60], v23 offset0:64 offset1:96
	v_mul_u32_u24_sdwa v63, v65, s19 dst_sel:DWORD dst_unused:UNUSED_PAD src0_sel:WORD_0 src1_sel:DWORD
	s_waitcnt lgkmcnt(0)
	v_pk_fma_f16 v57, v57, v63, v61
	v_pk_fma_f16 v58, v58, v63, v62
	v_mul_u32_u24_sdwa v61, v65, s19 dst_sel:DWORD dst_unused:UNUSED_PAD src0_sel:WORD_1 src1_sel:DWORD
	v_pk_fma_f16 v62, v59, v61, v57
	v_pk_fma_f16 v61, v60, v61, v58
	ds_read2_b64 v[57:60], v23 offset0:128 offset1:160
	v_mul_u32_u24_sdwa v63, v66, s19 dst_sel:DWORD dst_unused:UNUSED_PAD src0_sel:WORD_0 src1_sel:DWORD
	s_waitcnt lgkmcnt(0)
	v_pk_fma_f16 v57, v57, v63, v62
	;; [unrolled: 8-line block ×3, first 2 shown]
	v_pk_fma_f16 v58, v58, v63, v61
	v_mul_u32_u24_sdwa v61, v67, s19 dst_sel:DWORD dst_unused:UNUSED_PAD src0_sel:WORD_1 src1_sel:DWORD
	v_pk_fma_f16 v62, v59, v61, v57
	v_pk_fma_f16 v61, v60, v61, v58
	ds_read2_b64 v[57:60], v50 offset1:32
	v_mul_u32_u24_sdwa v63, v68, s19 dst_sel:DWORD dst_unused:UNUSED_PAD src0_sel:WORD_0 src1_sel:DWORD
	s_waitcnt lgkmcnt(0)
	v_pk_fma_f16 v57, v57, v63, v62
	v_pk_fma_f16 v58, v58, v63, v61
	v_mul_u32_u24_sdwa v61, v68, s19 dst_sel:DWORD dst_unused:UNUSED_PAD src0_sel:WORD_1 src1_sel:DWORD
	v_pk_fma_f16 v62, v59, v61, v57
	v_pk_fma_f16 v61, v60, v61, v58
	ds_read2_b64 v[57:60], v50 offset0:64 offset1:96
	v_mul_u32_u24_sdwa v63, v69, s19 dst_sel:DWORD dst_unused:UNUSED_PAD src0_sel:WORD_0 src1_sel:DWORD
	s_waitcnt lgkmcnt(0)
	v_pk_fma_f16 v57, v57, v63, v62
	v_pk_fma_f16 v58, v58, v63, v61
	v_mul_u32_u24_sdwa v61, v69, s19 dst_sel:DWORD dst_unused:UNUSED_PAD src0_sel:WORD_1 src1_sel:DWORD
	v_pk_fma_f16 v62, v59, v61, v57
	v_pk_fma_f16 v61, v60, v61, v58
	ds_read2_b64 v[57:60], v50 offset0:128 offset1:160
	;; [unrolled: 8-line block ×3, first 2 shown]
	v_mul_u32_u24_sdwa v63, v71, s19 dst_sel:DWORD dst_unused:UNUSED_PAD src0_sel:WORD_0 src1_sel:DWORD
	s_waitcnt lgkmcnt(0)
	v_pk_fma_f16 v57, v57, v63, v62
	v_pk_fma_f16 v58, v58, v63, v61
	v_mul_u32_u24_sdwa v61, v71, s19 dst_sel:DWORD dst_unused:UNUSED_PAD src0_sel:WORD_1 src1_sel:DWORD
	v_pk_fma_f16 v62, v59, v61, v57
	v_pk_fma_f16 v61, v60, v61, v58
	ds_read2_b64 v[57:60], v51 offset1:32
	v_mul_u32_u24_sdwa v63, v72, s19 dst_sel:DWORD dst_unused:UNUSED_PAD src0_sel:WORD_0 src1_sel:DWORD
	s_waitcnt lgkmcnt(0)
	v_pk_fma_f16 v57, v57, v63, v62
	v_pk_fma_f16 v58, v58, v63, v61
	v_mul_u32_u24_sdwa v61, v72, s19 dst_sel:DWORD dst_unused:UNUSED_PAD src0_sel:WORD_1 src1_sel:DWORD
	v_pk_fma_f16 v62, v59, v61, v57
	v_pk_fma_f16 v61, v60, v61, v58
	ds_read2_b64 v[57:60], v51 offset0:64 offset1:96
	v_mul_u32_u24_sdwa v63, v73, s19 dst_sel:DWORD dst_unused:UNUSED_PAD src0_sel:WORD_0 src1_sel:DWORD
	s_waitcnt lgkmcnt(0)
	v_pk_fma_f16 v57, v57, v63, v62
	v_pk_fma_f16 v58, v58, v63, v61
	v_mul_u32_u24_sdwa v61, v73, s19 dst_sel:DWORD dst_unused:UNUSED_PAD src0_sel:WORD_1 src1_sel:DWORD
	v_pk_fma_f16 v62, v59, v61, v57
	v_pk_fma_f16 v61, v60, v61, v58
	ds_read2_b64 v[57:60], v51 offset0:128 offset1:160
	;; [unrolled: 8-line block ×3, first 2 shown]
	v_mul_u32_u24_sdwa v63, v75, s19 dst_sel:DWORD dst_unused:UNUSED_PAD src0_sel:WORD_0 src1_sel:DWORD
	s_waitcnt lgkmcnt(0)
	v_pk_fma_f16 v57, v57, v63, v62
	v_pk_fma_f16 v58, v58, v63, v61
	v_mul_u32_u24_sdwa v61, v75, s19 dst_sel:DWORD dst_unused:UNUSED_PAD src0_sel:WORD_1 src1_sel:DWORD
	v_pk_fma_f16 v62, v59, v61, v57
	v_pk_fma_f16 v61, v60, v61, v58
	ds_read2_b64 v[57:60], v52 offset1:32
	v_mul_u32_u24_sdwa v63, v1, s19 dst_sel:DWORD dst_unused:UNUSED_PAD src0_sel:WORD_0 src1_sel:DWORD
	v_mul_u32_u24_sdwa v1, v1, s19 dst_sel:DWORD dst_unused:UNUSED_PAD src0_sel:WORD_1 src1_sel:DWORD
	s_waitcnt lgkmcnt(0)
	v_pk_fma_f16 v57, v57, v63, v62
	v_pk_fma_f16 v58, v58, v63, v61
	v_pk_fma_f16 v61, v59, v1, v57
	v_pk_fma_f16 v1, v60, v1, v58
	ds_read2_b64 v[57:60], v52 offset0:64 offset1:96
	v_mul_u32_u24_sdwa v62, v2, s19 dst_sel:DWORD dst_unused:UNUSED_PAD src0_sel:WORD_0 src1_sel:DWORD
	v_mul_u32_u24_sdwa v2, v2, s19 dst_sel:DWORD dst_unused:UNUSED_PAD src0_sel:WORD_1 src1_sel:DWORD
	s_waitcnt lgkmcnt(0)
	v_pk_fma_f16 v57, v57, v62, v61
	v_pk_fma_f16 v1, v58, v62, v1
	;; [unrolled: 1-line block ×4, first 2 shown]
	ds_read2_b64 v[57:60], v52 offset0:128 offset1:160
	v_mul_u32_u24_sdwa v2, v3, s19 dst_sel:DWORD dst_unused:UNUSED_PAD src0_sel:WORD_0 src1_sel:DWORD
	s_waitcnt lgkmcnt(0)
	v_pk_fma_f16 v57, v57, v2, v61
	v_pk_fma_f16 v1, v58, v2, v1
	v_mul_u32_u24_sdwa v2, v3, s19 dst_sel:DWORD dst_unused:UNUSED_PAD src0_sel:WORD_1 src1_sel:DWORD
	v_pk_fma_f16 v3, v59, v2, v57
	v_pk_fma_f16 v1, v60, v2, v1
	ds_read2_b64 v[57:60], v52 offset0:192 offset1:224
	v_mul_u32_u24_sdwa v2, v4, s19 dst_sel:DWORD dst_unused:UNUSED_PAD src0_sel:WORD_0 src1_sel:DWORD
	s_waitcnt lgkmcnt(0)
	v_pk_fma_f16 v3, v57, v2, v3
	v_pk_fma_f16 v1, v58, v2, v1
	v_mul_u32_u24_sdwa v2, v4, s19 dst_sel:DWORD dst_unused:UNUSED_PAD src0_sel:WORD_1 src1_sel:DWORD
	v_pk_fma_f16 v61, v59, v2, v3
	v_pk_fma_f16 v62, v60, v2, v1
	ds_read2_b64 v[1:4], v53 offset1:32
	ds_read_b128 v[57:60], v40 offset:64
	s_waitcnt lgkmcnt(0)
	v_mul_u32_u24_sdwa v63, v57, s19 dst_sel:DWORD dst_unused:UNUSED_PAD src0_sel:WORD_0 src1_sel:DWORD
	v_pk_fma_f16 v1, v1, v63, v61
	v_pk_fma_f16 v2, v2, v63, v62
	v_mul_u32_u24_sdwa v57, v57, s19 dst_sel:DWORD dst_unused:UNUSED_PAD src0_sel:WORD_1 src1_sel:DWORD
	v_pk_fma_f16 v61, v3, v57, v1
	v_pk_fma_f16 v57, v4, v57, v2
	ds_read2_b64 v[1:4], v53 offset0:64 offset1:96
	v_mul_u32_u24_sdwa v62, v58, s19 dst_sel:DWORD dst_unused:UNUSED_PAD src0_sel:WORD_0 src1_sel:DWORD
	s_waitcnt lgkmcnt(0)
	v_pk_fma_f16 v1, v1, v62, v61
	v_pk_fma_f16 v2, v2, v62, v57
	v_mul_u32_u24_sdwa v57, v58, s19 dst_sel:DWORD dst_unused:UNUSED_PAD src0_sel:WORD_1 src1_sel:DWORD
	v_pk_fma_f16 v58, v3, v57, v1
	v_pk_fma_f16 v57, v4, v57, v2
	ds_read2_b64 v[1:4], v53 offset0:128 offset1:160
	v_mul_u32_u24_sdwa v61, v59, s19 dst_sel:DWORD dst_unused:UNUSED_PAD src0_sel:WORD_0 src1_sel:DWORD
	s_waitcnt lgkmcnt(0)
	v_pk_fma_f16 v1, v1, v61, v58
	v_pk_fma_f16 v2, v2, v61, v57
	v_mul_u32_u24_sdwa v57, v59, s19 dst_sel:DWORD dst_unused:UNUSED_PAD src0_sel:WORD_1 src1_sel:DWORD
	v_pk_fma_f16 v58, v3, v57, v1
	v_pk_fma_f16 v57, v4, v57, v2
	ds_read2_b64 v[1:4], v53 offset0:192 offset1:224
	v_mul_u32_u24_sdwa v59, v60, s19 dst_sel:DWORD dst_unused:UNUSED_PAD src0_sel:WORD_0 src1_sel:DWORD
	s_waitcnt lgkmcnt(0)
	v_pk_fma_f16 v1, v1, v59, v58
	v_pk_fma_f16 v2, v2, v59, v57
	v_mul_u32_u24_sdwa v57, v60, s19 dst_sel:DWORD dst_unused:UNUSED_PAD src0_sel:WORD_1 src1_sel:DWORD
	v_pk_fma_f16 v61, v3, v57, v1
	v_pk_fma_f16 v62, v4, v57, v2
	ds_read2_b64 v[1:4], v54 offset1:32
	ds_read_b128 v[57:60], v40 offset:80
	s_waitcnt lgkmcnt(0)
	v_mul_u32_u24_sdwa v63, v57, s19 dst_sel:DWORD dst_unused:UNUSED_PAD src0_sel:WORD_0 src1_sel:DWORD
	v_pk_fma_f16 v1, v1, v63, v61
	v_pk_fma_f16 v2, v2, v63, v62
	v_mul_u32_u24_sdwa v57, v57, s19 dst_sel:DWORD dst_unused:UNUSED_PAD src0_sel:WORD_1 src1_sel:DWORD
	v_pk_fma_f16 v61, v3, v57, v1
	v_pk_fma_f16 v57, v4, v57, v2
	ds_read2_b64 v[1:4], v54 offset0:64 offset1:96
	v_mul_u32_u24_sdwa v62, v58, s19 dst_sel:DWORD dst_unused:UNUSED_PAD src0_sel:WORD_0 src1_sel:DWORD
	s_waitcnt lgkmcnt(0)
	v_pk_fma_f16 v1, v1, v62, v61
	v_pk_fma_f16 v2, v2, v62, v57
	v_mul_u32_u24_sdwa v57, v58, s19 dst_sel:DWORD dst_unused:UNUSED_PAD src0_sel:WORD_1 src1_sel:DWORD
	v_pk_fma_f16 v58, v3, v57, v1
	v_pk_fma_f16 v57, v4, v57, v2
	;; [unrolled: 33-line block ×4, first 2 shown]
	ds_read2_b64 v[1:4], v56 offset0:128 offset1:160
	v_mul_u32_u24_sdwa v61, v59, s19 dst_sel:DWORD dst_unused:UNUSED_PAD src0_sel:WORD_0 src1_sel:DWORD
	s_waitcnt lgkmcnt(0)
	v_pk_fma_f16 v1, v1, v61, v58
	v_pk_fma_f16 v2, v2, v61, v57
	v_mul_u32_u24_sdwa v57, v59, s19 dst_sel:DWORD dst_unused:UNUSED_PAD src0_sel:WORD_1 src1_sel:DWORD
	v_pk_fma_f16 v58, v3, v57, v1
	v_pk_fma_f16 v57, v4, v57, v2
	ds_read2_b64 v[1:4], v56 offset0:192 offset1:224
	s_waitcnt lgkmcnt(0)
	s_barrier
	s_load_dword s24, s[0:1], 0x4
	v_mul_u32_u24_sdwa v59, v60, s19 dst_sel:DWORD dst_unused:UNUSED_PAD src0_sel:WORD_0 src1_sel:DWORD
	v_pk_fma_f16 v1, v1, v59, v58
	v_pk_fma_f16 v2, v2, v59, v57
	v_mul_u32_u24_sdwa v58, v60, s19 dst_sel:DWORD dst_unused:UNUSED_PAD src0_sel:WORD_1 src1_sel:DWORD
	s_waitcnt lgkmcnt(0)
	s_lshl_b32 s24, s24, 6
	s_add_i32 s6, s24, s6
	v_pk_fma_f16 v57, v3, v58, v1
	v_pk_fma_f16 v58, v4, v58, v2
	s_cmp_ge_i32 s6, s28
	s_cbranch_scc0 .LBB27_9
.LBB27_10:
	v_cmp_lt_i32_e32 vcc, v34, v29
	v_cndmask_b32_e32 v1, v28, v34, vcc
	v_lshlrev_b32_e32 v1, 2, v1
	ds_bpermute_b32 v1, v1, v41
	v_cmp_lt_i32_e32 vcc, v33, v29
	v_cndmask_b32_e32 v2, v28, v33, vcc
	v_lshlrev_b32_e32 v2, 2, v2
	v_cmp_lt_i32_e32 vcc, v32, v29
	s_waitcnt lgkmcnt(0)
	v_add_f32_e32 v1, v41, v1
	ds_bpermute_b32 v2, v2, v1
	v_cndmask_b32_e32 v3, v28, v32, vcc
	v_lshlrev_b32_e32 v3, 2, v3
	v_cmp_lt_i32_e32 vcc, v31, v29
	s_cmp_lg_u64 s[16:17], 0
	s_waitcnt lgkmcnt(0)
	v_add_f32_e32 v1, v1, v2
	ds_bpermute_b32 v2, v3, v1
	v_cndmask_b32_e32 v3, v28, v31, vcc
	v_lshlrev_b32_e32 v3, 2, v3
	v_cmp_lt_i32_e32 vcc, v30, v29
	s_cselect_b64 s[0:1], -1, 0
	s_waitcnt lgkmcnt(0)
	v_add_f32_e32 v1, v1, v2
	ds_bpermute_b32 v2, v3, v1
	v_cndmask_b32_e32 v3, v28, v30, vcc
	v_lshlrev_b32_e32 v3, 2, v3
	s_cmp_eq_u32 s7, 0
	s_cselect_b64 s[8:9], -1, 0
	s_waitcnt lgkmcnt(0)
	v_add_f32_e32 v1, v1, v2
	ds_bpermute_b32 v2, v3, v1
	s_and_b64 s[0:1], s[8:9], s[0:1]
	s_and_b64 vcc, exec, s[0:1]
	s_waitcnt lgkmcnt(0)
	v_add_f32_e32 v23, v1, v2
	s_cbranch_vccz .LBB27_12
; %bb.11:
	v_add_u32_e32 v1, s29, v24
	v_ashrrev_i32_e32 v2, 31, v1
	v_lshlrev_b64 v[1:2], 2, v[1:2]
	v_mov_b32_e32 v3, s17
	v_add_co_u32_e32 v1, vcc, s16, v1
	v_addc_co_u32_e32 v2, vcc, v3, v2, vcc
	global_load_dword v1, v[1:2], off
	v_max_f32_e32 v2, v22, v22
	s_mov_b32 s0, 0x3fb8aa3b
	s_mov_b32 s1, 0xc2ce8ed0
	s_waitcnt vmcnt(0)
	v_max_f32_e32 v3, v1, v1
	v_max_f32_e32 v2, v2, v3
	v_sub_f32_e32 v3, v22, v2
	v_sub_f32_e32 v1, v1, v2
	v_mul_f32_e32 v4, 0x3fb8aa3b, v3
	v_mul_f32_e32 v5, 0x3fb8aa3b, v1
	v_fma_f32 v6, v3, s0, -v4
	v_rndne_f32_e32 v7, v4
	v_fma_f32 v8, v1, s0, -v5
	v_rndne_f32_e32 v9, v5
	v_fmac_f32_e32 v6, 0x32a5705f, v3
	v_sub_f32_e32 v4, v4, v7
	v_fmac_f32_e32 v8, 0x32a5705f, v1
	v_sub_f32_e32 v5, v5, v9
	v_add_f32_e32 v4, v4, v6
	v_cvt_i32_f32_e32 v7, v7
	v_add_f32_e32 v5, v5, v8
	v_exp_f32_e32 v4, v4
	v_cvt_i32_f32_e32 v9, v9
	v_exp_f32_e32 v5, v5
	v_cmp_ngt_f32_e32 vcc, s1, v3
	v_ldexp_f32 v4, v4, v7
	s_mov_b32 s0, 0x42b17218
	v_ldexp_f32 v5, v5, v9
	v_cndmask_b32_e32 v4, 0, v4, vcc
	v_cmp_ngt_f32_e32 vcc, s1, v1
	v_mov_b32_e32 v6, 0x7f800000
	v_cndmask_b32_e32 v5, 0, v5, vcc
	v_cmp_nlt_f32_e32 vcc, s0, v3
	v_cndmask_b32_e32 v3, v6, v4, vcc
	v_cvt_f16_f32_e32 v4, v3
	v_cmp_nlt_f32_e32 vcc, s0, v1
	v_cndmask_b32_e32 v1, v6, v5, vcc
	v_fmac_f32_e32 v1, v23, v3
	v_mov_b32_e32 v23, v1
	v_mul_u32_u24_e32 v1, 0x10001, v4
	v_pk_mul_f16 v57, v57, v1
	v_pk_mul_f16 v58, v58, v1
	v_mov_b32_e32 v22, v2
.LBB27_12:
	v_cmp_gt_i32_e32 vcc, s2, v25
	s_and_saveexec_b64 s[0:1], vcc
	s_cbranch_execz .LBB27_15
; %bb.13:
	v_div_scale_f32 v1, s[0:1], v23, v23, 1.0
	v_div_scale_f32 v3, vcc, 1.0, v23, 1.0
	s_mul_i32 s33, s33, s2
	v_add_u32_e32 v5, s33, v25
	s_load_dword s0, s[4:5], 0xd4
	v_mul_lo_u32 v5, v5, s3
	v_mov_b32_e32 v2, 0
	v_mov_b32_e32 v6, s21
	v_cvt_f32_f16_sdwa v9, v58 dst_sel:DWORD dst_unused:UNUSED_PAD src0_sel:WORD_1
	s_waitcnt lgkmcnt(0)
	s_cmp_lg_u32 s0, 1
	v_rcp_f32_e32 v4, v1
	v_fma_f32 v7, -v1, v4, 1.0
	v_fmac_f32_e32 v4, v7, v4
	v_mul_f32_e32 v7, v3, v4
	v_fma_f32 v8, -v1, v7, v3
	v_fmac_f32_e32 v7, v8, v4
	v_fma_f32 v1, -v1, v7, v3
	v_div_fmas_f32 v3, v1, v4, v7
	v_cmp_eq_u32_e32 vcc, 0, v0
	v_add3_u32 v0, s29, v24, v5
	v_mul_lo_u32 v0, s0, v0
	v_cvt_f32_f16_e32 v4, v57
	v_cvt_f32_f16_sdwa v7, v57 dst_sel:DWORD dst_unused:UNUSED_PAD src0_sel:WORD_1
	v_cvt_f32_f16_e32 v8, v58
	v_add_u32_e32 v0, s7, v0
	v_lshl_add_u32 v1, v0, 7, v26
	v_lshlrev_b64 v[1:2], 2, v[1:2]
	v_add_co_u32_e64 v5, s[0:1], s20, v1
	v_addc_co_u32_e64 v6, s[0:1], v6, v2, s[0:1]
	s_cselect_b64 s[0:1], -1, 0
	v_div_fixup_f32 v1, v3, v23, 1.0
	v_cndmask_b32_e64 v10, v1, 1.0, s[0:1]
	s_and_b64 s[0:1], vcc, s[0:1]
	v_mul_f32_e32 v1, v10, v4
	v_mul_f32_e32 v2, v10, v7
	v_mul_f32_e32 v3, v10, v8
	v_mul_f32_e32 v4, v10, v9
	global_store_dwordx4 v[5:6], v[1:4], off
	s_and_b64 exec, exec, s[0:1]
	s_cbranch_execz .LBB27_15
; %bb.14:
	v_ashrrev_i32_e32 v1, 31, v0
	v_lshlrev_b64 v[0:1], 3, v[0:1]
	v_mov_b32_e32 v2, s23
	v_add_co_u32_e32 v0, vcc, s22, v0
	v_addc_co_u32_e32 v1, vcc, v2, v1, vcc
	global_store_dwordx2 v[0:1], v[22:23], off
.LBB27_15:
	s_endpgm
	.section	.rodata,"a",@progbits
	.p2align	6, 0x0
	.amdhsa_kernel _ZL15flash_attn_tileILi128ELi128ELi2ELi4ELb0EEvPKcS1_S1_S1_S1_PKiPfP15HIP_vector_typeIfLj2EEffffjfiS5_IjLj3EEiiiiiiiiiiiliiliiiiil
		.amdhsa_group_segment_fixed_size 20480
		.amdhsa_private_segment_fixed_size 0
		.amdhsa_kernarg_size 464
		.amdhsa_user_sgpr_count 6
		.amdhsa_user_sgpr_private_segment_buffer 1
		.amdhsa_user_sgpr_dispatch_ptr 0
		.amdhsa_user_sgpr_queue_ptr 0
		.amdhsa_user_sgpr_kernarg_segment_ptr 1
		.amdhsa_user_sgpr_dispatch_id 0
		.amdhsa_user_sgpr_flat_scratch_init 0
		.amdhsa_user_sgpr_private_segment_size 0
		.amdhsa_uses_dynamic_stack 0
		.amdhsa_system_sgpr_private_segment_wavefront_offset 0
		.amdhsa_system_sgpr_workgroup_id_x 1
		.amdhsa_system_sgpr_workgroup_id_y 1
		.amdhsa_system_sgpr_workgroup_id_z 1
		.amdhsa_system_sgpr_workgroup_info 0
		.amdhsa_system_vgpr_workitem_id 1
		.amdhsa_next_free_vgpr 77
		.amdhsa_next_free_sgpr 98
		.amdhsa_reserve_vcc 1
		.amdhsa_reserve_flat_scratch 0
		.amdhsa_float_round_mode_32 0
		.amdhsa_float_round_mode_16_64 0
		.amdhsa_float_denorm_mode_32 3
		.amdhsa_float_denorm_mode_16_64 3
		.amdhsa_dx10_clamp 1
		.amdhsa_ieee_mode 1
		.amdhsa_fp16_overflow 0
		.amdhsa_exception_fp_ieee_invalid_op 0
		.amdhsa_exception_fp_denorm_src 0
		.amdhsa_exception_fp_ieee_div_zero 0
		.amdhsa_exception_fp_ieee_overflow 0
		.amdhsa_exception_fp_ieee_underflow 0
		.amdhsa_exception_fp_ieee_inexact 0
		.amdhsa_exception_int_div_zero 0
	.end_amdhsa_kernel
	.section	.text._ZL15flash_attn_tileILi128ELi128ELi2ELi4ELb0EEvPKcS1_S1_S1_S1_PKiPfP15HIP_vector_typeIfLj2EEffffjfiS5_IjLj3EEiiiiiiiiiiiliiliiiiil,"axG",@progbits,_ZL15flash_attn_tileILi128ELi128ELi2ELi4ELb0EEvPKcS1_S1_S1_S1_PKiPfP15HIP_vector_typeIfLj2EEffffjfiS5_IjLj3EEiiiiiiiiiiiliiliiiiil,comdat
.Lfunc_end27:
	.size	_ZL15flash_attn_tileILi128ELi128ELi2ELi4ELb0EEvPKcS1_S1_S1_S1_PKiPfP15HIP_vector_typeIfLj2EEffffjfiS5_IjLj3EEiiiiiiiiiiiliiliiiiil, .Lfunc_end27-_ZL15flash_attn_tileILi128ELi128ELi2ELi4ELb0EEvPKcS1_S1_S1_S1_PKiPfP15HIP_vector_typeIfLj2EEffffjfiS5_IjLj3EEiiiiiiiiiiiliiliiiiil
                                        ; -- End function
	.set _ZL15flash_attn_tileILi128ELi128ELi2ELi4ELb0EEvPKcS1_S1_S1_S1_PKiPfP15HIP_vector_typeIfLj2EEffffjfiS5_IjLj3EEiiiiiiiiiiiliiliiiiil.num_vgpr, 77
	.set _ZL15flash_attn_tileILi128ELi128ELi2ELi4ELb0EEvPKcS1_S1_S1_S1_PKiPfP15HIP_vector_typeIfLj2EEffffjfiS5_IjLj3EEiiiiiiiiiiiliiliiiiil.num_agpr, 0
	.set _ZL15flash_attn_tileILi128ELi128ELi2ELi4ELb0EEvPKcS1_S1_S1_S1_PKiPfP15HIP_vector_typeIfLj2EEffffjfiS5_IjLj3EEiiiiiiiiiiiliiliiiiil.numbered_sgpr, 39
	.set _ZL15flash_attn_tileILi128ELi128ELi2ELi4ELb0EEvPKcS1_S1_S1_S1_PKiPfP15HIP_vector_typeIfLj2EEffffjfiS5_IjLj3EEiiiiiiiiiiiliiliiiiil.num_named_barrier, 0
	.set _ZL15flash_attn_tileILi128ELi128ELi2ELi4ELb0EEvPKcS1_S1_S1_S1_PKiPfP15HIP_vector_typeIfLj2EEffffjfiS5_IjLj3EEiiiiiiiiiiiliiliiiiil.private_seg_size, 0
	.set _ZL15flash_attn_tileILi128ELi128ELi2ELi4ELb0EEvPKcS1_S1_S1_S1_PKiPfP15HIP_vector_typeIfLj2EEffffjfiS5_IjLj3EEiiiiiiiiiiiliiliiiiil.uses_vcc, 1
	.set _ZL15flash_attn_tileILi128ELi128ELi2ELi4ELb0EEvPKcS1_S1_S1_S1_PKiPfP15HIP_vector_typeIfLj2EEffffjfiS5_IjLj3EEiiiiiiiiiiiliiliiiiil.uses_flat_scratch, 0
	.set _ZL15flash_attn_tileILi128ELi128ELi2ELi4ELb0EEvPKcS1_S1_S1_S1_PKiPfP15HIP_vector_typeIfLj2EEffffjfiS5_IjLj3EEiiiiiiiiiiiliiliiiiil.has_dyn_sized_stack, 0
	.set _ZL15flash_attn_tileILi128ELi128ELi2ELi4ELb0EEvPKcS1_S1_S1_S1_PKiPfP15HIP_vector_typeIfLj2EEffffjfiS5_IjLj3EEiiiiiiiiiiiliiliiiiil.has_recursion, 0
	.set _ZL15flash_attn_tileILi128ELi128ELi2ELi4ELb0EEvPKcS1_S1_S1_S1_PKiPfP15HIP_vector_typeIfLj2EEffffjfiS5_IjLj3EEiiiiiiiiiiiliiliiiiil.has_indirect_call, 0
	.section	.AMDGPU.csdata,"",@progbits
; Kernel info:
; codeLenInByte = 6752
; TotalNumSgprs: 43
; NumVgprs: 77
; ScratchSize: 0
; MemoryBound: 0
; FloatMode: 240
; IeeeMode: 1
; LDSByteSize: 20480 bytes/workgroup (compile time only)
; SGPRBlocks: 12
; VGPRBlocks: 19
; NumSGPRsForWavesPerEU: 102
; NumVGPRsForWavesPerEU: 77
; Occupancy: 3
; WaveLimiterHint : 1
; COMPUTE_PGM_RSRC2:SCRATCH_EN: 0
; COMPUTE_PGM_RSRC2:USER_SGPR: 6
; COMPUTE_PGM_RSRC2:TRAP_HANDLER: 0
; COMPUTE_PGM_RSRC2:TGID_X_EN: 1
; COMPUTE_PGM_RSRC2:TGID_Y_EN: 1
; COMPUTE_PGM_RSRC2:TGID_Z_EN: 1
; COMPUTE_PGM_RSRC2:TIDIG_COMP_CNT: 1
	.section	.text._ZL33flash_attn_stream_k_fixup_uniformILi128ELi2ELi4EEvPfPK15HIP_vector_typeIfLj2EEiiiiiiS1_IjLj3EES5_S5_,"axG",@progbits,_ZL33flash_attn_stream_k_fixup_uniformILi128ELi2ELi4EEvPfPK15HIP_vector_typeIfLj2EEiiiiiiS1_IjLj3EES5_S5_,comdat
	.globl	_ZL33flash_attn_stream_k_fixup_uniformILi128ELi2ELi4EEvPfPK15HIP_vector_typeIfLj2EEiiiiiiS1_IjLj3EES5_S5_ ; -- Begin function _ZL33flash_attn_stream_k_fixup_uniformILi128ELi2ELi4EEvPfPK15HIP_vector_typeIfLj2EEiiiiiiS1_IjLj3EES5_S5_
	.p2align	8
	.type	_ZL33flash_attn_stream_k_fixup_uniformILi128ELi2ELi4EEvPfPK15HIP_vector_typeIfLj2EEiiiiiiS1_IjLj3EES5_S5_,@function
_ZL33flash_attn_stream_k_fixup_uniformILi128ELi2ELi4EEvPfPK15HIP_vector_typeIfLj2EEiiiiiiS1_IjLj3EES5_S5_: ; @_ZL33flash_attn_stream_k_fixup_uniformILi128ELi2ELi4EEvPfPK15HIP_vector_typeIfLj2EEiiiiiiS1_IjLj3EES5_S5_
; %bb.0:
	s_load_dwordx8 s[12:19], s[4:5], 0x1c
	s_load_dwordx2 s[10:11], s[4:5], 0x10
	s_load_dwordx4 s[0:3], s[4:5], 0x3c
	s_waitcnt lgkmcnt(0)
	s_mul_hi_u32 s9, s15, s6
	s_add_i32 s9, s6, s9
	s_lshr_b32 s9, s9, s16
	s_mul_i32 s15, s9, s17
	s_sub_i32 s15, s6, s15
	s_mul_hi_u32 s16, s15, s18
	s_add_i32 s16, s15, s16
	s_lshr_b32 s16, s16, s19
	s_mul_i32 s0, s16, s0
	s_sub_i32 s0, s15, s0
	;; [unrolled: 5-line block ×3, first 2 shown]
	s_lshl_b32 s0, s17, 1
	s_lshl_b32 s15, s1, 2
	s_add_i32 s0, s0, s7
	s_cmp_lt_i32 s0, s10
	s_cselect_b64 s[0:1], -1, 0
	s_add_i32 s2, s15, s8
	s_cmp_lt_i32 s2, s13
	s_cselect_b64 s[2:3], -1, 0
	s_and_b64 s[0:1], s[0:1], s[2:3]
	s_andn2_b64 vcc, exec, s[0:1]
	s_cbranch_vccnz .LBB28_6
; %bb.1:
	s_load_dwordx4 s[0:3], s[4:5], 0x0
	s_mul_i32 s4, s9, s10
	s_add_i32 s4, s4, s7
	s_mul_i32 s4, s4, s11
	s_mul_i32 s16, s16, s13
	s_add_i32 s4, s4, s8
	s_add_i32 s4, s4, s16
	s_mul_i32 s5, s11, s17
	s_add_i32 s4, s4, s15
	s_lshl_b32 s5, s5, 8
	s_lshl_b32 s4, s4, 7
	s_add_i32 s5, s5, s4
	v_or_b32_e32 v1, s5, v0
	v_ashrrev_i32_e32 v2, 31, v1
	v_lshlrev_b64 v[1:2], 2, v[1:2]
	s_waitcnt lgkmcnt(0)
	v_mov_b32_e32 v3, s1
	v_add_co_u32_e32 v1, vcc, s0, v1
	v_addc_co_u32_e32 v2, vcc, v3, v2, vcc
	global_load_dword v8, v[1:2], off
	s_mul_i32 s9, s14, s6
	s_lshl_b32 s4, s7, 2
	s_add_i32 s11, s9, s14
	s_add_i32 s0, s4, s8
	s_lshl_b32 s1, s11, 3
	s_add_i32 s0, s0, s1
	s_add_i32 s0, s0, -8
	s_ashr_i32 s1, s0, 31
	s_lshl_b64 s[0:1], s[0:1], 3
	s_add_u32 s0, s2, s0
	s_addc_u32 s1, s3, s1
	s_load_dword s5, s[0:1], 0x4
	s_add_i32 s10, s11, -2
	s_cmp_lt_i32 s10, s9
	s_cbranch_scc1 .LBB28_4
; %bb.2:
	s_lshl_b32 s16, s12, 5
	s_ashr_i32 s17, s16, 31
	s_lshl_b64 s[16:17], s[16:17], 2
	s_add_u32 s10, s2, s16
	s_addc_u32 s13, s3, s17
	s_add_i32 s6, s6, 1
	s_load_dword s0, s[0:1], 0x0
	s_mul_i32 s1, s14, s6
	s_lshl_b32 s7, s7, 9
	s_lshl_b32 s14, s8, 7
	;; [unrolled: 1-line block ×3, first 2 shown]
	s_add_i32 s7, s14, s7
	s_lshl_b32 s1, s1, 3
	s_add_i32 s7, s7, s6
	s_add_i32 s1, s8, s1
	s_lshl_b32 s6, s12, 3
	s_add_i32 s1, s1, s6
	v_or_b32_e32 v0, s7, v0
	s_add_i32 s1, s1, s4
	s_add_i32 s11, s11, -1
	v_add_u32_e32 v3, 0xfffff800, v0
	s_add_i32 s4, s1, -16
	s_waitcnt lgkmcnt(0)
	v_mov_b32_e32 v7, s5
	v_mov_b32_e32 v6, s0
	;; [unrolled: 1-line block ×3, first 2 shown]
	s_mov_b32 s6, 0x3fb8aa3b
	s_mov_b32 s7, 0xc2ce8ed0
	;; [unrolled: 1-line block ×3, first 2 shown]
	v_mov_b32_e32 v5, 0x7f800000
	s_mov_b32 s12, 0xc1a00000
.LBB28_3:                               ; =>This Inner Loop Header: Depth=1
	v_ashrrev_i32_e32 v4, 31, v3
	v_lshlrev_b64 v[9:10], 2, v[3:4]
	s_ashr_i32 s5, s4, 31
	v_add_co_u32_e32 v9, vcc, s10, v9
	v_addc_co_u32_e32 v10, vcc, v0, v10, vcc
	global_load_dword v4, v[9:10], off
	s_lshl_b64 s[0:1], s[4:5], 3
	s_add_u32 s0, s2, s0
	s_addc_u32 s1, s3, s1
	s_load_dwordx2 s[14:15], s[0:1], 0x0
	s_waitcnt vmcnt(1)
	v_mov_b32_e32 v9, v8
	v_max_f32_e32 v8, v6, v6
	v_mov_b32_e32 v10, v7
	s_add_i32 s11, s11, -1
	s_waitcnt lgkmcnt(0)
	v_max_f32_e64 v7, s14, s14
	v_max_f32_e32 v7, v8, v7
	v_sub_f32_e32 v11, s14, v7
	v_sub_f32_e32 v8, v6, v7
	v_mul_f32_e32 v12, 0x3fb8aa3b, v11
	v_mov_b32_e32 v6, v7
	v_mul_f32_e32 v7, 0x3fb8aa3b, v8
	v_fma_f32 v15, v11, s6, -v12
	v_rndne_f32_e32 v16, v12
	v_fma_f32 v13, v8, s6, -v7
	v_rndne_f32_e32 v14, v7
	v_fmac_f32_e32 v15, 0x32a5705f, v11
	v_sub_f32_e32 v12, v12, v16
	v_fmac_f32_e32 v13, 0x32a5705f, v8
	v_sub_f32_e32 v7, v7, v14
	v_add_f32_e32 v12, v12, v15
	v_cvt_i32_f32_e32 v16, v16
	v_add_f32_e32 v7, v7, v13
	v_exp_f32_e32 v12, v12
	v_cvt_i32_f32_e32 v14, v14
	v_exp_f32_e32 v7, v7
	v_cmp_ngt_f32_e32 vcc, s7, v11
	v_ldexp_f32 v12, v12, v16
	v_cmp_ngt_f32_e64 s[0:1], s7, v8
	v_ldexp_f32 v7, v7, v14
	v_cndmask_b32_e32 v12, 0, v12, vcc
	v_cmp_nlt_f32_e32 vcc, s8, v11
	v_cndmask_b32_e64 v7, 0, v7, s[0:1]
	v_cmp_nlt_f32_e64 s[0:1], s8, v8
	v_cndmask_b32_e32 v12, v5, v12, vcc
	v_cmp_le_f32_e32 vcc, s12, v11
	v_cndmask_b32_e64 v7, v5, v7, s[0:1]
	v_cmp_le_f32_e64 s[0:1], s12, v8
	v_cndmask_b32_e32 v8, 0, v12, vcc
	s_add_i32 s4, s4, -8
	v_cndmask_b32_e64 v11, 0, v7, s[0:1]
	v_mul_f32_e32 v7, s15, v8
	v_add_u32_e32 v3, 0xfffffc00, v3
	s_cmp_le_i32 s11, s9
	v_fmac_f32_e32 v7, v10, v11
	s_waitcnt vmcnt(0)
	v_mul_f32_e32 v8, v4, v8
	v_fmac_f32_e32 v8, v9, v11
	s_cbranch_scc0 .LBB28_3
	s_branch .LBB28_5
.LBB28_4:
	s_waitcnt lgkmcnt(0)
	v_mov_b32_e32 v7, s5
.LBB28_5:
	s_waitcnt vmcnt(0)
	v_div_scale_f32 v0, s[0:1], v7, v7, v8
	v_div_scale_f32 v3, vcc, v8, v7, v8
	v_rcp_f32_e32 v4, v0
	v_fma_f32 v5, -v0, v4, 1.0
	v_fmac_f32_e32 v4, v5, v4
	v_mul_f32_e32 v5, v3, v4
	v_fma_f32 v6, -v0, v5, v3
	v_fmac_f32_e32 v5, v6, v4
	v_fma_f32 v0, -v0, v5, v3
	v_div_fmas_f32 v0, v0, v4, v5
	v_div_fixup_f32 v0, v0, v7, v8
	global_store_dword v[1:2], v0, off
.LBB28_6:
	s_endpgm
	.section	.rodata,"a",@progbits
	.p2align	6, 0x0
	.amdhsa_kernel _ZL33flash_attn_stream_k_fixup_uniformILi128ELi2ELi4EEvPfPK15HIP_vector_typeIfLj2EEiiiiiiS1_IjLj3EES5_S5_
		.amdhsa_group_segment_fixed_size 0
		.amdhsa_private_segment_fixed_size 0
		.amdhsa_kernarg_size 76
		.amdhsa_user_sgpr_count 6
		.amdhsa_user_sgpr_private_segment_buffer 1
		.amdhsa_user_sgpr_dispatch_ptr 0
		.amdhsa_user_sgpr_queue_ptr 0
		.amdhsa_user_sgpr_kernarg_segment_ptr 1
		.amdhsa_user_sgpr_dispatch_id 0
		.amdhsa_user_sgpr_flat_scratch_init 0
		.amdhsa_user_sgpr_private_segment_size 0
		.amdhsa_uses_dynamic_stack 0
		.amdhsa_system_sgpr_private_segment_wavefront_offset 0
		.amdhsa_system_sgpr_workgroup_id_x 1
		.amdhsa_system_sgpr_workgroup_id_y 1
		.amdhsa_system_sgpr_workgroup_id_z 1
		.amdhsa_system_sgpr_workgroup_info 0
		.amdhsa_system_vgpr_workitem_id 0
		.amdhsa_next_free_vgpr 17
		.amdhsa_next_free_sgpr 20
		.amdhsa_reserve_vcc 1
		.amdhsa_reserve_flat_scratch 0
		.amdhsa_float_round_mode_32 0
		.amdhsa_float_round_mode_16_64 0
		.amdhsa_float_denorm_mode_32 3
		.amdhsa_float_denorm_mode_16_64 3
		.amdhsa_dx10_clamp 1
		.amdhsa_ieee_mode 1
		.amdhsa_fp16_overflow 0
		.amdhsa_exception_fp_ieee_invalid_op 0
		.amdhsa_exception_fp_denorm_src 0
		.amdhsa_exception_fp_ieee_div_zero 0
		.amdhsa_exception_fp_ieee_overflow 0
		.amdhsa_exception_fp_ieee_underflow 0
		.amdhsa_exception_fp_ieee_inexact 0
		.amdhsa_exception_int_div_zero 0
	.end_amdhsa_kernel
	.section	.text._ZL33flash_attn_stream_k_fixup_uniformILi128ELi2ELi4EEvPfPK15HIP_vector_typeIfLj2EEiiiiiiS1_IjLj3EES5_S5_,"axG",@progbits,_ZL33flash_attn_stream_k_fixup_uniformILi128ELi2ELi4EEvPfPK15HIP_vector_typeIfLj2EEiiiiiiS1_IjLj3EES5_S5_,comdat
.Lfunc_end28:
	.size	_ZL33flash_attn_stream_k_fixup_uniformILi128ELi2ELi4EEvPfPK15HIP_vector_typeIfLj2EEiiiiiiS1_IjLj3EES5_S5_, .Lfunc_end28-_ZL33flash_attn_stream_k_fixup_uniformILi128ELi2ELi4EEvPfPK15HIP_vector_typeIfLj2EEiiiiiiS1_IjLj3EES5_S5_
                                        ; -- End function
	.set _ZL33flash_attn_stream_k_fixup_uniformILi128ELi2ELi4EEvPfPK15HIP_vector_typeIfLj2EEiiiiiiS1_IjLj3EES5_S5_.num_vgpr, 17
	.set _ZL33flash_attn_stream_k_fixup_uniformILi128ELi2ELi4EEvPfPK15HIP_vector_typeIfLj2EEiiiiiiS1_IjLj3EES5_S5_.num_agpr, 0
	.set _ZL33flash_attn_stream_k_fixup_uniformILi128ELi2ELi4EEvPfPK15HIP_vector_typeIfLj2EEiiiiiiS1_IjLj3EES5_S5_.numbered_sgpr, 20
	.set _ZL33flash_attn_stream_k_fixup_uniformILi128ELi2ELi4EEvPfPK15HIP_vector_typeIfLj2EEiiiiiiS1_IjLj3EES5_S5_.num_named_barrier, 0
	.set _ZL33flash_attn_stream_k_fixup_uniformILi128ELi2ELi4EEvPfPK15HIP_vector_typeIfLj2EEiiiiiiS1_IjLj3EES5_S5_.private_seg_size, 0
	.set _ZL33flash_attn_stream_k_fixup_uniformILi128ELi2ELi4EEvPfPK15HIP_vector_typeIfLj2EEiiiiiiS1_IjLj3EES5_S5_.uses_vcc, 1
	.set _ZL33flash_attn_stream_k_fixup_uniformILi128ELi2ELi4EEvPfPK15HIP_vector_typeIfLj2EEiiiiiiS1_IjLj3EES5_S5_.uses_flat_scratch, 0
	.set _ZL33flash_attn_stream_k_fixup_uniformILi128ELi2ELi4EEvPfPK15HIP_vector_typeIfLj2EEiiiiiiS1_IjLj3EES5_S5_.has_dyn_sized_stack, 0
	.set _ZL33flash_attn_stream_k_fixup_uniformILi128ELi2ELi4EEvPfPK15HIP_vector_typeIfLj2EEiiiiiiS1_IjLj3EES5_S5_.has_recursion, 0
	.set _ZL33flash_attn_stream_k_fixup_uniformILi128ELi2ELi4EEvPfPK15HIP_vector_typeIfLj2EEiiiiiiS1_IjLj3EES5_S5_.has_indirect_call, 0
	.section	.AMDGPU.csdata,"",@progbits
; Kernel info:
; codeLenInByte = 856
; TotalNumSgprs: 24
; NumVgprs: 17
; ScratchSize: 0
; MemoryBound: 0
; FloatMode: 240
; IeeeMode: 1
; LDSByteSize: 0 bytes/workgroup (compile time only)
; SGPRBlocks: 2
; VGPRBlocks: 4
; NumSGPRsForWavesPerEU: 24
; NumVGPRsForWavesPerEU: 17
; Occupancy: 10
; WaveLimiterHint : 0
; COMPUTE_PGM_RSRC2:SCRATCH_EN: 0
; COMPUTE_PGM_RSRC2:USER_SGPR: 6
; COMPUTE_PGM_RSRC2:TRAP_HANDLER: 0
; COMPUTE_PGM_RSRC2:TGID_X_EN: 1
; COMPUTE_PGM_RSRC2:TGID_Y_EN: 1
; COMPUTE_PGM_RSRC2:TGID_Z_EN: 1
; COMPUTE_PGM_RSRC2:TIDIG_COMP_CNT: 0
	.section	.text._ZL33flash_attn_stream_k_fixup_generalILi128ELi2ELi4EEvPfPK15HIP_vector_typeIfLj2EEiiiiS1_IjLj3EES5_S5_S5_,"axG",@progbits,_ZL33flash_attn_stream_k_fixup_generalILi128ELi2ELi4EEvPfPK15HIP_vector_typeIfLj2EEiiiiS1_IjLj3EES5_S5_S5_,comdat
	.globl	_ZL33flash_attn_stream_k_fixup_generalILi128ELi2ELi4EEvPfPK15HIP_vector_typeIfLj2EEiiiiS1_IjLj3EES5_S5_S5_ ; -- Begin function _ZL33flash_attn_stream_k_fixup_generalILi128ELi2ELi4EEvPfPK15HIP_vector_typeIfLj2EEiiiiS1_IjLj3EES5_S5_S5_
	.p2align	8
	.type	_ZL33flash_attn_stream_k_fixup_generalILi128ELi2ELi4EEvPfPK15HIP_vector_typeIfLj2EEiiiiS1_IjLj3EES5_S5_S5_,@function
_ZL33flash_attn_stream_k_fixup_generalILi128ELi2ELi4EEvPfPK15HIP_vector_typeIfLj2EEiiiiS1_IjLj3EES5_S5_S5_: ; @_ZL33flash_attn_stream_k_fixup_generalILi128ELi2ELi4EEvPfPK15HIP_vector_typeIfLj2EEiiiiS1_IjLj3EES5_S5_S5_
; %bb.0:
	s_load_dwordx4 s[0:3], s[4:5], 0x10
	s_load_dword s22, s[4:5], 0x50
	s_mov_b32 s12, 0
	s_waitcnt lgkmcnt(0)
	s_mul_hi_i32 s13, s3, s6
	s_cmp_lg_u64 s[12:13], 0
	s_mul_i32 s9, s3, s6
	s_cbranch_scc0 .LBB29_20
; %bb.1:
	s_add_u32 s10, s22, 0
	s_addc_u32 s11, 0, 0
	s_xor_b64 s[10:11], s[10:11], 0
	v_cvt_f32_u32_e32 v1, s10
	v_cvt_f32_u32_e32 v2, s11
	s_sub_u32 s12, 0, s10
	s_subb_u32 s18, 0, s11
	v_madmk_f32 v1, v2, 0x4f800000, v1
	v_rcp_f32_e32 v1, v1
	v_mul_f32_e32 v1, 0x5f7ffffc, v1
	v_mul_f32_e32 v2, 0x2f800000, v1
	v_trunc_f32_e32 v2, v2
	v_madmk_f32 v1, v2, 0xcf800000, v1
	v_cvt_u32_f32_e32 v2, v2
	v_cvt_u32_f32_e32 v1, v1
	v_readfirstlane_b32 s19, v2
	v_readfirstlane_b32 s14, v1
	s_mul_i32 s15, s12, s19
	s_mul_hi_u32 s21, s12, s14
	s_mul_i32 s20, s18, s14
	s_add_i32 s15, s21, s15
	s_add_i32 s15, s15, s20
	s_mul_i32 s23, s12, s14
	s_mul_i32 s21, s14, s15
	s_mul_hi_u32 s24, s14, s23
	s_mul_hi_u32 s20, s14, s15
	s_add_u32 s21, s24, s21
	s_addc_u32 s20, 0, s20
	s_mul_hi_u32 s25, s19, s23
	s_mul_i32 s23, s19, s23
	s_add_u32 s21, s21, s23
	s_mul_hi_u32 s24, s19, s15
	s_addc_u32 s20, s20, s25
	s_addc_u32 s21, s24, 0
	s_mul_i32 s15, s19, s15
	s_add_u32 s15, s20, s15
	s_addc_u32 s20, 0, s21
	s_add_u32 s21, s14, s15
	s_cselect_b64 s[14:15], -1, 0
	s_cmp_lg_u64 s[14:15], 0
	s_addc_u32 s19, s19, s20
	s_mul_i32 s14, s12, s19
	s_mul_hi_u32 s15, s12, s21
	s_add_i32 s14, s15, s14
	s_mul_i32 s18, s18, s21
	s_add_i32 s14, s14, s18
	s_mul_i32 s12, s12, s21
	s_mul_hi_u32 s18, s19, s12
	s_mul_i32 s20, s19, s12
	s_mul_i32 s24, s21, s14
	s_mul_hi_u32 s12, s21, s12
	s_mul_hi_u32 s23, s21, s14
	s_add_u32 s12, s12, s24
	s_addc_u32 s23, 0, s23
	s_add_u32 s12, s12, s20
	s_mul_hi_u32 s15, s19, s14
	s_addc_u32 s12, s23, s18
	s_addc_u32 s15, s15, 0
	s_mul_i32 s14, s19, s14
	s_add_u32 s12, s12, s14
	s_addc_u32 s18, 0, s15
	s_add_u32 s20, s21, s12
	s_cselect_b64 s[14:15], -1, 0
	s_cmp_lg_u64 s[14:15], 0
	s_addc_u32 s18, s19, s18
	s_ashr_i32 s14, s13, 31
	s_add_u32 s12, s9, s14
	s_mov_b32 s15, s14
	s_addc_u32 s13, s13, s14
	s_xor_b64 s[12:13], s[12:13], s[14:15]
	s_mul_i32 s21, s12, s18
	s_mul_hi_u32 s23, s12, s20
	s_mul_hi_u32 s19, s12, s18
	s_add_u32 s21, s23, s21
	s_addc_u32 s19, 0, s19
	s_mul_hi_u32 s24, s13, s20
	s_mul_i32 s20, s13, s20
	s_add_u32 s20, s21, s20
	s_mul_hi_u32 s23, s13, s18
	s_addc_u32 s19, s19, s24
	s_addc_u32 s20, s23, 0
	s_mul_i32 s18, s13, s18
	s_add_u32 s23, s19, s18
	s_addc_u32 s24, 0, s20
	s_mul_i32 s18, s10, s24
	s_mul_hi_u32 s19, s10, s23
	s_add_i32 s18, s19, s18
	s_mul_i32 s19, s11, s23
	s_add_i32 s25, s18, s19
	s_sub_i32 s20, s13, s25
	s_mul_i32 s18, s10, s23
	s_sub_u32 s12, s12, s18
	s_cselect_b64 s[18:19], -1, 0
	s_cmp_lg_u64 s[18:19], 0
	s_subb_u32 s26, s20, s11
	s_sub_u32 s27, s12, s10
	s_cselect_b64 s[20:21], -1, 0
	s_cmp_lg_u64 s[20:21], 0
	s_subb_u32 s20, s26, 0
	s_cmp_ge_u32 s20, s11
	s_cselect_b32 s21, -1, 0
	s_cmp_ge_u32 s27, s10
	s_cselect_b32 s26, -1, 0
	s_cmp_eq_u32 s20, s11
	s_cselect_b32 s20, s26, s21
	s_add_u32 s21, s23, 1
	s_addc_u32 s26, s24, 0
	s_add_u32 s27, s23, 2
	s_addc_u32 s28, s24, 0
	s_cmp_lg_u32 s20, 0
	s_cselect_b32 s20, s27, s21
	s_cselect_b32 s21, s28, s26
	s_cmp_lg_u64 s[18:19], 0
	s_subb_u32 s13, s13, s25
	s_cmp_ge_u32 s13, s11
	s_cselect_b32 s18, -1, 0
	s_cmp_ge_u32 s12, s10
	s_cselect_b32 s10, -1, 0
	s_cmp_eq_u32 s13, s11
	s_cselect_b32 s10, s10, s18
	s_cmp_lg_u32 s10, 0
	s_cselect_b32 s11, s21, s24
	s_cselect_b32 s10, s20, s23
	s_xor_b64 s[12:13], s[14:15], 0
	s_xor_b64 s[10:11], s[10:11], s[12:13]
	s_sub_u32 s10, s10, s12
	s_load_dwordx4 s[12:15], s[4:5], 0x44
	s_cbranch_execnz .LBB29_3
.LBB29_2:
	v_cvt_f32_u32_e32 v1, s22
	s_sub_i32 s10, 0, s22
	v_rcp_iflag_f32_e32 v1, v1
	v_mul_f32_e32 v1, 0x4f7ffffe, v1
	v_cvt_u32_f32_e32 v1, v1
	v_readfirstlane_b32 s11, v1
	s_mul_i32 s10, s10, s11
	s_mul_hi_u32 s10, s11, s10
	s_add_i32 s11, s11, s10
	s_mul_hi_u32 s10, s9, s11
	s_waitcnt lgkmcnt(0)
	s_mul_i32 s15, s10, s22
	s_sub_i32 s9, s9, s15
	s_add_i32 s11, s10, 1
	s_sub_i32 s15, s9, s22
	s_cmp_ge_u32 s9, s22
	s_cselect_b32 s10, s11, s10
	s_cselect_b32 s9, s15, s9
	s_add_i32 s11, s10, 1
	s_cmp_ge_u32 s9, s22
	s_cselect_b32 s10, s11, s10
.LBB29_3:
	s_add_i32 s9, s6, 1
	s_mul_hi_i32 s21, s3, s9
	s_mov_b32 s20, 0
	s_cmp_lg_u64 s[20:21], 0
	s_mul_i32 s9, s3, s9
	s_cbranch_scc0 .LBB29_21
; %bb.4:
	s_add_u32 s16, s22, 0
	s_addc_u32 s17, 0, 0
	s_xor_b64 s[18:19], s[16:17], 0
	v_cvt_f32_u32_e32 v1, s18
	v_cvt_f32_u32_e32 v2, s19
	s_sub_u32 s11, 0, s18
	s_waitcnt lgkmcnt(0)
	s_subb_u32 s15, 0, s19
	v_madmk_f32 v1, v2, 0x4f800000, v1
	v_rcp_f32_e32 v1, v1
	v_mul_f32_e32 v1, 0x5f7ffffc, v1
	v_mul_f32_e32 v2, 0x2f800000, v1
	v_trunc_f32_e32 v2, v2
	v_madmk_f32 v1, v2, 0xcf800000, v1
	v_cvt_u32_f32_e32 v2, v2
	v_cvt_u32_f32_e32 v1, v1
	v_readfirstlane_b32 s20, v2
	v_readfirstlane_b32 s23, v1
	s_mul_i32 s24, s11, s20
	s_mul_hi_u32 s26, s11, s23
	s_mul_i32 s25, s15, s23
	s_add_i32 s24, s26, s24
	s_add_i32 s24, s24, s25
	s_mul_i32 s27, s11, s23
	s_mul_i32 s26, s23, s24
	s_mul_hi_u32 s28, s23, s27
	s_mul_hi_u32 s25, s23, s24
	s_add_u32 s26, s28, s26
	s_addc_u32 s25, 0, s25
	s_mul_hi_u32 s29, s20, s27
	s_mul_i32 s27, s20, s27
	s_add_u32 s26, s26, s27
	s_mul_hi_u32 s28, s20, s24
	s_addc_u32 s25, s25, s29
	s_addc_u32 s26, s28, 0
	s_mul_i32 s24, s20, s24
	s_add_u32 s24, s25, s24
	s_addc_u32 s26, 0, s26
	s_add_u32 s23, s23, s24
	s_cselect_b64 s[24:25], -1, 0
	s_cmp_lg_u64 s[24:25], 0
	s_addc_u32 s20, s20, s26
	s_mul_i32 s24, s11, s20
	s_mul_hi_u32 s25, s11, s23
	s_add_i32 s24, s25, s24
	s_mul_i32 s15, s15, s23
	s_add_i32 s24, s24, s15
	s_mul_i32 s11, s11, s23
	s_mul_hi_u32 s25, s20, s11
	s_mul_i32 s26, s20, s11
	s_mul_i32 s28, s23, s24
	s_mul_hi_u32 s11, s23, s11
	s_mul_hi_u32 s27, s23, s24
	s_add_u32 s11, s11, s28
	s_addc_u32 s27, 0, s27
	s_add_u32 s11, s11, s26
	s_mul_hi_u32 s15, s20, s24
	s_addc_u32 s11, s27, s25
	s_addc_u32 s15, s15, 0
	s_mul_i32 s24, s20, s24
	s_add_u32 s11, s11, s24
	s_addc_u32 s15, 0, s15
	s_add_u32 s11, s23, s11
	s_cselect_b64 s[24:25], -1, 0
	s_cmp_lg_u64 s[24:25], 0
	s_addc_u32 s15, s20, s15
	s_ashr_i32 s24, s21, 31
	s_add_u32 s20, s9, s24
	s_mov_b32 s25, s24
	s_addc_u32 s21, s21, s24
	s_xor_b64 s[20:21], s[20:21], s[24:25]
	s_mul_i32 s26, s20, s15
	s_mul_hi_u32 s27, s20, s11
	s_mul_hi_u32 s23, s20, s15
	s_add_u32 s26, s27, s26
	s_addc_u32 s23, 0, s23
	s_mul_hi_u32 s28, s21, s11
	s_mul_i32 s11, s21, s11
	s_add_u32 s11, s26, s11
	s_mul_hi_u32 s27, s21, s15
	s_addc_u32 s11, s23, s28
	s_addc_u32 s23, s27, 0
	s_mul_i32 s15, s21, s15
	s_add_u32 s11, s11, s15
	s_addc_u32 s15, 0, s23
	s_mul_i32 s23, s18, s15
	s_mul_hi_u32 s26, s18, s11
	s_add_i32 s23, s26, s23
	s_mul_i32 s26, s19, s11
	s_add_i32 s23, s23, s26
	s_sub_i32 s28, s21, s23
	s_mul_i32 s26, s18, s11
	s_sub_u32 s20, s20, s26
	s_cselect_b64 s[26:27], -1, 0
	s_cmp_lg_u64 s[26:27], 0
	s_subb_u32 s30, s28, s19
	s_sub_u32 s31, s20, s18
	s_cselect_b64 s[28:29], -1, 0
	s_cmp_lg_u64 s[28:29], 0
	s_subb_u32 s28, s30, 0
	s_cmp_ge_u32 s28, s19
	s_cselect_b32 s29, -1, 0
	s_cmp_ge_u32 s31, s18
	s_cselect_b32 s30, -1, 0
	s_cmp_eq_u32 s28, s19
	s_cselect_b32 s28, s30, s29
	s_add_u32 s29, s11, 1
	s_addc_u32 s30, s15, 0
	s_add_u32 s31, s11, 2
	s_addc_u32 s33, s15, 0
	s_cmp_lg_u32 s28, 0
	s_cselect_b32 s28, s31, s29
	s_cselect_b32 s29, s33, s30
	s_cmp_lg_u64 s[26:27], 0
	s_subb_u32 s21, s21, s23
	s_cmp_ge_u32 s21, s19
	s_cselect_b32 s23, -1, 0
	s_cmp_ge_u32 s20, s18
	s_cselect_b32 s18, -1, 0
	s_cmp_eq_u32 s21, s19
	s_cselect_b32 s18, s18, s23
	s_cmp_lg_u32 s18, 0
	s_cselect_b32 s19, s29, s15
	s_cselect_b32 s18, s28, s11
	s_xor_b64 s[20:21], s[24:25], 0
	s_xor_b64 s[18:19], s[18:19], s[20:21]
	s_sub_u32 s18, s18, s20
	s_cbranch_execnz .LBB29_6
.LBB29_5:
	v_cvt_f32_u32_e32 v1, s22
	s_sub_i32 s11, 0, s22
	v_rcp_iflag_f32_e32 v1, v1
	v_mul_f32_e32 v1, 0x4f7ffffe, v1
	v_cvt_u32_f32_e32 v1, v1
	s_waitcnt lgkmcnt(0)
	v_readfirstlane_b32 s15, v1
	s_mul_i32 s11, s11, s15
	s_mul_hi_u32 s11, s15, s11
	s_add_i32 s15, s15, s11
	s_mul_hi_u32 s11, s9, s15
	s_mul_i32 s16, s11, s22
	s_sub_i32 s9, s9, s16
	s_add_i32 s15, s11, 1
	s_sub_i32 s16, s9, s22
	s_cmp_ge_u32 s9, s22
	s_cselect_b32 s11, s15, s11
	s_cselect_b32 s9, s16, s9
	s_add_i32 s15, s11, 1
	s_cmp_ge_u32 s9, s22
	s_cselect_b32 s18, s15, s11
.LBB29_6:
	s_cmp_eq_u32 s10, s18
	s_waitcnt lgkmcnt(0)
	s_mul_hi_u32 s9, s10, s12
	s_cselect_b64 s[16:17], -1, 0
	s_add_i32 s9, s9, s10
	s_lshr_b32 s11, s9, s13
	s_mul_i32 s9, s11, s14
	s_cmp_eq_u32 s9, s10
	s_mul_hi_u32 s9, s18, s12
	s_cselect_b64 s[20:21], -1, 0
	s_add_i32 s9, s9, s18
	s_lshr_b32 s9, s9, s13
	s_cmp_eq_u32 s11, s9
	s_mul_i32 s9, s9, s14
	s_cselect_b64 s[24:25], -1, 0
	s_cmp_lg_u32 s9, s18
	s_cselect_b64 s[18:19], -1, 0
	s_and_b64 s[18:19], s[24:25], s[18:19]
	s_or_b64 s[16:17], s[16:17], s[20:21]
	s_or_b64 s[16:17], s[16:17], s[18:19]
	s_and_b64 vcc, exec, s[16:17]
	s_cbranch_vccnz .LBB29_23
; %bb.7:
	s_load_dwordx8 s[24:31], s[4:5], 0x20
	s_load_dword s15, s[4:5], 0x40
	s_waitcnt lgkmcnt(0)
	s_mul_hi_u32 s9, s10, s24
	s_add_i32 s9, s9, s10
	s_lshr_b32 s9, s9, s25
	s_mul_i32 s16, s9, s26
	s_sub_i32 s16, s10, s16
	s_mul_hi_u32 s17, s16, s27
	s_add_i32 s17, s16, s17
	s_lshr_b32 s23, s17, s28
	s_mul_i32 s17, s23, s29
	s_sub_i32 s16, s16, s17
	;; [unrolled: 5-line block ×3, first 2 shown]
	s_mul_hi_u32 s16, s15, s12
	s_add_i32 s15, s15, s16
	s_lshr_b32 s25, s15, s13
	s_lshl_b32 s15, s25, 1
	s_lshl_b32 s24, s17, 2
	s_add_i32 s15, s15, s7
	s_cmp_lt_i32 s15, s0
	s_cselect_b64 s[16:17], -1, 0
	s_add_i32 s15, s24, s8
	s_cmp_lt_i32 s15, s2
	s_cselect_b64 s[18:19], -1, 0
	s_and_b64 s[16:17], s[16:17], s[18:19]
	s_andn2_b64 vcc, exec, s[16:17]
	s_cbranch_vccnz .LBB29_23
; %bb.8:
	s_load_dwordx4 s[16:19], s[4:5], 0x0
	s_mov_b32 s4, 0
	s_lshl_b32 s15, s7, 2
	s_lshl_b32 s20, s22, 5
	s_mov_b32 s21, s4
	s_add_i32 s15, s15, s8
	s_lshl_b64 s[20:21], s[20:21], 2
	s_waitcnt lgkmcnt(0)
	s_add_u32 s20, s18, s20
	s_mul_i32 s0, s9, s0
	s_addc_u32 s21, s19, s21
	s_add_i32 s0, s0, s7
	s_mul_i32 s0, s0, s1
	s_mul_i32 s23, s23, s2
	s_add_i32 s0, s0, s8
	s_add_i32 s0, s0, s23
	s_mul_i32 s2, s1, s25
	s_add_i32 s0, s0, s24
	s_lshl_b32 s2, s2, 8
	s_lshl_b32 s0, s0, 7
	s_add_i32 s2, s2, s0
	v_or_b32_e32 v1, s2, v0
	v_ashrrev_i32_e32 v2, 31, v1
	v_lshlrev_b64 v[1:2], 2, v[1:2]
	v_mov_b32_e32 v3, s17
	v_add_co_u32_e32 v1, vcc, s16, v1
	v_addc_co_u32_e32 v2, vcc, v3, v2, vcc
	global_load_dword v3, v[1:2], off
	v_cvt_f32_u32_e32 v4, s22
	s_lshl_b32 s0, s6, 3
	s_add_i32 s0, s15, s0
	s_ashr_i32 s1, s0, 31
	s_lshl_b64 s[0:1], s[0:1], 3
	v_rcp_iflag_f32_e32 v4, v4
	s_add_u32 s0, s18, s0
	s_addc_u32 s1, s19, s1
	s_load_dwordx2 s[0:1], s[0:1], 0x0
	v_mul_f32_e32 v4, 0x4f7ffffe, v4
	v_cvt_u32_f32_e32 v4, v4
	s_add_i32 s24, s6, -1
	v_lshl_or_b32 v0, s15, 7, v0
	s_waitcnt lgkmcnt(0)
	v_mov_b32_e32 v6, s1
	v_mov_b32_e32 v7, s0
	s_mov_b32 s2, 0x3fb8aa3b
	s_mov_b32 s16, 0xc2ce8ed0
	;; [unrolled: 1-line block ×4, first 2 shown]
	v_mov_b32_e32 v5, 0x7f800000
	s_mul_hi_i32 s5, s24, s3
	s_cmp_lg_u64 s[4:5], 0
	s_mul_i32 s8, s24, s3
	s_cbranch_scc0 .LBB29_19
.LBB29_9:
	s_add_u32 s0, s22, 0
	s_addc_u32 s1, 0, 0
	s_xor_b64 s[0:1], s[0:1], 0
	v_cvt_f32_u32_e32 v8, s0
	v_cvt_f32_u32_e32 v9, s1
	s_sub_u32 s9, 0, s0
	s_subb_u32 s25, 0, s1
	v_mac_f32_e32 v8, 0x4f800000, v9
	v_rcp_f32_e32 v8, v8
	v_mul_f32_e32 v8, 0x5f7ffffc, v8
	v_mul_f32_e32 v9, 0x2f800000, v8
	v_trunc_f32_e32 v9, v9
	v_mac_f32_e32 v8, 0xcf800000, v9
	v_cvt_u32_f32_e32 v9, v9
	v_cvt_u32_f32_e32 v8, v8
	v_readfirstlane_b32 s26, v9
	v_readfirstlane_b32 s6, v8
	s_mul_i32 s7, s9, s26
	s_mul_hi_u32 s28, s9, s6
	s_mul_i32 s27, s25, s6
	s_add_i32 s7, s28, s7
	s_mul_i32 s29, s9, s6
	s_add_i32 s7, s7, s27
	s_mul_i32 s28, s6, s7
	s_mul_hi_u32 s30, s6, s29
	s_mul_hi_u32 s27, s6, s7
	s_add_u32 s28, s30, s28
	s_addc_u32 s27, 0, s27
	s_mul_hi_u32 s31, s26, s29
	s_mul_i32 s29, s26, s29
	s_add_u32 s28, s28, s29
	s_mul_hi_u32 s30, s26, s7
	s_addc_u32 s27, s27, s31
	s_addc_u32 s28, s30, 0
	s_mul_i32 s7, s26, s7
	s_add_u32 s7, s27, s7
	s_addc_u32 s27, 0, s28
	s_add_u32 s28, s6, s7
	s_cselect_b64 s[6:7], -1, 0
	s_cmp_lg_u64 s[6:7], 0
	s_addc_u32 s26, s26, s27
	s_mul_i32 s6, s9, s26
	s_mul_hi_u32 s7, s9, s28
	s_add_i32 s6, s7, s6
	s_mul_i32 s25, s25, s28
	s_add_i32 s6, s6, s25
	s_mul_i32 s9, s9, s28
	s_mul_hi_u32 s25, s26, s9
	s_mul_i32 s27, s26, s9
	s_mul_i32 s30, s28, s6
	s_mul_hi_u32 s9, s28, s9
	s_mul_hi_u32 s29, s28, s6
	s_add_u32 s9, s9, s30
	s_addc_u32 s29, 0, s29
	s_add_u32 s9, s9, s27
	s_mul_hi_u32 s7, s26, s6
	s_addc_u32 s9, s29, s25
	s_addc_u32 s7, s7, 0
	s_mul_i32 s6, s26, s6
	s_add_u32 s6, s9, s6
	s_addc_u32 s9, 0, s7
	s_add_u32 s25, s28, s6
	s_cselect_b64 s[6:7], -1, 0
	s_cmp_lg_u64 s[6:7], 0
	s_addc_u32 s9, s26, s9
	s_ashr_i32 s6, s5, 31
	s_add_u32 s26, s8, s6
	s_mov_b32 s7, s6
	s_addc_u32 s27, s5, s6
	s_xor_b64 s[26:27], s[26:27], s[6:7]
	s_mul_i32 s28, s26, s9
	s_mul_hi_u32 s29, s26, s25
	s_mul_hi_u32 s5, s26, s9
	s_add_u32 s28, s29, s28
	s_addc_u32 s5, 0, s5
	s_mul_hi_u32 s30, s27, s25
	s_mul_i32 s25, s27, s25
	s_add_u32 s25, s28, s25
	s_mul_hi_u32 s29, s27, s9
	s_addc_u32 s5, s5, s30
	s_addc_u32 s25, s29, 0
	s_mul_i32 s9, s27, s9
	s_add_u32 s5, s5, s9
	s_addc_u32 s9, 0, s25
	s_mul_i32 s25, s0, s9
	s_mul_hi_u32 s28, s0, s5
	s_add_i32 s25, s28, s25
	s_mul_i32 s28, s1, s5
	s_add_i32 s25, s25, s28
	s_sub_i32 s30, s27, s25
	s_mul_i32 s28, s0, s5
	s_sub_u32 s26, s26, s28
	s_cselect_b64 s[28:29], -1, 0
	s_cmp_lg_u64 s[28:29], 0
	s_subb_u32 s33, s30, s1
	s_sub_u32 s34, s26, s0
	s_cselect_b64 s[30:31], -1, 0
	s_cmp_lg_u64 s[30:31], 0
	s_subb_u32 s30, s33, 0
	s_cmp_ge_u32 s30, s1
	s_cselect_b32 s31, -1, 0
	s_cmp_ge_u32 s34, s0
	s_cselect_b32 s33, -1, 0
	s_cmp_eq_u32 s30, s1
	s_cselect_b32 s30, s33, s31
	s_add_u32 s31, s5, 1
	s_addc_u32 s33, s9, 0
	s_add_u32 s34, s5, 2
	s_addc_u32 s35, s9, 0
	s_cmp_lg_u32 s30, 0
	s_cselect_b32 s30, s34, s31
	s_cselect_b32 s31, s35, s33
	s_cmp_lg_u64 s[28:29], 0
	s_subb_u32 s25, s27, s25
	s_cmp_ge_u32 s25, s1
	s_cselect_b32 s27, -1, 0
	s_cmp_ge_u32 s26, s0
	s_cselect_b32 s0, -1, 0
	s_cmp_eq_u32 s25, s1
	s_cselect_b32 s0, s0, s27
	s_cmp_lg_u32 s0, 0
	s_cselect_b32 s1, s31, s9
	s_cselect_b32 s0, s30, s5
	s_xor_b64 s[6:7], s[6:7], 0
	s_xor_b64 s[0:1], s[0:1], s[6:7]
	s_sub_u32 s6, s0, s6
	s_cbranch_execnz .LBB29_11
.LBB29_10:
	s_sub_i32 s0, 0, s22
	v_readfirstlane_b32 s1, v4
	s_mul_i32 s0, s0, s1
	s_mul_hi_u32 s0, s1, s0
	s_add_i32 s1, s1, s0
	s_mul_hi_u32 s0, s8, s1
	s_mul_i32 s5, s0, s22
	s_sub_i32 s5, s8, s5
	s_add_i32 s1, s0, 1
	s_sub_i32 s6, s5, s22
	s_cmp_ge_u32 s5, s22
	s_cselect_b32 s0, s1, s0
	s_cselect_b32 s5, s6, s5
	s_add_i32 s1, s0, 1
	s_cmp_ge_u32 s5, s22
	s_cselect_b32 s6, s1, s0
.LBB29_11:
	s_cmp_lg_u32 s10, s6
	s_mov_b64 s[8:9], -1
                                        ; implicit-def: $sgpr0_sgpr1
                                        ; implicit-def: $vgpr10
                                        ; implicit-def: $vgpr8
                                        ; implicit-def: $vgpr9
                                        ; implicit-def: $sgpr5
                                        ; implicit-def: $sgpr7
	s_cbranch_scc1 .LBB29_14
; %bb.12:
	s_andn2_b64 vcc, exec, s[8:9]
	s_cbranch_vccz .LBB29_17
.LBB29_13:
	s_andn2_b64 vcc, exec, s[0:1]
	s_cbranch_vccnz .LBB29_18
	s_branch .LBB29_22
.LBB29_14:
	s_add_i32 s0, s24, s22
	s_lshl_b32 s0, s0, 3
	s_add_i32 s0, s0, s15
	s_mov_b32 s1, s4
	s_lshl_b64 s[0:1], s[0:1], 3
	s_add_u32 s8, s18, s0
	s_mul_hi_u32 s0, s6, s12
	s_addc_u32 s9, s19, s1
	s_add_i32 s0, s0, s6
	s_lshr_b32 s5, s0, s13
	s_mul_i32 s0, s5, s14
	s_cmp_eq_u32 s0, s6
	s_cselect_b64 s[0:1], -1, 0
	s_cmp_lt_u32 s5, s11
	s_cselect_b64 s[26:27], -1, 0
	s_or_b64 s[26:27], s[26:27], s[0:1]
	s_mov_b64 s[0:1], -1
	s_and_b64 vcc, exec, s[26:27]
	s_mov_b32 s5, s24
	s_mov_b32 s7, s10
	s_cbranch_vccnz .LBB29_16
; %bb.15:
	s_add_i32 s5, s24, -1
	s_mov_b64 s[0:1], 0
	s_mov_b32 s7, s6
.LBB29_16:
	v_lshl_add_u32 v8, s24, 10, v0
	v_ashrrev_i32_e32 v9, 31, v8
	v_lshlrev_b64 v[8:9], 2, v[8:9]
	v_mov_b32_e32 v10, s21
	v_add_co_u32_e32 v8, vcc, s20, v8
	v_addc_co_u32_e32 v9, vcc, v10, v9, vcc
	global_load_dword v10, v[8:9], off
	s_load_dwordx2 s[8:9], s[8:9], 0x0
	v_max_f32_e32 v8, v7, v7
	s_waitcnt lgkmcnt(0)
	v_max_f32_e64 v9, s8, s8
	v_max_f32_e32 v8, v8, v9
	v_sub_f32_e32 v9, v7, v8
	v_sub_f32_e32 v11, s8, v8
	v_mul_f32_e32 v12, 0x3fb8aa3b, v9
	v_mul_f32_e32 v13, 0x3fb8aa3b, v11
	v_fma_f32 v14, v9, s2, -v12
	v_rndne_f32_e32 v15, v12
	v_fma_f32 v16, v11, s2, -v13
	v_rndne_f32_e32 v17, v13
	v_fmac_f32_e32 v14, 0x32a5705f, v9
	v_sub_f32_e32 v12, v12, v15
	v_fmac_f32_e32 v16, 0x32a5705f, v11
	v_sub_f32_e32 v13, v13, v17
	v_add_f32_e32 v12, v12, v14
	v_cvt_i32_f32_e32 v15, v15
	v_add_f32_e32 v13, v13, v16
	v_exp_f32_e32 v12, v12
	v_cvt_i32_f32_e32 v17, v17
	v_exp_f32_e32 v13, v13
	v_cmp_ngt_f32_e32 vcc, s16, v9
	v_ldexp_f32 v12, v12, v15
	v_cndmask_b32_e32 v12, 0, v12, vcc
	v_ldexp_f32 v13, v13, v17
	v_cmp_ngt_f32_e32 vcc, s16, v11
	v_cndmask_b32_e32 v13, 0, v13, vcc
	v_cmp_nlt_f32_e32 vcc, s17, v9
	v_cndmask_b32_e32 v12, v5, v12, vcc
	v_cmp_nlt_f32_e32 vcc, s17, v11
	v_cndmask_b32_e32 v13, v5, v13, vcc
	v_cmp_le_f32_e32 vcc, s23, v9
	v_cndmask_b32_e32 v12, 0, v12, vcc
	v_cmp_le_f32_e32 vcc, s23, v11
	v_cndmask_b32_e32 v11, 0, v13, vcc
	v_mul_f32_e32 v9, s9, v11
	v_fmac_f32_e32 v9, v6, v12
	s_waitcnt vmcnt(0)
	v_mul_f32_e32 v10, v10, v11
	v_fmac_f32_e32 v10, v3, v12
	s_cbranch_execnz .LBB29_13
.LBB29_17:
	s_add_i32 s5, s24, -1
	s_mov_b32 s7, s10
	v_mov_b32_e32 v9, v6
	v_mov_b32_e32 v8, v7
	s_waitcnt vmcnt(0)
	v_mov_b32_e32 v10, v3
	s_cbranch_execz .LBB29_22
.LBB29_18:
	s_mov_b32 s10, s7
	s_mov_b32 s24, s5
	v_mov_b32_e32 v6, v9
	v_mov_b32_e32 v7, v8
	s_waitcnt vmcnt(0)
	v_mov_b32_e32 v3, v10
	s_mul_hi_i32 s5, s24, s3
	s_cmp_lg_u64 s[4:5], 0
	s_mul_i32 s8, s24, s3
	s_cbranch_scc1 .LBB29_9
.LBB29_19:
                                        ; implicit-def: $sgpr6_sgpr7
	s_branch .LBB29_10
.LBB29_20:
                                        ; implicit-def: $sgpr10_sgpr11
	s_load_dwordx4 s[12:15], s[4:5], 0x44
	s_branch .LBB29_2
.LBB29_21:
                                        ; implicit-def: $sgpr18_sgpr19
	s_branch .LBB29_5
.LBB29_22:
	v_div_scale_f32 v0, s[0:1], v9, v9, v10
	s_waitcnt vmcnt(0)
	v_div_scale_f32 v3, vcc, v10, v9, v10
	v_rcp_f32_e32 v4, v0
	v_fma_f32 v5, -v0, v4, 1.0
	v_fmac_f32_e32 v4, v5, v4
	v_mul_f32_e32 v5, v3, v4
	v_fma_f32 v6, -v0, v5, v3
	v_fmac_f32_e32 v5, v6, v4
	v_fma_f32 v0, -v0, v5, v3
	v_div_fmas_f32 v0, v0, v4, v5
	v_div_fixup_f32 v0, v0, v9, v10
	global_store_dword v[1:2], v0, off
.LBB29_23:
	s_endpgm
	.section	.rodata,"a",@progbits
	.p2align	6, 0x0
	.amdhsa_kernel _ZL33flash_attn_stream_k_fixup_generalILi128ELi2ELi4EEvPfPK15HIP_vector_typeIfLj2EEiiiiS1_IjLj3EES5_S5_S5_
		.amdhsa_group_segment_fixed_size 0
		.amdhsa_private_segment_fixed_size 0
		.amdhsa_kernarg_size 336
		.amdhsa_user_sgpr_count 6
		.amdhsa_user_sgpr_private_segment_buffer 1
		.amdhsa_user_sgpr_dispatch_ptr 0
		.amdhsa_user_sgpr_queue_ptr 0
		.amdhsa_user_sgpr_kernarg_segment_ptr 1
		.amdhsa_user_sgpr_dispatch_id 0
		.amdhsa_user_sgpr_flat_scratch_init 0
		.amdhsa_user_sgpr_private_segment_size 0
		.amdhsa_uses_dynamic_stack 0
		.amdhsa_system_sgpr_private_segment_wavefront_offset 0
		.amdhsa_system_sgpr_workgroup_id_x 1
		.amdhsa_system_sgpr_workgroup_id_y 1
		.amdhsa_system_sgpr_workgroup_id_z 1
		.amdhsa_system_sgpr_workgroup_info 0
		.amdhsa_system_vgpr_workitem_id 0
		.amdhsa_next_free_vgpr 18
		.amdhsa_next_free_sgpr 36
		.amdhsa_reserve_vcc 1
		.amdhsa_reserve_flat_scratch 0
		.amdhsa_float_round_mode_32 0
		.amdhsa_float_round_mode_16_64 0
		.amdhsa_float_denorm_mode_32 3
		.amdhsa_float_denorm_mode_16_64 3
		.amdhsa_dx10_clamp 1
		.amdhsa_ieee_mode 1
		.amdhsa_fp16_overflow 0
		.amdhsa_exception_fp_ieee_invalid_op 0
		.amdhsa_exception_fp_denorm_src 0
		.amdhsa_exception_fp_ieee_div_zero 0
		.amdhsa_exception_fp_ieee_overflow 0
		.amdhsa_exception_fp_ieee_underflow 0
		.amdhsa_exception_fp_ieee_inexact 0
		.amdhsa_exception_int_div_zero 0
	.end_amdhsa_kernel
	.section	.text._ZL33flash_attn_stream_k_fixup_generalILi128ELi2ELi4EEvPfPK15HIP_vector_typeIfLj2EEiiiiS1_IjLj3EES5_S5_S5_,"axG",@progbits,_ZL33flash_attn_stream_k_fixup_generalILi128ELi2ELi4EEvPfPK15HIP_vector_typeIfLj2EEiiiiS1_IjLj3EES5_S5_S5_,comdat
.Lfunc_end29:
	.size	_ZL33flash_attn_stream_k_fixup_generalILi128ELi2ELi4EEvPfPK15HIP_vector_typeIfLj2EEiiiiS1_IjLj3EES5_S5_S5_, .Lfunc_end29-_ZL33flash_attn_stream_k_fixup_generalILi128ELi2ELi4EEvPfPK15HIP_vector_typeIfLj2EEiiiiS1_IjLj3EES5_S5_S5_
                                        ; -- End function
	.set _ZL33flash_attn_stream_k_fixup_generalILi128ELi2ELi4EEvPfPK15HIP_vector_typeIfLj2EEiiiiS1_IjLj3EES5_S5_S5_.num_vgpr, 18
	.set _ZL33flash_attn_stream_k_fixup_generalILi128ELi2ELi4EEvPfPK15HIP_vector_typeIfLj2EEiiiiS1_IjLj3EES5_S5_S5_.num_agpr, 0
	.set _ZL33flash_attn_stream_k_fixup_generalILi128ELi2ELi4EEvPfPK15HIP_vector_typeIfLj2EEiiiiS1_IjLj3EES5_S5_S5_.numbered_sgpr, 36
	.set _ZL33flash_attn_stream_k_fixup_generalILi128ELi2ELi4EEvPfPK15HIP_vector_typeIfLj2EEiiiiS1_IjLj3EES5_S5_S5_.num_named_barrier, 0
	.set _ZL33flash_attn_stream_k_fixup_generalILi128ELi2ELi4EEvPfPK15HIP_vector_typeIfLj2EEiiiiS1_IjLj3EES5_S5_S5_.private_seg_size, 0
	.set _ZL33flash_attn_stream_k_fixup_generalILi128ELi2ELi4EEvPfPK15HIP_vector_typeIfLj2EEiiiiS1_IjLj3EES5_S5_S5_.uses_vcc, 1
	.set _ZL33flash_attn_stream_k_fixup_generalILi128ELi2ELi4EEvPfPK15HIP_vector_typeIfLj2EEiiiiS1_IjLj3EES5_S5_S5_.uses_flat_scratch, 0
	.set _ZL33flash_attn_stream_k_fixup_generalILi128ELi2ELi4EEvPfPK15HIP_vector_typeIfLj2EEiiiiS1_IjLj3EES5_S5_S5_.has_dyn_sized_stack, 0
	.set _ZL33flash_attn_stream_k_fixup_generalILi128ELi2ELi4EEvPfPK15HIP_vector_typeIfLj2EEiiiiS1_IjLj3EES5_S5_S5_.has_recursion, 0
	.set _ZL33flash_attn_stream_k_fixup_generalILi128ELi2ELi4EEvPfPK15HIP_vector_typeIfLj2EEiiiiS1_IjLj3EES5_S5_S5_.has_indirect_call, 0
	.section	.AMDGPU.csdata,"",@progbits
; Kernel info:
; codeLenInByte = 2940
; TotalNumSgprs: 40
; NumVgprs: 18
; ScratchSize: 0
; MemoryBound: 0
; FloatMode: 240
; IeeeMode: 1
; LDSByteSize: 0 bytes/workgroup (compile time only)
; SGPRBlocks: 4
; VGPRBlocks: 4
; NumSGPRsForWavesPerEU: 40
; NumVGPRsForWavesPerEU: 18
; Occupancy: 10
; WaveLimiterHint : 0
; COMPUTE_PGM_RSRC2:SCRATCH_EN: 0
; COMPUTE_PGM_RSRC2:USER_SGPR: 6
; COMPUTE_PGM_RSRC2:TRAP_HANDLER: 0
; COMPUTE_PGM_RSRC2:TGID_X_EN: 1
; COMPUTE_PGM_RSRC2:TGID_Y_EN: 1
; COMPUTE_PGM_RSRC2:TGID_Z_EN: 1
; COMPUTE_PGM_RSRC2:TIDIG_COMP_CNT: 0
	.section	.text._ZL15flash_attn_tileILi128ELi128ELi1ELi4ELb0EEvPKcS1_S1_S1_S1_PKiPfP15HIP_vector_typeIfLj2EEffffjfiS5_IjLj3EEiiiiiiiiiiiliiliiiiil,"axG",@progbits,_ZL15flash_attn_tileILi128ELi128ELi1ELi4ELb0EEvPKcS1_S1_S1_S1_PKiPfP15HIP_vector_typeIfLj2EEffffjfiS5_IjLj3EEiiiiiiiiiiiliiliiiiil,comdat
	.globl	_ZL15flash_attn_tileILi128ELi128ELi1ELi4ELb0EEvPKcS1_S1_S1_S1_PKiPfP15HIP_vector_typeIfLj2EEffffjfiS5_IjLj3EEiiiiiiiiiiiliiliiiiil ; -- Begin function _ZL15flash_attn_tileILi128ELi128ELi1ELi4ELb0EEvPKcS1_S1_S1_S1_PKiPfP15HIP_vector_typeIfLj2EEffffjfiS5_IjLj3EEiiiiiiiiiiiliiliiiiil
	.p2align	8
	.type	_ZL15flash_attn_tileILi128ELi128ELi1ELi4ELb0EEvPKcS1_S1_S1_S1_PKiPfP15HIP_vector_typeIfLj2EEffffjfiS5_IjLj3EEiiiiiiiiiiiliiliiiiil,@function
_ZL15flash_attn_tileILi128ELi128ELi1ELi4ELb0EEvPKcS1_S1_S1_S1_PKiPfP15HIP_vector_typeIfLj2EEffffjfiS5_IjLj3EEiiiiiiiiiiiliiliiiiil: ; @_ZL15flash_attn_tileILi128ELi128ELi1ELi4ELb0EEvPKcS1_S1_S1_S1_PKiPfP15HIP_vector_typeIfLj2EEffffjfiS5_IjLj3EEiiiiiiiiiiiliiliiiiil
; %bb.0:
	s_load_dwordx4 s[28:31], s[4:5], 0x5c
	s_load_dwordx2 s[34:35], s[4:5], 0x80
	s_mov_b64 s[50:51], s[2:3]
	s_mov_b64 s[48:49], s[0:1]
	s_add_u32 s48, s48, s9
	s_addc_u32 s49, s49, 0
	s_waitcnt lgkmcnt(0)
	s_ashr_i32 s0, s31, 31
	s_lshr_b32 s0, s0, 30
	s_add_i32 s0, s31, s0
	s_ashr_i32 s0, s0, 2
	v_cvt_f32_u32_e32 v2, s0
	s_sub_i32 s1, 0, s0
	s_load_dwordx16 s[12:27], s[4:5], 0x0
	v_mov_b32_e32 v26, v0
	v_rcp_iflag_f32_e32 v2, v2
	s_mov_b64 s[36:37], 0
	v_mul_f32_e32 v2, 0x4f7ffffe, v2
	v_cvt_u32_f32_e32 v2, v2
	v_readfirstlane_b32 s2, v2
	s_mul_i32 s1, s1, s2
	s_mul_hi_u32 s1, s2, s1
	s_add_i32 s2, s2, s1
	s_mul_hi_u32 s1, s8, s2
	s_mul_i32 s2, s1, s0
	s_sub_i32 s2, s8, s2
	s_add_i32 s3, s1, 1
	s_sub_i32 s9, s2, s0
	s_cmp_ge_u32 s2, s0
	s_cselect_b32 s1, s3, s1
	s_cselect_b32 s2, s9, s2
	s_add_i32 s3, s1, 1
	s_cmp_ge_u32 s2, s0
	s_cselect_b32 s33, s3, s1
	s_abs_i32 s0, s35
	v_cvt_f32_u32_e32 v2, s0
	s_lshl_b32 s1, s8, 2
	s_mul_i32 s8, s33, s31
	s_xor_b32 s2, s31, s35
	v_rcp_iflag_f32_e32 v2, v2
	s_sub_i32 s9, 0, s0
	s_sub_i32 s35, s1, s8
	s_abs_i32 s3, s31
	v_mul_f32_e32 v2, 0x4f7ffffe, v2
	v_cvt_u32_f32_e32 v2, v2
	s_ashr_i32 s2, s2, 31
	v_readfirstlane_b32 s1, v2
	s_mul_i32 s9, s9, s1
	s_mul_hi_u32 s8, s1, s9
	s_add_i32 s1, s1, s8
	s_mul_hi_u32 s1, s3, s1
	s_mul_i32 s8, s1, s0
	s_sub_i32 s3, s3, s8
	s_add_i32 s9, s1, 1
	s_sub_i32 s8, s3, s0
	s_cmp_ge_u32 s3, s0
	s_cselect_b32 s1, s9, s1
	s_cselect_b32 s3, s8, s3
	s_add_i32 s8, s1, 1
	s_cmp_ge_u32 s3, s0
	s_cselect_b32 s0, s8, s1
	s_xor_b32 s0, s0, s2
	s_sub_i32 s11, s0, s2
	s_abs_i32 s10, s11
	v_cvt_f32_u32_e32 v2, s10
	s_load_dwordx2 s[8:9], s[4:5], 0xb8
	s_waitcnt lgkmcnt(0)
	s_cmp_eq_u64 s[18:19], 0
	v_rcp_iflag_f32_e32 v2, v2
	v_mul_f32_e32 v2, 0x4f7ffffe, v2
	v_cvt_u32_f32_e32 v2, v2
	v_readfirstlane_b32 s38, v2
	s_cbranch_scc1 .LBB30_2
; %bb.1:
	s_abs_i32 s2, s8
	v_cvt_f32_u32_e32 v2, s2
	s_sub_i32 s36, 0, s2
	s_abs_i32 s8, s33
	s_ashr_i32 s3, s33, 31
	v_rcp_iflag_f32_e32 v2, v2
	s_load_dwordx2 s[0:1], s[4:5], 0xc8
	v_mul_f32_e32 v2, 0x4f7ffffe, v2
	v_cvt_u32_f32_e32 v2, v2
	v_readfirstlane_b32 s37, v2
	s_mul_i32 s36, s36, s37
	s_mul_hi_u32 s36, s37, s36
	s_add_i32 s37, s37, s36
	s_mul_hi_u32 s36, s8, s37
	s_mul_i32 s36, s36, s2
	s_sub_i32 s8, s8, s36
	s_sub_i32 s36, s8, s2
	s_cmp_ge_u32 s8, s2
	s_cselect_b32 s8, s36, s8
	s_sub_i32 s36, s8, s2
	s_cmp_ge_u32 s8, s2
	s_cselect_b32 s2, s36, s8
	s_xor_b32 s2, s2, s3
	s_sub_i32 s2, s2, s3
	s_ashr_i32 s3, s2, 31
	s_waitcnt lgkmcnt(0)
	s_mul_hi_u32 s8, s0, s2
	s_mul_i32 s3, s0, s3
	s_mul_i32 s1, s1, s2
	s_add_i32 s3, s8, s3
	s_add_i32 s3, s3, s1
	s_mul_i32 s0, s0, s2
	s_add_u32 s36, s18, s0
	s_addc_u32 s37, s19, s3
.LBB30_2:
	s_load_dwordx4 s[0:3], s[4:5], 0x70
	v_lshrrev_b32_e32 v2, 2, v1
	v_add_u32_e32 v10, s6, v2
	v_mul_hi_u32 v2, s28, v10
	v_and_b32_e32 v0, 3, v1
	s_waitcnt lgkmcnt(0)
	s_mul_i32 s2, s33, s2
	s_ashr_i32 s8, s2, 31
	s_mul_i32 s3, s35, s1
	s_add_u32 s2, s12, s2
	v_add_u32_e32 v2, v10, v2
	s_addc_u32 s8, s13, s8
	s_ashr_i32 s12, s3, 31
	v_lshrrev_b32_e32 v2, s29, v2
	s_add_u32 s18, s2, s3
	v_mul_lo_u32 v2, v2, s30
	s_addc_u32 s8, s8, s12
	s_ashr_i32 s3, s1, 31
	s_mov_b32 s2, s1
	s_lshr_b64 s[12:13], s[2:3], 2
	v_mad_u64_u32 v[3:4], s[12:13], s12, v0, 0
	s_ashr_i32 s1, s0, 31
	v_sub_u32_e32 v2, v10, v2
	s_lshr_b64 s[12:13], s[0:1], 2
	v_mad_u64_u32 v[5:6], s[12:13], s12, v2, 0
	s_lshr_b32 s0, s3, 2
	v_lshlrev_b32_e32 v42, 3, v26
	v_mad_u64_u32 v[7:8], s[2:3], s0, v0, v[4:5]
	v_mov_b32_e32 v4, v6
	s_lshr_b32 s0, s1, 2
	v_mad_u64_u32 v[8:9], s[0:1], s0, v2, v[4:5]
	v_mov_b32_e32 v4, v7
	v_lshlrev_b64 v[3:4], 2, v[3:4]
	v_mov_b32_e32 v6, v8
	v_mov_b32_e32 v7, s8
	v_add_co_u32_e32 v8, vcc, s18, v3
	v_addc_co_u32_e32 v7, vcc, v7, v4, vcc
	v_lshlrev_b64 v[3:4], 2, v[5:6]
	v_lshlrev_b32_e32 v5, 4, v26
	v_add_co_u32_e32 v3, vcc, v8, v3
	v_addc_co_u32_e32 v4, vcc, v7, v4, vcc
	v_add_co_u32_e32 v3, vcc, v3, v5
	v_addc_co_u32_e32 v4, vcc, 0, v4, vcc
	global_load_dwordx4 v[3:6], v[3:4], off
	s_load_dword s0, s[4:5], 0x40
	v_mov_b32_e32 v7, 0x4400
	v_lshl_add_u32 v43, v1, 8, v7
	v_add_u32_e32 v7, v43, v42
	s_cmp_eq_u64 s[22:23], 0
	s_waitcnt vmcnt(0) lgkmcnt(0)
	v_fma_mixlo_f16 v3, s0, v3, 0
	v_fma_mixlo_f16 v4, s0, v4, 0
	v_fma_mixlo_f16 v5, s0, v5, 0
	v_fma_mixlo_f16 v6, s0, v6, 0
	v_lshlrev_b32_e32 v4, 16, v4
	v_and_b32_e32 v3, 0xffff, v3
	v_lshlrev_b32_e32 v6, 16, v6
	v_and_b32_e32 v5, 0xffff, v5
	v_or_b32_e32 v3, v4, v3
	v_or3_b32 v4, v6, v5, 0
	v_or3_b32 v3, 0, 0, v3
	ds_write_b64 v7, v[3:4]
	s_waitcnt lgkmcnt(0)
	s_barrier
	s_cbranch_scc1 .LBB30_4
; %bb.3:
	s_load_dword s0, s[4:5], 0xd0
	s_mov_b32 s1, 0
	s_waitcnt lgkmcnt(0)
	s_mul_i32 s0, s0, s33
	s_add_i32 s0, s0, s6
	s_lshl_b64 s[0:1], s[0:1], 2
	s_add_u32 s0, s22, s0
	s_addc_u32 s1, s23, s1
	s_load_dword s34, s[0:1], 0x0
.LBB30_4:
	s_lshl_b32 s6, s7, 6
	s_waitcnt lgkmcnt(0)
	s_cmp_lt_i32 s6, s34
	v_mbcnt_lo_u32_b32 v3, -1, 0
	s_cbranch_scc1 .LBB30_7
; %bb.5:
	v_mbcnt_hi_u32_b32 v45, -1, v3
	v_and_b32_e32 v4, 0x60, v45
	v_add_u32_e32 v47, 32, v4
	v_xor_b32_e32 v58, 16, v45
	v_xor_b32_e32 v55, 8, v45
	;; [unrolled: 1-line block ×5, first 2 shown]
	v_lshlrev_b32_e32 v11, 2, v26
	s_cbranch_execz .LBB30_8
; %bb.6:
	v_mov_b32_e32 v81, 0
	v_mov_b32_e32 v82, 0
	;; [unrolled: 1-line block ×4, first 2 shown]
	s_branch .LBB30_11
.LBB30_7:
                                        ; implicit-def: $vgpr45
                                        ; implicit-def: $vgpr47
                                        ; implicit-def: $vgpr58
                                        ; implicit-def: $vgpr55
                                        ; implicit-def: $vgpr53
                                        ; implicit-def: $vgpr51
                                        ; implicit-def: $vgpr52
	v_lshlrev_b32_e32 v11, 2, v26
.LBB30_8:
	s_sub_i32 s0, 0, s10
	s_mul_i32 s0, s0, s38
	buffer_store_dword v0, off, s[48:51], 0 offset:12 ; 4-byte Folded Spill
	buffer_store_dword v10, off, s[48:51], 0 offset:8 ; 4-byte Folded Spill
	s_mul_hi_u32 s0, s38, s0
	s_add_i32 s38, s38, s0
	s_load_dwordx2 s[12:13], s[4:5], 0x8c
	s_load_dwordx4 s[0:3], s[4:5], 0x98
	s_abs_i32 s8, s35
	s_mul_hi_u32 s28, s8, s38
	s_ashr_i32 s29, s35, 31
	s_waitcnt lgkmcnt(0)
	s_ashr_i32 s23, s12, 2
	s_ashr_i32 s22, s2, 2
	;; [unrolled: 1-line block ×4, first 2 shown]
	s_mul_hi_u32 s12, s0, s33
	s_mul_i32 s38, s0, s9
	s_add_i32 s12, s12, s38
	s_mul_i32 s1, s1, s33
	s_ashr_i32 s11, s11, 31
	s_add_i32 s12, s12, s1
	s_mul_i32 s0, s0, s33
	s_add_u32 s0, s14, s0
	s_addc_u32 s1, s15, s12
	s_mul_i32 s12, s28, s10
	s_sub_i32 s8, s8, s12
	s_xor_b32 s11, s29, s11
	s_add_i32 s12, s28, 1
	s_sub_i32 s14, s8, s10
	s_cmp_ge_u32 s8, s10
	s_cselect_b32 s12, s12, s28
	s_cselect_b32 s8, s14, s8
	s_add_i32 s14, s12, 1
	s_cmp_ge_u32 s8, s10
	s_cselect_b32 s8, s14, s12
	s_load_dwordx2 s[18:19], s[4:5], 0xa8
	s_xor_b32 s8, s8, s11
	s_sub_i32 s8, s8, s11
	s_mul_i32 s10, s8, s13
	s_ashr_i32 s11, s10, 31
	s_add_u32 s28, s0, s10
	s_addc_u32 s29, s1, s11
	s_waitcnt lgkmcnt(0)
	s_mul_hi_u32 s0, s18, s33
	s_mul_i32 s1, s18, s9
	s_add_i32 s0, s0, s1
	s_mul_i32 s1, s19, s33
	s_add_i32 s0, s0, s1
	s_mul_i32 s1, s18, s33
	v_lshrrev_b32_e32 v4, 4, v26
	s_add_u32 s1, s16, s1
	s_mul_i32 s8, s8, s3
	v_lshl_add_u32 v4, v1, 1, v4
	s_addc_u32 s0, s17, s0
	s_ashr_i32 s3, s8, 31
	v_mul_lo_u32 v7, s23, v4
	s_add_u32 s38, s1, s8
	v_and_b32_e32 v25, 60, v11
	s_addc_u32 s39, s0, s3
	v_lshlrev_b32_e32 v24, 2, v25
	s_movk_i32 s0, 0x110
	v_mad_u32_u24 v44, v4, s0, v24
	s_lshl_b32 s0, s23, 3
	v_add_u32_e32 v9, s0, v7
	buffer_store_dword v11, off, s[48:51], 0 offset:16 ; 4-byte Folded Spill
	v_add_u32_e32 v11, s0, v9
	v_add_u32_e32 v13, s0, v11
	;; [unrolled: 1-line block ×5, first 2 shown]
	v_mul_lo_u32 v23, s22, v4
	v_add_u32_e32 v21, s0, v19
	v_mad_u64_u32 v[5:6], s[0:1], v2, s2, v[26:27]
	v_mov_b32_e32 v2, 0x4800
	v_lshl_add_u32 v60, v1, 7, v2
	v_mov_b32_e32 v1, v26
	buffer_store_dword v1, off, s[48:51], 0 ; 4-byte Folded Spill
	s_nop 0
	buffer_store_dword v2, off, s[48:51], 0 offset:4 ; 4-byte Folded Spill
	s_lshl_b32 s0, s22, 3
	v_add_u32_e32 v1, s0, v23
	v_mul_u32_u24_e32 v59, 0x110, v26
	v_lshl_add_u32 v61, v26, 1, v60
	v_add_u32_e32 v26, s0, v1
	v_add_u32_e32 v28, s0, v26
	;; [unrolled: 1-line block ×6, first 2 shown]
	v_ashrrev_i32_e32 v8, 31, v7
	v_ashrrev_i32_e32 v10, 31, v9
	;; [unrolled: 1-line block ×8, first 2 shown]
	v_lshl_or_b32 v62, v4, 8, v24
	v_ashrrev_i32_e32 v24, 31, v23
	v_ashrrev_i32_e32 v2, 31, v1
	;; [unrolled: 1-line block ×8, first 2 shown]
	v_mbcnt_hi_u32_b32 v45, -1, v3
	s_add_u32 s18, s4, 0xd0
	v_lshlrev_b64 v[6:7], 2, v[7:8]
	v_lshlrev_b32_e32 v70, 2, v25
	v_lshlrev_b64 v[8:9], 2, v[9:10]
	v_lshlrev_b64 v[10:11], 2, v[11:12]
	;; [unrolled: 1-line block ×15, first 2 shown]
	v_and_b32_e32 v1, 0x60, v45
	v_mov_b32_e32 v80, 0
	v_add_u32_e32 v0, 0x880, v44
	v_add_u32_e32 v48, 0x1100, v44
	;; [unrolled: 1-line block ×14, first 2 shown]
	s_addc_u32 s19, s5, 0
	v_mov_b32_e32 v38, 0xfeffffff
	s_mov_b32 s40, 0x3fb8aa3b
	s_mov_b32 s41, 0xc2ce8ed0
	s_mov_b32 s42, 0x42b17218
	s_mov_b32 s43, 0x10001
	v_add_u32_e32 v47, 32, v1
	v_xor_b32_e32 v58, 16, v45
	v_xor_b32_e32 v55, 8, v45
	;; [unrolled: 1-line block ×5, first 2 shown]
	v_mov_b32_e32 v71, s37
	v_mov_b32_e32 v72, 0x7f800000
	v_add_u32_e32 v73, 0x800, v42
	v_add_u32_e32 v74, 0x1000, v42
	;; [unrolled: 1-line block ×7, first 2 shown]
	v_mov_b32_e32 v81, 0
	v_mov_b32_e32 v82, 0
.LBB30_9:                               ; =>This Inner Loop Header: Depth=1
	v_cmp_lt_i32_e32 vcc, v58, v47
	v_add_u32_e32 v1, s6, v5
	v_cndmask_b32_e32 v84, v45, v58, vcc
	v_cmp_lt_i32_e32 vcc, v55, v47
	s_mul_hi_i32 s1, s6, s23
	s_mul_i32 s0, s6, s23
	v_cndmask_b32_e32 v85, v45, v55, vcc
	v_cmp_lt_i32_e32 vcc, v53, v47
	v_ashrrev_i32_e32 v2, 31, v1
	v_cndmask_b32_e32 v88, v45, v53, vcc
	v_cmp_lt_i32_e32 vcc, v51, v47
	s_lshl_b64 s[0:1], s[0:1], 2
	v_lshlrev_b64 v[1:2], 1, v[1:2]
	v_cndmask_b32_e32 v89, v45, v51, vcc
	v_cmp_lt_i32_e32 vcc, v52, v47
	s_add_u32 s37, s28, s0
	v_cndmask_b32_e32 v90, v45, v52, vcc
	s_addc_u32 s14, s29, s1
	v_add_co_u32_e64 v1, s[16:17], s36, v1
	v_mov_b32_e32 v83, v82
	s_mul_hi_i32 s3, s6, s22
	s_mul_i32 s2, s6, s22
	v_lshlrev_b32_e32 v87, 2, v84
	v_lshlrev_b32_e32 v84, 2, v89
	;; [unrolled: 1-line block ×3, first 2 shown]
	v_mov_b32_e32 v89, s14
	v_add_co_u32_e32 v90, vcc, s37, v8
	v_addc_co_u32_e64 v2, s[16:17], v71, v2, s[16:17]
	v_lshlrev_b32_e32 v86, 2, v85
	v_lshlrev_b32_e32 v85, 2, v88
	s_lshl_b64 s[44:45], s[2:3], 2
	v_mov_b32_e32 v88, s14
	v_mov_b32_e32 v91, s14
	v_add_co_u32_e64 v93, s[0:1], s37, v10
	v_mov_b32_e32 v94, s14
	v_add_co_u32_e64 v95, s[2:3], s37, v12
	;; [unrolled: 2-line block ×3, first 2 shown]
	v_add_co_u32_e64 v109, s[16:17], s37, v6
	v_addc_co_u32_e32 v111, vcc, v89, v9, vcc
	v_mov_b32_e32 v99, s14
	v_add_co_u32_e64 v101, s[10:11], s37, v16
	v_mov_b32_e32 v103, s14
	v_add_co_u32_e64 v105, s[12:13], s37, v18
	;; [unrolled: 2-line block ×3, first 2 shown]
	v_addc_co_u32_e64 v110, s[16:17], v88, v7, s[16:17]
	v_add_co_u32_e32 v92, vcc, v90, v70
	v_addc_co_u32_e64 v90, s[0:1], v91, v11, s[0:1]
	v_addc_co_u32_e64 v91, s[2:3], v94, v13, s[2:3]
	;; [unrolled: 1-line block ×3, first 2 shown]
	v_add_co_u32_e64 v96, s[0:1], v93, v70
	v_add_co_u32_e64 v100, s[2:3], v95, v70
	;; [unrolled: 1-line block ×3, first 2 shown]
	v_addc_co_u32_e64 v95, s[10:11], v99, v17, s[10:11]
	v_addc_co_u32_e64 v98, s[12:13], v103, v19, s[12:13]
	;; [unrolled: 1-line block ×3, first 2 shown]
	v_add_co_u32_e64 v88, s[16:17], v109, v70
	v_add_co_u32_e64 v104, s[10:11], v101, v70
	;; [unrolled: 1-line block ×4, first 2 shown]
	v_addc_co_u32_e64 v89, s[16:17], 0, v110, s[16:17]
	v_addc_co_u32_e32 v93, vcc, 0, v111, vcc
	v_addc_co_u32_e64 v97, vcc, 0, v90, s[0:1]
	v_addc_co_u32_e64 v101, vcc, 0, v91, s[2:3]
	;; [unrolled: 1-line block ×6, first 2 shown]
	global_load_dwordx4 v[88:91], v[88:89], off
	s_nop 0
	global_load_dwordx4 v[92:95], v[92:93], off
	s_nop 0
	global_load_dwordx4 v[96:99], v[96:97], off
	v_mov_b32_e32 v4, 0
	v_mov_b32_e32 v3, v38
	;; [unrolled: 1-line block ×3, first 2 shown]
	s_add_u32 s44, s38, s44
	s_addc_u32 s37, s39, s45
	v_mov_b32_e32 v110, s37
	v_add_co_u32_e32 v111, vcc, s44, v22
	v_mov_b32_e32 v114, s37
	v_add_co_u32_e64 v115, s[2:3], s44, v26
	v_mov_b32_e32 v112, s37
	v_add_co_u32_e64 v113, s[0:1], s44, v24
	;; [unrolled: 2-line block ×7, first 2 shown]
	s_waitcnt vmcnt(2)
	ds_write_b128 v44, v[88:91]
	global_load_dwordx4 v[88:91], v[100:101], off
	s_nop 0
	global_load_dwordx4 v[100:103], v[102:103], off
	s_waitcnt vmcnt(3)
	ds_write_b128 v0, v[92:95]
	global_load_dwordx4 v[92:95], v[104:105], off
	s_nop 0
	global_load_dwordx4 v[104:107], v[106:107], off
	s_waitcnt vmcnt(4)
	ds_write_b128 v48, v[96:99]
	global_load_dwordx4 v[96:99], v[108:109], off
	s_waitcnt vmcnt(4)
	ds_write_b128 v49, v[88:91]
	s_waitcnt vmcnt(3)
	ds_write_b128 v50, v[100:103]
	s_waitcnt vmcnt(2)
	ds_write_b128 v54, v[92:95]
	s_waitcnt vmcnt(1)
	ds_write_b128 v56, v[104:107]
	s_waitcnt vmcnt(0)
	ds_write_b128 v57, v[96:99]
	s_waitcnt lgkmcnt(0)
	s_barrier
	ds_read_b128 v[88:91], v59
	ds_read_b128 v[92:95], v43
	ds_read_b128 v[96:99], v59 offset:8704
	s_waitcnt lgkmcnt(1)
	;;#ASMSTART
	v_dot2_f32_f16 v4, v88, v92, v4
	;;#ASMEND
	;;#ASMSTART
	v_dot2_f32_f16 v4, v89, v93, v4
	;;#ASMEND
	;;#ASMSTART
	v_dot2_f32_f16 v4, v90, v94, v4
	;;#ASMEND
	;;#ASMSTART
	v_dot2_f32_f16 v4, v91, v95, v4
	;;#ASMEND
	s_waitcnt lgkmcnt(0)
	;;#ASMSTART
	v_dot2_f32_f16 v38, v96, v92, v38
	;;#ASMEND
	;;#ASMSTART
	v_dot2_f32_f16 v38, v97, v93, v38
	;;#ASMEND
	;;#ASMSTART
	v_dot2_f32_f16 v38, v98, v94, v38
	;;#ASMEND
	;;#ASMSTART
	v_dot2_f32_f16 v38, v99, v95, v38
	;;#ASMEND
	ds_read_b128 v[88:91], v59 offset:16
	ds_read_b128 v[92:95], v43 offset:16
	ds_read_b128 v[96:99], v59 offset:8720
	s_waitcnt lgkmcnt(1)
	;;#ASMSTART
	v_dot2_f32_f16 v4, v88, v92, v4
	;;#ASMEND
	;;#ASMSTART
	v_dot2_f32_f16 v4, v89, v93, v4
	;;#ASMEND
	;;#ASMSTART
	v_dot2_f32_f16 v4, v90, v94, v4
	;;#ASMEND
	;;#ASMSTART
	v_dot2_f32_f16 v4, v91, v95, v4
	;;#ASMEND
	s_waitcnt lgkmcnt(0)
	;;#ASMSTART
	v_dot2_f32_f16 v38, v96, v92, v38
	;;#ASMEND
	;;#ASMSTART
	v_dot2_f32_f16 v38, v97, v93, v38
	;;#ASMEND
	;;#ASMSTART
	v_dot2_f32_f16 v38, v98, v94, v38
	;;#ASMEND
	;;#ASMSTART
	v_dot2_f32_f16 v38, v99, v95, v38
	;;#ASMEND
	ds_read_b128 v[88:91], v59 offset:32
	ds_read_b128 v[92:95], v43 offset:32
	;; [unrolled: 29-line block ×15, first 2 shown]
	ds_read_b128 v[96:99], v59 offset:8944
	v_addc_co_u32_e32 v109, vcc, v110, v23, vcc
	v_addc_co_u32_e64 v127, vcc, v114, v27, s[2:3]
	v_add_co_u32_e64 v108, s[2:3], v111, v70
	v_addc_co_u32_e64 v109, s[2:3], 0, v109, s[2:3]
	v_addc_co_u32_e64 v126, vcc, v112, v25, s[0:1]
	v_add_co_u32_e64 v110, s[2:3], v113, v70
	v_addc_co_u32_e64 v111, s[2:3], 0, v126, s[2:3]
	s_waitcnt lgkmcnt(1)
	;;#ASMSTART
	v_dot2_f32_f16 v4, v88, v92, v4
	;;#ASMEND
	v_add_co_u32_e64 v114, s[2:3], v115, v70
	;;#ASMSTART
	v_dot2_f32_f16 v4, v89, v93, v4
	;;#ASMEND
	v_addc_co_u32_e64 v115, s[2:3], 0, v127, s[2:3]
	;;#ASMSTART
	v_dot2_f32_f16 v4, v90, v94, v4
	;;#ASMEND
	v_addc_co_u32_e64 v41, vcc, v116, v29, s[8:9]
	v_addc_co_u32_e64 v39, vcc, v118, v31, s[10:11]
	v_add_co_u32_e64 v118, s[2:3], v117, v70
	;;#ASMSTART
	v_dot2_f32_f16 v4, v91, v95, v4
	;;#ASMEND
	s_waitcnt lgkmcnt(0)
	;;#ASMSTART
	v_dot2_f32_f16 v38, v96, v92, v38
	;;#ASMEND
	v_addc_co_u32_e64 v40, vcc, v119, v33, s[12:13]
	v_addc_co_u32_e64 v119, s[2:3], 0, v41, s[2:3]
	;;#ASMSTART
	v_dot2_f32_f16 v38, v97, v93, v38
	;;#ASMEND
	v_add_co_u32_e64 v120, s[2:3], v120, v70
	;;#ASMSTART
	v_dot2_f32_f16 v38, v98, v94, v38
	;;#ASMEND
	v_addc_co_u32_e64 v46, vcc, v121, v35, s[14:15]
	v_addc_co_u32_e64 v121, s[2:3], 0, v39, s[2:3]
	;;#ASMSTART
	v_dot2_f32_f16 v38, v99, v95, v38
	;;#ASMEND
	global_load_ushort v39, v[1:2], off
	s_nop 0
	global_load_ushort v1, v[1:2], off offset:64
	v_addc_co_u32_e64 v124, s[0:1], v124, v37, s[16:17]
	v_add_co_u32_e32 v112, vcc, v123, v70
	v_add_co_u32_e64 v116, s[0:1], v125, v70
	v_add_co_u32_e64 v122, s[2:3], v122, v70
	v_addc_co_u32_e32 v113, vcc, 0, v46, vcc
	v_addc_co_u32_e64 v117, vcc, 0, v124, s[0:1]
	v_addc_co_u32_e64 v123, s[2:3], 0, v40, s[2:3]
	s_waitcnt vmcnt(0)
	s_barrier
	global_load_dwordx4 v[88:91], v[108:109], off
	global_load_dwordx4 v[92:95], v[110:111], off
	;; [unrolled: 1-line block ×5, first 2 shown]
	s_nop 0
	global_load_dwordx4 v[108:111], v[122:123], off
	s_nop 0
	global_load_dwordx4 v[112:115], v[112:113], off
	;; [unrolled: 2-line block ×3, first 2 shown]
	v_cvt_f32_f16_e32 v2, v39
	v_cvt_f32_f16_e32 v1, v1
	v_add_f32_e32 v2, v4, v2
	v_add_f32_e32 v1, v38, v1
	;; [unrolled: 1-line block ×4, first 2 shown]
	v_max3_f32 v4, v3, v4, v38
	ds_bpermute_b32 v38, v87, v4
	s_waitcnt lgkmcnt(0)
	v_max_f32_e32 v38, v38, v38
	v_max_f32_e32 v4, v4, v38
	ds_bpermute_b32 v38, v86, v4
	s_waitcnt lgkmcnt(0)
	v_max_f32_e32 v38, v38, v38
	v_max_f32_e32 v4, v4, v38
	ds_bpermute_b32 v38, v85, v4
	s_waitcnt lgkmcnt(0)
	v_max_f32_e32 v38, v38, v38
	v_max_f32_e32 v4, v4, v38
	ds_bpermute_b32 v38, v84, v4
	s_waitcnt lgkmcnt(0)
	v_max_f32_e32 v38, v38, v38
	v_max_f32_e32 v4, v4, v38
	ds_bpermute_b32 v38, v82, v4
	s_waitcnt lgkmcnt(0)
	v_max_f32_e32 v38, v38, v38
	v_max_f32_e32 v38, v4, v38
	v_sub_f32_e32 v3, v3, v38
	v_sub_f32_e32 v2, v2, v38
	;; [unrolled: 1-line block ×3, first 2 shown]
	v_mul_f32_e32 v4, 0x3fb8aa3b, v2
	v_mul_f32_e32 v39, 0x3fb8aa3b, v1
	v_mul_f32_e32 v40, 0x3fb8aa3b, v3
	v_fma_f32 v41, v2, s40, -v4
	v_rndne_f32_e32 v46, v4
	v_fma_f32 v82, v1, s40, -v39
	v_rndne_f32_e32 v84, v39
	;; [unrolled: 2-line block ×3, first 2 shown]
	v_fmac_f32_e32 v41, 0x32a5705f, v2
	v_sub_f32_e32 v4, v4, v46
	v_fmac_f32_e32 v82, 0x32a5705f, v1
	v_sub_f32_e32 v39, v39, v84
	;; [unrolled: 2-line block ×3, first 2 shown]
	v_add_f32_e32 v4, v4, v41
	v_add_f32_e32 v39, v39, v82
	v_add_f32_e32 v40, v40, v85
	v_cvt_i32_f32_e32 v46, v46
	v_cvt_i32_f32_e32 v84, v84
	;; [unrolled: 1-line block ×3, first 2 shown]
	v_exp_f32_e32 v4, v4
	v_exp_f32_e32 v39, v39
	;; [unrolled: 1-line block ×3, first 2 shown]
	v_cmp_ngt_f32_e32 vcc, s41, v1
	v_ldexp_f32 v4, v4, v46
	v_ldexp_f32 v39, v39, v84
	;; [unrolled: 1-line block ×3, first 2 shown]
	v_cmp_ngt_f32_e64 s[0:1], s41, v3
	v_cmp_ngt_f32_e64 s[2:3], s41, v2
	v_cndmask_b32_e64 v4, 0, v4, s[2:3]
	v_cndmask_b32_e32 v39, 0, v39, vcc
	v_cmp_nlt_f32_e32 vcc, s42, v1
	v_cndmask_b32_e64 v1, 0, v40, s[0:1]
	v_cmp_nlt_f32_e64 s[0:1], s42, v3
	v_cmp_nlt_f32_e64 s[2:3], s42, v2
	v_cndmask_b32_e64 v2, v72, v4, s[2:3]
	v_cndmask_b32_e32 v3, v72, v39, vcc
	v_cndmask_b32_e64 v1, v72, v1, s[0:1]
	v_cvt_f16_f32_e32 v4, v2
	v_add_f32_e32 v82, v2, v3
	v_cvt_f16_f32_e32 v2, v1
	v_cvt_f16_f32_e32 v3, v3
	v_fmac_f32_e32 v82, v83, v1
	ds_write_b16 v61, v4
	ds_write_b16 v61, v3 offset:64
	s_waitcnt vmcnt(7)
	ds_write_b128 v62, v[88:91]
	s_waitcnt vmcnt(6)
	ds_write_b128 v63, v[92:95]
	;; [unrolled: 2-line block ×8, first 2 shown]
	v_mul_u32_u24_e32 v39, 0x10001, v2
	s_waitcnt lgkmcnt(0)
	s_barrier
	ds_read2_b64 v[83:86], v42 offset1:32
	ds_read_b128 v[87:90], v60
	ds_read_b128 v[91:94], v60 offset:16
	ds_read_b128 v[95:98], v60 offset:32
	ds_read_b128 v[1:4], v60 offset:48
	ds_read2_b64 v[99:102], v42 offset0:64 offset1:96
	ds_read2_b64 v[103:106], v42 offset0:128 offset1:160
	;; [unrolled: 1-line block ×3, first 2 shown]
	ds_read2_b64 v[111:114], v73 offset1:32
	ds_read2_b64 v[115:118], v73 offset0:64 offset1:96
	ds_read2_b64 v[119:122], v73 offset0:128 offset1:160
	s_waitcnt lgkmcnt(9)
	v_mul_u32_u24_sdwa v40, v87, s43 dst_sel:DWORD dst_unused:UNUSED_PAD src0_sel:WORD_0 src1_sel:DWORD
	v_pk_mul_f16 v41, v83, v40
	v_pk_mul_f16 v40, v84, v40
	v_pk_fma_f16 v41, v80, v39, v41
	v_mul_u32_u24_sdwa v46, v87, s43 dst_sel:DWORD dst_unused:UNUSED_PAD src0_sel:WORD_1 src1_sel:DWORD
	v_pk_fma_f16 v39, v81, v39, v40
	v_pk_fma_f16 v40, v85, v46, v41
	;; [unrolled: 1-line block ×3, first 2 shown]
	v_mul_u32_u24_sdwa v41, v88, s43 dst_sel:DWORD dst_unused:UNUSED_PAD src0_sel:WORD_0 src1_sel:DWORD
	v_mul_u32_u24_sdwa v46, v88, s43 dst_sel:DWORD dst_unused:UNUSED_PAD src0_sel:WORD_1 src1_sel:DWORD
	s_waitcnt lgkmcnt(5)
	v_pk_fma_f16 v40, v99, v41, v40
	v_pk_fma_f16 v39, v100, v41, v39
	;; [unrolled: 1-line block ×4, first 2 shown]
	v_mul_u32_u24_sdwa v41, v89, s43 dst_sel:DWORD dst_unused:UNUSED_PAD src0_sel:WORD_0 src1_sel:DWORD
	v_mul_u32_u24_sdwa v46, v89, s43 dst_sel:DWORD dst_unused:UNUSED_PAD src0_sel:WORD_1 src1_sel:DWORD
	s_waitcnt lgkmcnt(4)
	v_pk_fma_f16 v40, v103, v41, v40
	v_pk_fma_f16 v39, v104, v41, v39
	v_mul_u32_u24_sdwa v80, v90, s43 dst_sel:DWORD dst_unused:UNUSED_PAD src0_sel:WORD_0 src1_sel:DWORD
	v_pk_fma_f16 v40, v105, v46, v40
	v_pk_fma_f16 v39, v106, v46, v39
	v_mul_u32_u24_sdwa v81, v90, s43 dst_sel:DWORD dst_unused:UNUSED_PAD src0_sel:WORD_1 src1_sel:DWORD
	s_waitcnt lgkmcnt(3)
	v_pk_fma_f16 v40, v107, v80, v40
	v_pk_fma_f16 v39, v108, v80, v39
	;; [unrolled: 1-line block ×4, first 2 shown]
	v_mul_u32_u24_sdwa v41, v91, s43 dst_sel:DWORD dst_unused:UNUSED_PAD src0_sel:WORD_0 src1_sel:DWORD
	v_mul_u32_u24_sdwa v46, v91, s43 dst_sel:DWORD dst_unused:UNUSED_PAD src0_sel:WORD_1 src1_sel:DWORD
	s_waitcnt lgkmcnt(2)
	v_pk_fma_f16 v40, v111, v41, v40
	v_pk_fma_f16 v39, v112, v41, v39
	ds_read2_b64 v[83:86], v73 offset0:192 offset1:224
	v_pk_fma_f16 v40, v113, v46, v40
	v_pk_fma_f16 v39, v114, v46, v39
	v_mul_u32_u24_sdwa v41, v92, s43 dst_sel:DWORD dst_unused:UNUSED_PAD src0_sel:WORD_0 src1_sel:DWORD
	v_mul_u32_u24_sdwa v46, v92, s43 dst_sel:DWORD dst_unused:UNUSED_PAD src0_sel:WORD_1 src1_sel:DWORD
	s_waitcnt lgkmcnt(2)
	v_pk_fma_f16 v40, v115, v41, v40
	v_pk_fma_f16 v39, v116, v41, v39
	ds_read2_b64 v[99:102], v74 offset1:32
	v_pk_fma_f16 v40, v117, v46, v40
	v_pk_fma_f16 v39, v118, v46, v39
	v_mul_u32_u24_sdwa v41, v93, s43 dst_sel:DWORD dst_unused:UNUSED_PAD src0_sel:WORD_0 src1_sel:DWORD
	v_mul_u32_u24_sdwa v46, v93, s43 dst_sel:DWORD dst_unused:UNUSED_PAD src0_sel:WORD_1 src1_sel:DWORD
	s_waitcnt lgkmcnt(2)
	v_pk_fma_f16 v40, v119, v41, v40
	v_pk_fma_f16 v39, v120, v41, v39
	ds_read2_b64 v[87:90], v74 offset0:64 offset1:96
	v_mul_u32_u24_sdwa v80, v94, s43 dst_sel:DWORD dst_unused:UNUSED_PAD src0_sel:WORD_0 src1_sel:DWORD
	v_pk_fma_f16 v40, v121, v46, v40
	v_pk_fma_f16 v39, v122, v46, v39
	v_mul_u32_u24_sdwa v81, v94, s43 dst_sel:DWORD dst_unused:UNUSED_PAD src0_sel:WORD_1 src1_sel:DWORD
	s_waitcnt lgkmcnt(2)
	v_pk_fma_f16 v40, v83, v80, v40
	v_pk_fma_f16 v39, v84, v80, v39
	ds_read2_b64 v[103:106], v74 offset0:128 offset1:160
	v_pk_fma_f16 v40, v85, v81, v40
	v_pk_fma_f16 v39, v86, v81, v39
	v_mul_u32_u24_sdwa v41, v95, s43 dst_sel:DWORD dst_unused:UNUSED_PAD src0_sel:WORD_0 src1_sel:DWORD
	v_mul_u32_u24_sdwa v46, v95, s43 dst_sel:DWORD dst_unused:UNUSED_PAD src0_sel:WORD_1 src1_sel:DWORD
	s_waitcnt lgkmcnt(2)
	v_pk_fma_f16 v40, v99, v41, v40
	v_pk_fma_f16 v39, v100, v41, v39
	ds_read2_b64 v[107:110], v74 offset0:192 offset1:224
	v_pk_fma_f16 v40, v101, v46, v40
	v_pk_fma_f16 v39, v102, v46, v39
	v_mul_u32_u24_sdwa v41, v96, s43 dst_sel:DWORD dst_unused:UNUSED_PAD src0_sel:WORD_0 src1_sel:DWORD
	v_mul_u32_u24_sdwa v46, v96, s43 dst_sel:DWORD dst_unused:UNUSED_PAD src0_sel:WORD_1 src1_sel:DWORD
	s_waitcnt lgkmcnt(2)
	v_pk_fma_f16 v40, v87, v41, v40
	v_pk_fma_f16 v39, v88, v41, v39
	ds_read2_b64 v[111:114], v75 offset1:32
	v_pk_fma_f16 v40, v89, v46, v40
	v_pk_fma_f16 v39, v90, v46, v39
	v_mul_u32_u24_sdwa v41, v97, s43 dst_sel:DWORD dst_unused:UNUSED_PAD src0_sel:WORD_0 src1_sel:DWORD
	v_mul_u32_u24_sdwa v46, v97, s43 dst_sel:DWORD dst_unused:UNUSED_PAD src0_sel:WORD_1 src1_sel:DWORD
	s_waitcnt lgkmcnt(2)
	v_pk_fma_f16 v40, v103, v41, v40
	v_pk_fma_f16 v39, v104, v41, v39
	ds_read2_b64 v[115:118], v75 offset0:64 offset1:96
	v_mul_u32_u24_sdwa v80, v98, s43 dst_sel:DWORD dst_unused:UNUSED_PAD src0_sel:WORD_0 src1_sel:DWORD
	v_pk_fma_f16 v40, v105, v46, v40
	v_pk_fma_f16 v39, v106, v46, v39
	v_mul_u32_u24_sdwa v81, v98, s43 dst_sel:DWORD dst_unused:UNUSED_PAD src0_sel:WORD_1 src1_sel:DWORD
	s_waitcnt lgkmcnt(2)
	v_pk_fma_f16 v40, v107, v80, v40
	v_pk_fma_f16 v39, v108, v80, v39
	ds_read2_b64 v[91:94], v75 offset0:128 offset1:160
	v_pk_fma_f16 v40, v109, v81, v40
	v_pk_fma_f16 v39, v110, v81, v39
	v_mul_u32_u24_sdwa v41, v1, s43 dst_sel:DWORD dst_unused:UNUSED_PAD src0_sel:WORD_0 src1_sel:DWORD
	v_mul_u32_u24_sdwa v1, v1, s43 dst_sel:DWORD dst_unused:UNUSED_PAD src0_sel:WORD_1 src1_sel:DWORD
	s_waitcnt lgkmcnt(2)
	v_pk_fma_f16 v40, v111, v41, v40
	v_pk_fma_f16 v39, v112, v41, v39
	ds_read2_b64 v[119:122], v75 offset0:192 offset1:224
	v_pk_fma_f16 v40, v113, v1, v40
	v_pk_fma_f16 v1, v114, v1, v39
	v_mul_u32_u24_sdwa v39, v2, s43 dst_sel:DWORD dst_unused:UNUSED_PAD src0_sel:WORD_0 src1_sel:DWORD
	ds_read_b128 v[99:102], v60 offset:64
	ds_read_b128 v[111:114], v60 offset:80
	v_mul_u32_u24_sdwa v2, v2, s43 dst_sel:DWORD dst_unused:UNUSED_PAD src0_sel:WORD_1 src1_sel:DWORD
	s_waitcnt lgkmcnt(4)
	v_pk_fma_f16 v40, v115, v39, v40
	v_pk_fma_f16 v1, v116, v39, v1
	ds_read2_b64 v[83:86], v76 offset1:32
	v_pk_fma_f16 v39, v117, v2, v40
	v_pk_fma_f16 v1, v118, v2, v1
	v_mul_u32_u24_sdwa v2, v3, s43 dst_sel:DWORD dst_unused:UNUSED_PAD src0_sel:WORD_0 src1_sel:DWORD
	v_mul_u32_u24_sdwa v40, v3, s43 dst_sel:DWORD dst_unused:UNUSED_PAD src0_sel:WORD_1 src1_sel:DWORD
	s_waitcnt lgkmcnt(4)
	v_pk_fma_f16 v39, v91, v2, v39
	v_pk_fma_f16 v80, v92, v2, v1
	ds_read2_b64 v[87:90], v76 offset0:64 offset1:96
	v_mul_u32_u24_sdwa v41, v4, s43 dst_sel:DWORD dst_unused:UNUSED_PAD src0_sel:WORD_0 src1_sel:DWORD
	v_pk_fma_f16 v39, v93, v40, v39
	v_pk_fma_f16 v40, v94, v40, v80
	v_mul_u32_u24_sdwa v46, v4, s43 dst_sel:DWORD dst_unused:UNUSED_PAD src0_sel:WORD_1 src1_sel:DWORD
	s_waitcnt lgkmcnt(4)
	v_pk_fma_f16 v39, v119, v41, v39
	v_pk_fma_f16 v40, v120, v41, v40
	ds_read2_b64 v[95:98], v76 offset0:128 offset1:160
	v_pk_fma_f16 v39, v121, v46, v39
	v_pk_fma_f16 v40, v122, v46, v40
	s_waitcnt lgkmcnt(4)
	v_mul_u32_u24_sdwa v41, v99, s43 dst_sel:DWORD dst_unused:UNUSED_PAD src0_sel:WORD_0 src1_sel:DWORD
	v_mul_u32_u24_sdwa v46, v99, s43 dst_sel:DWORD dst_unused:UNUSED_PAD src0_sel:WORD_1 src1_sel:DWORD
	s_waitcnt lgkmcnt(2)
	v_pk_fma_f16 v39, v83, v41, v39
	v_pk_fma_f16 v40, v84, v41, v40
	ds_read2_b64 v[103:106], v76 offset0:192 offset1:224
	v_pk_fma_f16 v39, v85, v46, v39
	v_pk_fma_f16 v40, v86, v46, v40
	v_mul_u32_u24_sdwa v41, v100, s43 dst_sel:DWORD dst_unused:UNUSED_PAD src0_sel:WORD_0 src1_sel:DWORD
	v_mul_u32_u24_sdwa v46, v100, s43 dst_sel:DWORD dst_unused:UNUSED_PAD src0_sel:WORD_1 src1_sel:DWORD
	s_waitcnt lgkmcnt(2)
	v_pk_fma_f16 v39, v87, v41, v39
	v_pk_fma_f16 v40, v88, v41, v40
	ds_read2_b64 v[107:110], v77 offset1:32
	v_pk_fma_f16 v39, v89, v46, v39
	v_pk_fma_f16 v40, v90, v46, v40
	v_mul_u32_u24_sdwa v41, v101, s43 dst_sel:DWORD dst_unused:UNUSED_PAD src0_sel:WORD_0 src1_sel:DWORD
	v_mul_u32_u24_sdwa v46, v101, s43 dst_sel:DWORD dst_unused:UNUSED_PAD src0_sel:WORD_1 src1_sel:DWORD
	s_waitcnt lgkmcnt(2)
	v_pk_fma_f16 v39, v95, v41, v39
	v_pk_fma_f16 v40, v96, v41, v40
	ds_read2_b64 v[115:118], v77 offset0:64 offset1:96
	v_mul_u32_u24_sdwa v80, v102, s43 dst_sel:DWORD dst_unused:UNUSED_PAD src0_sel:WORD_0 src1_sel:DWORD
	v_pk_fma_f16 v39, v97, v46, v39
	v_pk_fma_f16 v40, v98, v46, v40
	v_mul_u32_u24_sdwa v81, v102, s43 dst_sel:DWORD dst_unused:UNUSED_PAD src0_sel:WORD_1 src1_sel:DWORD
	s_waitcnt lgkmcnt(2)
	v_pk_fma_f16 v39, v103, v80, v39
	v_pk_fma_f16 v40, v104, v80, v40
	ds_read2_b64 v[1:4], v77 offset0:128 offset1:160
	v_mul_u32_u24_sdwa v41, v111, s43 dst_sel:DWORD dst_unused:UNUSED_PAD src0_sel:WORD_0 src1_sel:DWORD
	v_pk_fma_f16 v39, v105, v81, v39
	v_pk_fma_f16 v40, v106, v81, v40
	;; [unrolled: 8-line block ×3, first 2 shown]
	ds_read_b128 v[83:86], v60 offset:96
	ds_read_b128 v[107:110], v60 offset:112
	v_mul_u32_u24_sdwa v81, v112, s43 dst_sel:DWORD dst_unused:UNUSED_PAD src0_sel:WORD_1 src1_sel:DWORD
	s_waitcnt lgkmcnt(4)
	v_pk_fma_f16 v39, v115, v80, v39
	v_pk_fma_f16 v40, v116, v80, v40
	ds_read2_b64 v[119:122], v78 offset1:32
	v_mul_u32_u24_sdwa v111, v113, s43 dst_sel:DWORD dst_unused:UNUSED_PAD src0_sel:WORD_0 src1_sel:DWORD
	v_pk_fma_f16 v39, v117, v81, v39
	v_pk_fma_f16 v40, v118, v81, v40
	v_mul_u32_u24_sdwa v112, v113, s43 dst_sel:DWORD dst_unused:UNUSED_PAD src0_sel:WORD_1 src1_sel:DWORD
	s_waitcnt lgkmcnt(4)
	v_pk_fma_f16 v1, v1, v111, v39
	v_pk_fma_f16 v2, v2, v111, v40
	ds_read2_b64 v[87:90], v78 offset0:64 offset1:96
	v_mul_u32_u24_sdwa v113, v114, s43 dst_sel:DWORD dst_unused:UNUSED_PAD src0_sel:WORD_0 src1_sel:DWORD
	v_pk_fma_f16 v39, v3, v112, v1
	v_pk_fma_f16 v40, v4, v112, v2
	v_mul_u32_u24_sdwa v114, v114, s43 dst_sel:DWORD dst_unused:UNUSED_PAD src0_sel:WORD_1 src1_sel:DWORD
	s_waitcnt lgkmcnt(4)
	v_pk_fma_f16 v39, v91, v113, v39
	v_pk_fma_f16 v40, v92, v113, v40
	ds_read2_b64 v[99:102], v78 offset0:128 offset1:160
	s_waitcnt lgkmcnt(4)
	v_mul_u32_u24_sdwa v41, v83, s43 dst_sel:DWORD dst_unused:UNUSED_PAD src0_sel:WORD_0 src1_sel:DWORD
	v_pk_fma_f16 v39, v93, v114, v39
	v_pk_fma_f16 v40, v94, v114, v40
	v_mul_u32_u24_sdwa v46, v83, s43 dst_sel:DWORD dst_unused:UNUSED_PAD src0_sel:WORD_1 src1_sel:DWORD
	s_waitcnt lgkmcnt(2)
	v_pk_fma_f16 v39, v119, v41, v39
	v_pk_fma_f16 v40, v120, v41, v40
	ds_read2_b64 v[95:98], v78 offset0:192 offset1:224
	v_mul_u32_u24_sdwa v80, v84, s43 dst_sel:DWORD dst_unused:UNUSED_PAD src0_sel:WORD_0 src1_sel:DWORD
	v_pk_fma_f16 v39, v121, v46, v39
	v_pk_fma_f16 v40, v122, v46, v40
	v_mul_u32_u24_sdwa v81, v84, s43 dst_sel:DWORD dst_unused:UNUSED_PAD src0_sel:WORD_1 src1_sel:DWORD
	s_waitcnt lgkmcnt(2)
	v_pk_fma_f16 v39, v87, v80, v39
	v_pk_fma_f16 v40, v88, v80, v40
	ds_read2_b64 v[103:106], v79 offset1:32
	v_mul_u32_u24_sdwa v115, v85, s43 dst_sel:DWORD dst_unused:UNUSED_PAD src0_sel:WORD_0 src1_sel:DWORD
	v_pk_fma_f16 v39, v89, v81, v39
	v_pk_fma_f16 v40, v90, v81, v40
	v_mul_u32_u24_sdwa v116, v85, s43 dst_sel:DWORD dst_unused:UNUSED_PAD src0_sel:WORD_1 src1_sel:DWORD
	s_waitcnt lgkmcnt(2)
	v_pk_fma_f16 v39, v99, v115, v39
	v_pk_fma_f16 v40, v100, v115, v40
	v_mul_u32_u24_sdwa v117, v86, s43 dst_sel:DWORD dst_unused:UNUSED_PAD src0_sel:WORD_0 src1_sel:DWORD
	v_mul_u32_u24_sdwa v118, v86, s43 dst_sel:DWORD dst_unused:UNUSED_PAD src0_sel:WORD_1 src1_sel:DWORD
	ds_read2_b64 v[83:86], v79 offset0:64 offset1:96
	v_pk_fma_f16 v39, v101, v116, v39
	v_pk_fma_f16 v40, v102, v116, v40
	s_waitcnt lgkmcnt(2)
	v_pk_fma_f16 v39, v95, v117, v39
	v_pk_fma_f16 v40, v96, v117, v40
	ds_read2_b64 v[1:4], v79 offset0:128 offset1:160
	v_mul_u32_u24_sdwa v111, v107, s43 dst_sel:DWORD dst_unused:UNUSED_PAD src0_sel:WORD_0 src1_sel:DWORD
	v_pk_fma_f16 v39, v97, v118, v39
	v_pk_fma_f16 v40, v98, v118, v40
	v_mul_u32_u24_sdwa v107, v107, s43 dst_sel:DWORD dst_unused:UNUSED_PAD src0_sel:WORD_1 src1_sel:DWORD
	ds_read2_b64 v[91:94], v79 offset0:192 offset1:224
	s_waitcnt lgkmcnt(0)
	s_barrier
	s_load_dword s0, s[18:19], 0x4
	v_pk_fma_f16 v39, v103, v111, v39
	v_pk_fma_f16 v40, v104, v111, v40
	v_mul_u32_u24_sdwa v112, v108, s43 dst_sel:DWORD dst_unused:UNUSED_PAD src0_sel:WORD_0 src1_sel:DWORD
	v_pk_fma_f16 v39, v105, v107, v39
	v_pk_fma_f16 v40, v106, v107, v40
	v_mul_u32_u24_sdwa v108, v108, s43 dst_sel:DWORD dst_unused:UNUSED_PAD src0_sel:WORD_1 src1_sel:DWORD
	v_pk_fma_f16 v39, v83, v112, v39
	v_pk_fma_f16 v40, v84, v112, v40
	v_mul_u32_u24_sdwa v113, v109, s43 dst_sel:DWORD dst_unused:UNUSED_PAD src0_sel:WORD_0 src1_sel:DWORD
	v_pk_fma_f16 v39, v85, v108, v39
	v_pk_fma_f16 v40, v86, v108, v40
	v_mul_u32_u24_sdwa v109, v109, s43 dst_sel:DWORD dst_unused:UNUSED_PAD src0_sel:WORD_1 src1_sel:DWORD
	v_pk_fma_f16 v1, v1, v113, v39
	v_pk_fma_f16 v2, v2, v113, v40
	v_mul_u32_u24_sdwa v114, v110, s43 dst_sel:DWORD dst_unused:UNUSED_PAD src0_sel:WORD_0 src1_sel:DWORD
	s_waitcnt lgkmcnt(0)
	s_lshl_b32 s0, s0, 6
	v_pk_fma_f16 v1, v3, v109, v1
	v_pk_fma_f16 v2, v4, v109, v2
	v_mul_u32_u24_sdwa v110, v110, s43 dst_sel:DWORD dst_unused:UNUSED_PAD src0_sel:WORD_1 src1_sel:DWORD
	s_add_i32 s6, s0, s6
	v_pk_fma_f16 v1, v91, v114, v1
	v_pk_fma_f16 v2, v92, v114, v2
	s_cmp_ge_i32 s6, s34
	v_pk_fma_f16 v80, v93, v110, v1
	v_pk_fma_f16 v81, v94, v110, v2
	s_cbranch_scc0 .LBB30_9
; %bb.10:
	buffer_load_dword v26, off, s[48:51], 0 ; 4-byte Folded Reload
	buffer_load_dword v27, off, s[48:51], 0 offset:4 ; 4-byte Folded Reload
	buffer_load_dword v10, off, s[48:51], 0 offset:8 ; 4-byte Folded Reload
	;; [unrolled: 1-line block ×4, first 2 shown]
.LBB30_11:
	v_cmp_lt_i32_e32 vcc, v58, v47
	v_cndmask_b32_e32 v1, v45, v58, vcc
	v_lshlrev_b32_e32 v1, 2, v1
	ds_bpermute_b32 v1, v1, v82
	v_cmp_lt_i32_e32 vcc, v55, v47
	v_cndmask_b32_e32 v2, v45, v55, vcc
	v_lshlrev_b32_e32 v2, 2, v2
	v_cmp_lt_i32_e32 vcc, v53, v47
	s_waitcnt lgkmcnt(0)
	v_add_f32_e32 v1, v82, v1
	ds_bpermute_b32 v2, v2, v1
	v_cndmask_b32_e32 v3, v45, v53, vcc
	v_lshlrev_b32_e32 v3, 2, v3
	v_cmp_lt_i32_e32 vcc, v51, v47
	s_cmp_lg_u64 s[20:21], 0
	s_waitcnt lgkmcnt(0)
	v_add_f32_e32 v1, v1, v2
	ds_bpermute_b32 v2, v3, v1
	v_cndmask_b32_e32 v3, v45, v51, vcc
	v_lshlrev_b32_e32 v3, 2, v3
	v_cmp_lt_i32_e32 vcc, v52, v47
	v_cndmask_b32_e32 v4, v45, v52, vcc
	s_waitcnt lgkmcnt(0)
	v_add_f32_e32 v2, v1, v2
	ds_bpermute_b32 v3, v3, v2
	v_lshlrev_b32_e32 v4, 2, v4
	s_cselect_b64 s[0:1], -1, 0
	s_cmp_eq_u32 s7, 0
	s_cselect_b64 s[2:3], -1, 0
	s_waitcnt lgkmcnt(0)
	v_add_f32_e32 v2, v2, v3
	ds_bpermute_b32 v3, v4, v2
	s_and_b64 s[0:1], s[2:3], s[0:1]
	s_waitcnt vmcnt(1)
	v_add_u32_e32 v1, s35, v0
	s_and_b64 vcc, exec, s[0:1]
	s_waitcnt lgkmcnt(0)
	v_add_f32_e32 v39, v2, v3
	s_cbranch_vccz .LBB30_13
; %bb.12:
	v_ashrrev_i32_e32 v2, 31, v1
	v_lshlrev_b64 v[2:3], 2, v[1:2]
	v_mov_b32_e32 v0, s21
	v_add_co_u32_e32 v2, vcc, s20, v2
	v_addc_co_u32_e32 v3, vcc, v0, v3, vcc
	global_load_dword v0, v[2:3], off
	v_max_f32_e32 v2, v38, v38
	s_mov_b32 s0, 0x3fb8aa3b
	s_mov_b32 s1, 0xc2ce8ed0
	s_waitcnt vmcnt(0)
	v_max_f32_e32 v3, v0, v0
	v_max_f32_e32 v2, v2, v3
	v_sub_f32_e32 v3, v38, v2
	v_sub_f32_e32 v0, v0, v2
	v_mul_f32_e32 v4, 0x3fb8aa3b, v3
	v_mul_f32_e32 v5, 0x3fb8aa3b, v0
	v_fma_f32 v6, v3, s0, -v4
	v_rndne_f32_e32 v7, v4
	v_fma_f32 v8, v0, s0, -v5
	v_rndne_f32_e32 v9, v5
	v_fmac_f32_e32 v6, 0x32a5705f, v3
	v_sub_f32_e32 v4, v4, v7
	v_fmac_f32_e32 v8, 0x32a5705f, v0
	v_sub_f32_e32 v5, v5, v9
	v_add_f32_e32 v4, v4, v6
	v_cvt_i32_f32_e32 v7, v7
	v_add_f32_e32 v5, v5, v8
	v_exp_f32_e32 v4, v4
	v_cvt_i32_f32_e32 v9, v9
	v_exp_f32_e32 v5, v5
	v_cmp_ngt_f32_e32 vcc, s1, v3
	v_ldexp_f32 v4, v4, v7
	s_mov_b32 s0, 0x42b17218
	v_ldexp_f32 v5, v5, v9
	v_cndmask_b32_e32 v4, 0, v4, vcc
	v_cmp_ngt_f32_e32 vcc, s1, v0
	v_mov_b32_e32 v6, 0x7f800000
	v_cndmask_b32_e32 v5, 0, v5, vcc
	v_cmp_nlt_f32_e32 vcc, s0, v3
	v_cndmask_b32_e32 v3, v6, v4, vcc
	v_cvt_f16_f32_e32 v4, v3
	v_cmp_nlt_f32_e32 vcc, s0, v0
	v_cndmask_b32_e32 v0, v6, v5, vcc
	v_fmac_f32_e32 v0, v39, v3
	v_mov_b32_e32 v39, v0
	v_mul_u32_u24_e32 v0, 0x10001, v4
	v_pk_mul_f16 v80, v80, v0
	v_pk_mul_f16 v81, v81, v0
	v_mov_b32_e32 v38, v2
.LBB30_13:
	v_div_scale_f32 v0, s[0:1], v39, v39, 1.0
	v_div_scale_f32 v3, vcc, 1.0, v39, 1.0
	s_mul_i32 s33, s33, s30
	s_load_dword s4, s[4:5], 0xd4
	v_mov_b32_e32 v2, 0
	v_add_u32_e32 v5, s33, v10
	v_cvt_f32_f16_e32 v8, v81
	v_cvt_f32_f16_sdwa v9, v81 dst_sel:DWORD dst_unused:UNUSED_PAD src0_sel:WORD_1
	s_waitcnt lgkmcnt(0)
	s_cmp_lg_u32 s4, 1
	v_cmp_eq_u32_e64 s[0:1], 0, v26
	v_rcp_f32_e32 v4, v0
	v_fma_f32 v6, -v0, v4, 1.0
	v_fmac_f32_e32 v4, v6, v4
	v_mul_f32_e32 v6, v3, v4
	v_fma_f32 v7, -v0, v6, v3
	v_fmac_f32_e32 v6, v7, v4
	v_fma_f32 v0, -v0, v6, v3
	v_div_fmas_f32 v3, v0, v4, v6
	v_mad_u64_u32 v[0:1], s[2:3], v5, s31, v[1:2]
	v_cvt_f32_f16_e32 v4, v80
	v_cvt_f32_f16_sdwa v7, v80 dst_sel:DWORD dst_unused:UNUSED_PAD src0_sel:WORD_1
	v_mul_lo_u32 v0, s4, v0
	s_cselect_b64 s[2:3], -1, 0
	v_mov_b32_e32 v6, s25
	s_and_b64 s[0:1], s[0:1], s[2:3]
	v_add_u32_e32 v0, s7, v0
	s_waitcnt vmcnt(0)
	v_lshl_add_u32 v1, v0, 7, v11
	v_lshlrev_b64 v[1:2], 2, v[1:2]
	v_add_co_u32_e32 v5, vcc, s24, v1
	v_addc_co_u32_e32 v6, vcc, v6, v2, vcc
	v_div_fixup_f32 v1, v3, v39, 1.0
	v_cndmask_b32_e64 v10, v1, 1.0, s[2:3]
	v_mul_f32_e32 v1, v10, v4
	v_mul_f32_e32 v2, v10, v7
	;; [unrolled: 1-line block ×4, first 2 shown]
	global_store_dwordx4 v[5:6], v[1:4], off
	s_and_saveexec_b64 s[2:3], s[0:1]
	s_cbranch_execz .LBB30_15
; %bb.14:
	v_ashrrev_i32_e32 v1, 31, v0
	v_lshlrev_b64 v[0:1], 3, v[0:1]
	v_mov_b32_e32 v2, s27
	v_add_co_u32_e32 v0, vcc, s26, v0
	v_addc_co_u32_e32 v1, vcc, v2, v1, vcc
	global_store_dwordx2 v[0:1], v[38:39], off
.LBB30_15:
	s_endpgm
	.section	.rodata,"a",@progbits
	.p2align	6, 0x0
	.amdhsa_kernel _ZL15flash_attn_tileILi128ELi128ELi1ELi4ELb0EEvPKcS1_S1_S1_S1_PKiPfP15HIP_vector_typeIfLj2EEffffjfiS5_IjLj3EEiiiiiiiiiiiliiliiiiil
		.amdhsa_group_segment_fixed_size 18944
		.amdhsa_private_segment_fixed_size 24
		.amdhsa_kernarg_size 464
		.amdhsa_user_sgpr_count 6
		.amdhsa_user_sgpr_private_segment_buffer 1
		.amdhsa_user_sgpr_dispatch_ptr 0
		.amdhsa_user_sgpr_queue_ptr 0
		.amdhsa_user_sgpr_kernarg_segment_ptr 1
		.amdhsa_user_sgpr_dispatch_id 0
		.amdhsa_user_sgpr_flat_scratch_init 0
		.amdhsa_user_sgpr_private_segment_size 0
		.amdhsa_uses_dynamic_stack 0
		.amdhsa_system_sgpr_private_segment_wavefront_offset 1
		.amdhsa_system_sgpr_workgroup_id_x 1
		.amdhsa_system_sgpr_workgroup_id_y 1
		.amdhsa_system_sgpr_workgroup_id_z 1
		.amdhsa_system_sgpr_workgroup_info 0
		.amdhsa_system_vgpr_workitem_id 1
		.amdhsa_next_free_vgpr 128
		.amdhsa_next_free_sgpr 98
		.amdhsa_reserve_vcc 1
		.amdhsa_reserve_flat_scratch 0
		.amdhsa_float_round_mode_32 0
		.amdhsa_float_round_mode_16_64 0
		.amdhsa_float_denorm_mode_32 3
		.amdhsa_float_denorm_mode_16_64 3
		.amdhsa_dx10_clamp 1
		.amdhsa_ieee_mode 1
		.amdhsa_fp16_overflow 0
		.amdhsa_exception_fp_ieee_invalid_op 0
		.amdhsa_exception_fp_denorm_src 0
		.amdhsa_exception_fp_ieee_div_zero 0
		.amdhsa_exception_fp_ieee_overflow 0
		.amdhsa_exception_fp_ieee_underflow 0
		.amdhsa_exception_fp_ieee_inexact 0
		.amdhsa_exception_int_div_zero 0
	.end_amdhsa_kernel
	.section	.text._ZL15flash_attn_tileILi128ELi128ELi1ELi4ELb0EEvPKcS1_S1_S1_S1_PKiPfP15HIP_vector_typeIfLj2EEffffjfiS5_IjLj3EEiiiiiiiiiiiliiliiiiil,"axG",@progbits,_ZL15flash_attn_tileILi128ELi128ELi1ELi4ELb0EEvPKcS1_S1_S1_S1_PKiPfP15HIP_vector_typeIfLj2EEffffjfiS5_IjLj3EEiiiiiiiiiiiliiliiiiil,comdat
.Lfunc_end30:
	.size	_ZL15flash_attn_tileILi128ELi128ELi1ELi4ELb0EEvPKcS1_S1_S1_S1_PKiPfP15HIP_vector_typeIfLj2EEffffjfiS5_IjLj3EEiiiiiiiiiiiliiliiiiil, .Lfunc_end30-_ZL15flash_attn_tileILi128ELi128ELi1ELi4ELb0EEvPKcS1_S1_S1_S1_PKiPfP15HIP_vector_typeIfLj2EEffffjfiS5_IjLj3EEiiiiiiiiiiiliiliiiiil
                                        ; -- End function
	.set _ZL15flash_attn_tileILi128ELi128ELi1ELi4ELb0EEvPKcS1_S1_S1_S1_PKiPfP15HIP_vector_typeIfLj2EEffffjfiS5_IjLj3EEiiiiiiiiiiiliiliiiiil.num_vgpr, 128
	.set _ZL15flash_attn_tileILi128ELi128ELi1ELi4ELb0EEvPKcS1_S1_S1_S1_PKiPfP15HIP_vector_typeIfLj2EEffffjfiS5_IjLj3EEiiiiiiiiiiiliiliiiiil.num_agpr, 0
	.set _ZL15flash_attn_tileILi128ELi128ELi1ELi4ELb0EEvPKcS1_S1_S1_S1_PKiPfP15HIP_vector_typeIfLj2EEffffjfiS5_IjLj3EEiiiiiiiiiiiliiliiiiil.numbered_sgpr, 52
	.set _ZL15flash_attn_tileILi128ELi128ELi1ELi4ELb0EEvPKcS1_S1_S1_S1_PKiPfP15HIP_vector_typeIfLj2EEffffjfiS5_IjLj3EEiiiiiiiiiiiliiliiiiil.num_named_barrier, 0
	.set _ZL15flash_attn_tileILi128ELi128ELi1ELi4ELb0EEvPKcS1_S1_S1_S1_PKiPfP15HIP_vector_typeIfLj2EEffffjfiS5_IjLj3EEiiiiiiiiiiiliiliiiiil.private_seg_size, 24
	.set _ZL15flash_attn_tileILi128ELi128ELi1ELi4ELb0EEvPKcS1_S1_S1_S1_PKiPfP15HIP_vector_typeIfLj2EEffffjfiS5_IjLj3EEiiiiiiiiiiiliiliiiiil.uses_vcc, 1
	.set _ZL15flash_attn_tileILi128ELi128ELi1ELi4ELb0EEvPKcS1_S1_S1_S1_PKiPfP15HIP_vector_typeIfLj2EEffffjfiS5_IjLj3EEiiiiiiiiiiiliiliiiiil.uses_flat_scratch, 0
	.set _ZL15flash_attn_tileILi128ELi128ELi1ELi4ELb0EEvPKcS1_S1_S1_S1_PKiPfP15HIP_vector_typeIfLj2EEffffjfiS5_IjLj3EEiiiiiiiiiiiliiliiiiil.has_dyn_sized_stack, 0
	.set _ZL15flash_attn_tileILi128ELi128ELi1ELi4ELb0EEvPKcS1_S1_S1_S1_PKiPfP15HIP_vector_typeIfLj2EEffffjfiS5_IjLj3EEiiiiiiiiiiiliiliiiiil.has_recursion, 0
	.set _ZL15flash_attn_tileILi128ELi128ELi1ELi4ELb0EEvPKcS1_S1_S1_S1_PKiPfP15HIP_vector_typeIfLj2EEffffjfiS5_IjLj3EEiiiiiiiiiiiliiliiiiil.has_indirect_call, 0
	.section	.AMDGPU.csdata,"",@progbits
; Kernel info:
; codeLenInByte = 7700
; TotalNumSgprs: 56
; NumVgprs: 128
; ScratchSize: 24
; MemoryBound: 0
; FloatMode: 240
; IeeeMode: 1
; LDSByteSize: 18944 bytes/workgroup (compile time only)
; SGPRBlocks: 12
; VGPRBlocks: 31
; NumSGPRsForWavesPerEU: 102
; NumVGPRsForWavesPerEU: 128
; Occupancy: 2
; WaveLimiterHint : 1
; COMPUTE_PGM_RSRC2:SCRATCH_EN: 1
; COMPUTE_PGM_RSRC2:USER_SGPR: 6
; COMPUTE_PGM_RSRC2:TRAP_HANDLER: 0
; COMPUTE_PGM_RSRC2:TGID_X_EN: 1
; COMPUTE_PGM_RSRC2:TGID_Y_EN: 1
; COMPUTE_PGM_RSRC2:TGID_Z_EN: 1
; COMPUTE_PGM_RSRC2:TIDIG_COMP_CNT: 1
	.section	.text._ZL33flash_attn_stream_k_fixup_uniformILi128ELi1ELi4EEvPfPK15HIP_vector_typeIfLj2EEiiiiiiS1_IjLj3EES5_S5_,"axG",@progbits,_ZL33flash_attn_stream_k_fixup_uniformILi128ELi1ELi4EEvPfPK15HIP_vector_typeIfLj2EEiiiiiiS1_IjLj3EES5_S5_,comdat
	.globl	_ZL33flash_attn_stream_k_fixup_uniformILi128ELi1ELi4EEvPfPK15HIP_vector_typeIfLj2EEiiiiiiS1_IjLj3EES5_S5_ ; -- Begin function _ZL33flash_attn_stream_k_fixup_uniformILi128ELi1ELi4EEvPfPK15HIP_vector_typeIfLj2EEiiiiiiS1_IjLj3EES5_S5_
	.p2align	8
	.type	_ZL33flash_attn_stream_k_fixup_uniformILi128ELi1ELi4EEvPfPK15HIP_vector_typeIfLj2EEiiiiiiS1_IjLj3EES5_S5_,@function
_ZL33flash_attn_stream_k_fixup_uniformILi128ELi1ELi4EEvPfPK15HIP_vector_typeIfLj2EEiiiiiiS1_IjLj3EES5_S5_: ; @_ZL33flash_attn_stream_k_fixup_uniformILi128ELi1ELi4EEvPfPK15HIP_vector_typeIfLj2EEiiiiiiS1_IjLj3EES5_S5_
; %bb.0:
	s_load_dwordx8 s[12:19], s[4:5], 0x1c
	s_load_dwordx2 s[10:11], s[4:5], 0x10
	s_load_dwordx4 s[0:3], s[4:5], 0x3c
	s_waitcnt lgkmcnt(0)
	s_mul_hi_u32 s9, s15, s6
	s_add_i32 s9, s6, s9
	s_lshr_b32 s9, s9, s16
	s_mul_i32 s15, s9, s17
	s_sub_i32 s16, s6, s15
	s_mul_hi_u32 s15, s16, s18
	s_add_i32 s15, s16, s15
	s_lshr_b32 s15, s15, s19
	s_mul_i32 s0, s15, s0
	s_sub_i32 s0, s16, s0
	;; [unrolled: 5-line block ×3, first 2 shown]
	s_lshl_b32 s17, s1, 2
	s_add_i32 s16, s16, s7
	s_cmp_lt_i32 s16, s10
	s_cselect_b64 s[0:1], -1, 0
	s_add_i32 s17, s17, s8
	s_cmp_lt_i32 s17, s13
	s_cselect_b64 s[2:3], -1, 0
	s_and_b64 s[0:1], s[0:1], s[2:3]
	s_andn2_b64 vcc, exec, s[0:1]
	s_cbranch_vccnz .LBB31_6
; %bb.1:
	s_mul_i32 s9, s9, s10
	s_load_dwordx4 s[0:3], s[4:5], 0x0
	s_mul_i32 s15, s15, s13
	s_add_i32 s4, s16, s9
	s_mul_i32 s4, s4, s11
	s_add_i32 s5, s17, s15
	s_add_i32 s5, s5, s4
	v_lshl_or_b32 v1, s5, 7, v0
	v_ashrrev_i32_e32 v2, 31, v1
	v_lshlrev_b64 v[1:2], 2, v[1:2]
	s_waitcnt lgkmcnt(0)
	v_mov_b32_e32 v3, s1
	v_add_co_u32_e32 v1, vcc, s0, v1
	v_addc_co_u32_e32 v2, vcc, v3, v2, vcc
	global_load_dword v8, v[1:2], off
	s_mul_i32 s9, s14, s6
	s_add_i32 s4, s9, s14
	s_add_i32 s0, s7, s4
	s_lshl_b32 s0, s0, 2
	s_add_i32 s0, s0, s8
	s_add_i32 s0, s0, -4
	s_ashr_i32 s1, s0, 31
	s_lshl_b64 s[0:1], s[0:1], 3
	s_add_u32 s0, s2, s0
	s_addc_u32 s1, s3, s1
	s_load_dword s5, s[0:1], 0x4
	s_add_i32 s10, s4, -2
	s_cmp_lt_i32 s10, s9
	s_cbranch_scc1 .LBB31_4
; %bb.2:
	s_lshl_b32 s10, s12, 4
	s_ashr_i32 s11, s10, 31
	s_lshl_b64 s[10:11], s[10:11], 2
	s_add_u32 s10, s2, s10
	s_addc_u32 s13, s3, s11
	s_load_dword s0, s[0:1], 0x0
	s_add_i32 s6, s6, 1
	s_lshl_b32 s1, s8, 7
	s_add_i32 s12, s7, s12
	s_mul_i32 s6, s14, s6
	s_lshl_b32 s7, s7, 9
	s_add_i32 s12, s12, s4
	s_lshl_b32 s6, s6, 9
	s_add_i32 s1, s1, s7
	s_add_i32 s11, s4, -1
	s_lshl_b32 s4, s12, 2
	s_add_i32 s1, s1, s6
	s_add_i32 s4, s8, s4
	v_or_b32_e32 v0, s1, v0
	s_add_i32 s4, s4, -8
	v_add_u32_e32 v3, 0xfffffc00, v0
	s_waitcnt lgkmcnt(0)
	v_mov_b32_e32 v7, s5
	v_mov_b32_e32 v6, s0
	;; [unrolled: 1-line block ×3, first 2 shown]
	s_mov_b32 s6, 0x3fb8aa3b
	s_mov_b32 s7, 0xc2ce8ed0
	;; [unrolled: 1-line block ×3, first 2 shown]
	v_mov_b32_e32 v5, 0x7f800000
	s_mov_b32 s12, 0xc1a00000
.LBB31_3:                               ; =>This Inner Loop Header: Depth=1
	v_ashrrev_i32_e32 v4, 31, v3
	v_lshlrev_b64 v[9:10], 2, v[3:4]
	s_ashr_i32 s5, s4, 31
	v_add_co_u32_e32 v9, vcc, s10, v9
	v_addc_co_u32_e32 v10, vcc, v0, v10, vcc
	global_load_dword v4, v[9:10], off
	s_lshl_b64 s[0:1], s[4:5], 3
	s_add_u32 s0, s2, s0
	s_addc_u32 s1, s3, s1
	s_load_dwordx2 s[14:15], s[0:1], 0x0
	s_waitcnt vmcnt(1)
	v_mov_b32_e32 v9, v8
	v_max_f32_e32 v8, v6, v6
	v_mov_b32_e32 v10, v7
	s_add_i32 s11, s11, -1
	s_waitcnt lgkmcnt(0)
	v_max_f32_e64 v7, s14, s14
	v_max_f32_e32 v7, v8, v7
	v_sub_f32_e32 v11, s14, v7
	v_sub_f32_e32 v8, v6, v7
	v_mul_f32_e32 v12, 0x3fb8aa3b, v11
	v_mov_b32_e32 v6, v7
	v_mul_f32_e32 v7, 0x3fb8aa3b, v8
	v_fma_f32 v15, v11, s6, -v12
	v_rndne_f32_e32 v16, v12
	v_fma_f32 v13, v8, s6, -v7
	v_rndne_f32_e32 v14, v7
	v_fmac_f32_e32 v15, 0x32a5705f, v11
	v_sub_f32_e32 v12, v12, v16
	v_fmac_f32_e32 v13, 0x32a5705f, v8
	v_sub_f32_e32 v7, v7, v14
	v_add_f32_e32 v12, v12, v15
	v_cvt_i32_f32_e32 v16, v16
	v_add_f32_e32 v7, v7, v13
	v_exp_f32_e32 v12, v12
	v_cvt_i32_f32_e32 v14, v14
	v_exp_f32_e32 v7, v7
	v_cmp_ngt_f32_e32 vcc, s7, v11
	v_ldexp_f32 v12, v12, v16
	v_cmp_ngt_f32_e64 s[0:1], s7, v8
	v_ldexp_f32 v7, v7, v14
	v_cndmask_b32_e32 v12, 0, v12, vcc
	v_cmp_nlt_f32_e32 vcc, s8, v11
	v_cndmask_b32_e64 v7, 0, v7, s[0:1]
	v_cmp_nlt_f32_e64 s[0:1], s8, v8
	v_cndmask_b32_e32 v12, v5, v12, vcc
	v_cmp_le_f32_e32 vcc, s12, v11
	v_cndmask_b32_e64 v7, v5, v7, s[0:1]
	v_cmp_le_f32_e64 s[0:1], s12, v8
	v_cndmask_b32_e32 v8, 0, v12, vcc
	s_add_i32 s4, s4, -4
	v_cndmask_b32_e64 v11, 0, v7, s[0:1]
	v_mul_f32_e32 v7, s15, v8
	v_add_u32_e32 v3, 0xfffffe00, v3
	s_cmp_le_i32 s11, s9
	v_fmac_f32_e32 v7, v10, v11
	s_waitcnt vmcnt(0)
	v_mul_f32_e32 v8, v4, v8
	v_fmac_f32_e32 v8, v9, v11
	s_cbranch_scc0 .LBB31_3
	s_branch .LBB31_5
.LBB31_4:
	s_waitcnt lgkmcnt(0)
	v_mov_b32_e32 v7, s5
.LBB31_5:
	s_waitcnt vmcnt(0)
	v_div_scale_f32 v0, s[0:1], v7, v7, v8
	v_div_scale_f32 v3, vcc, v8, v7, v8
	v_rcp_f32_e32 v4, v0
	v_fma_f32 v5, -v0, v4, 1.0
	v_fmac_f32_e32 v4, v5, v4
	v_mul_f32_e32 v5, v3, v4
	v_fma_f32 v6, -v0, v5, v3
	v_fmac_f32_e32 v5, v6, v4
	v_fma_f32 v0, -v0, v5, v3
	v_div_fmas_f32 v0, v0, v4, v5
	v_div_fixup_f32 v0, v0, v7, v8
	global_store_dword v[1:2], v0, off
.LBB31_6:
	s_endpgm
	.section	.rodata,"a",@progbits
	.p2align	6, 0x0
	.amdhsa_kernel _ZL33flash_attn_stream_k_fixup_uniformILi128ELi1ELi4EEvPfPK15HIP_vector_typeIfLj2EEiiiiiiS1_IjLj3EES5_S5_
		.amdhsa_group_segment_fixed_size 0
		.amdhsa_private_segment_fixed_size 0
		.amdhsa_kernarg_size 76
		.amdhsa_user_sgpr_count 6
		.amdhsa_user_sgpr_private_segment_buffer 1
		.amdhsa_user_sgpr_dispatch_ptr 0
		.amdhsa_user_sgpr_queue_ptr 0
		.amdhsa_user_sgpr_kernarg_segment_ptr 1
		.amdhsa_user_sgpr_dispatch_id 0
		.amdhsa_user_sgpr_flat_scratch_init 0
		.amdhsa_user_sgpr_private_segment_size 0
		.amdhsa_uses_dynamic_stack 0
		.amdhsa_system_sgpr_private_segment_wavefront_offset 0
		.amdhsa_system_sgpr_workgroup_id_x 1
		.amdhsa_system_sgpr_workgroup_id_y 1
		.amdhsa_system_sgpr_workgroup_id_z 1
		.amdhsa_system_sgpr_workgroup_info 0
		.amdhsa_system_vgpr_workitem_id 0
		.amdhsa_next_free_vgpr 17
		.amdhsa_next_free_sgpr 20
		.amdhsa_reserve_vcc 1
		.amdhsa_reserve_flat_scratch 0
		.amdhsa_float_round_mode_32 0
		.amdhsa_float_round_mode_16_64 0
		.amdhsa_float_denorm_mode_32 3
		.amdhsa_float_denorm_mode_16_64 3
		.amdhsa_dx10_clamp 1
		.amdhsa_ieee_mode 1
		.amdhsa_fp16_overflow 0
		.amdhsa_exception_fp_ieee_invalid_op 0
		.amdhsa_exception_fp_denorm_src 0
		.amdhsa_exception_fp_ieee_div_zero 0
		.amdhsa_exception_fp_ieee_overflow 0
		.amdhsa_exception_fp_ieee_underflow 0
		.amdhsa_exception_fp_ieee_inexact 0
		.amdhsa_exception_int_div_zero 0
	.end_amdhsa_kernel
	.section	.text._ZL33flash_attn_stream_k_fixup_uniformILi128ELi1ELi4EEvPfPK15HIP_vector_typeIfLj2EEiiiiiiS1_IjLj3EES5_S5_,"axG",@progbits,_ZL33flash_attn_stream_k_fixup_uniformILi128ELi1ELi4EEvPfPK15HIP_vector_typeIfLj2EEiiiiiiS1_IjLj3EES5_S5_,comdat
.Lfunc_end31:
	.size	_ZL33flash_attn_stream_k_fixup_uniformILi128ELi1ELi4EEvPfPK15HIP_vector_typeIfLj2EEiiiiiiS1_IjLj3EES5_S5_, .Lfunc_end31-_ZL33flash_attn_stream_k_fixup_uniformILi128ELi1ELi4EEvPfPK15HIP_vector_typeIfLj2EEiiiiiiS1_IjLj3EES5_S5_
                                        ; -- End function
	.set _ZL33flash_attn_stream_k_fixup_uniformILi128ELi1ELi4EEvPfPK15HIP_vector_typeIfLj2EEiiiiiiS1_IjLj3EES5_S5_.num_vgpr, 17
	.set _ZL33flash_attn_stream_k_fixup_uniformILi128ELi1ELi4EEvPfPK15HIP_vector_typeIfLj2EEiiiiiiS1_IjLj3EES5_S5_.num_agpr, 0
	.set _ZL33flash_attn_stream_k_fixup_uniformILi128ELi1ELi4EEvPfPK15HIP_vector_typeIfLj2EEiiiiiiS1_IjLj3EES5_S5_.numbered_sgpr, 20
	.set _ZL33flash_attn_stream_k_fixup_uniformILi128ELi1ELi4EEvPfPK15HIP_vector_typeIfLj2EEiiiiiiS1_IjLj3EES5_S5_.num_named_barrier, 0
	.set _ZL33flash_attn_stream_k_fixup_uniformILi128ELi1ELi4EEvPfPK15HIP_vector_typeIfLj2EEiiiiiiS1_IjLj3EES5_S5_.private_seg_size, 0
	.set _ZL33flash_attn_stream_k_fixup_uniformILi128ELi1ELi4EEvPfPK15HIP_vector_typeIfLj2EEiiiiiiS1_IjLj3EES5_S5_.uses_vcc, 1
	.set _ZL33flash_attn_stream_k_fixup_uniformILi128ELi1ELi4EEvPfPK15HIP_vector_typeIfLj2EEiiiiiiS1_IjLj3EES5_S5_.uses_flat_scratch, 0
	.set _ZL33flash_attn_stream_k_fixup_uniformILi128ELi1ELi4EEvPfPK15HIP_vector_typeIfLj2EEiiiiiiS1_IjLj3EES5_S5_.has_dyn_sized_stack, 0
	.set _ZL33flash_attn_stream_k_fixup_uniformILi128ELi1ELi4EEvPfPK15HIP_vector_typeIfLj2EEiiiiiiS1_IjLj3EES5_S5_.has_recursion, 0
	.set _ZL33flash_attn_stream_k_fixup_uniformILi128ELi1ELi4EEvPfPK15HIP_vector_typeIfLj2EEiiiiiiS1_IjLj3EES5_S5_.has_indirect_call, 0
	.section	.AMDGPU.csdata,"",@progbits
; Kernel info:
; codeLenInByte = 828
; TotalNumSgprs: 24
; NumVgprs: 17
; ScratchSize: 0
; MemoryBound: 0
; FloatMode: 240
; IeeeMode: 1
; LDSByteSize: 0 bytes/workgroup (compile time only)
; SGPRBlocks: 2
; VGPRBlocks: 4
; NumSGPRsForWavesPerEU: 24
; NumVGPRsForWavesPerEU: 17
; Occupancy: 10
; WaveLimiterHint : 0
; COMPUTE_PGM_RSRC2:SCRATCH_EN: 0
; COMPUTE_PGM_RSRC2:USER_SGPR: 6
; COMPUTE_PGM_RSRC2:TRAP_HANDLER: 0
; COMPUTE_PGM_RSRC2:TGID_X_EN: 1
; COMPUTE_PGM_RSRC2:TGID_Y_EN: 1
; COMPUTE_PGM_RSRC2:TGID_Z_EN: 1
; COMPUTE_PGM_RSRC2:TIDIG_COMP_CNT: 0
	.section	.text._ZL33flash_attn_stream_k_fixup_generalILi128ELi1ELi4EEvPfPK15HIP_vector_typeIfLj2EEiiiiS1_IjLj3EES5_S5_S5_,"axG",@progbits,_ZL33flash_attn_stream_k_fixup_generalILi128ELi1ELi4EEvPfPK15HIP_vector_typeIfLj2EEiiiiS1_IjLj3EES5_S5_S5_,comdat
	.globl	_ZL33flash_attn_stream_k_fixup_generalILi128ELi1ELi4EEvPfPK15HIP_vector_typeIfLj2EEiiiiS1_IjLj3EES5_S5_S5_ ; -- Begin function _ZL33flash_attn_stream_k_fixup_generalILi128ELi1ELi4EEvPfPK15HIP_vector_typeIfLj2EEiiiiS1_IjLj3EES5_S5_S5_
	.p2align	8
	.type	_ZL33flash_attn_stream_k_fixup_generalILi128ELi1ELi4EEvPfPK15HIP_vector_typeIfLj2EEiiiiS1_IjLj3EES5_S5_S5_,@function
_ZL33flash_attn_stream_k_fixup_generalILi128ELi1ELi4EEvPfPK15HIP_vector_typeIfLj2EEiiiiS1_IjLj3EES5_S5_S5_: ; @_ZL33flash_attn_stream_k_fixup_generalILi128ELi1ELi4EEvPfPK15HIP_vector_typeIfLj2EEiiiiS1_IjLj3EES5_S5_S5_
; %bb.0:
	s_load_dwordx4 s[0:3], s[4:5], 0x10
	s_load_dword s9, s[4:5], 0x50
	s_mov_b32 s12, 0
	s_waitcnt lgkmcnt(0)
	s_mul_hi_i32 s13, s3, s6
	s_cmp_lg_u64 s[12:13], 0
	s_mul_i32 s18, s3, s6
	s_cbranch_scc0 .LBB32_20
; %bb.1:
	s_add_u32 s10, s9, 0
	s_addc_u32 s11, 0, 0
	s_xor_b64 s[10:11], s[10:11], 0
	v_cvt_f32_u32_e32 v1, s10
	v_cvt_f32_u32_e32 v2, s11
	s_sub_u32 s12, 0, s10
	s_subb_u32 s19, 0, s11
	v_madmk_f32 v1, v2, 0x4f800000, v1
	v_rcp_f32_e32 v1, v1
	v_mul_f32_e32 v1, 0x5f7ffffc, v1
	v_mul_f32_e32 v2, 0x2f800000, v1
	v_trunc_f32_e32 v2, v2
	v_madmk_f32 v1, v2, 0xcf800000, v1
	v_cvt_u32_f32_e32 v2, v2
	v_cvt_u32_f32_e32 v1, v1
	v_readfirstlane_b32 s20, v2
	v_readfirstlane_b32 s14, v1
	s_mul_i32 s15, s12, s20
	s_mul_hi_u32 s22, s12, s14
	s_mul_i32 s21, s19, s14
	s_add_i32 s15, s22, s15
	s_add_i32 s15, s15, s21
	s_mul_i32 s23, s12, s14
	s_mul_i32 s22, s14, s15
	s_mul_hi_u32 s24, s14, s23
	s_mul_hi_u32 s21, s14, s15
	s_add_u32 s22, s24, s22
	s_addc_u32 s21, 0, s21
	s_mul_hi_u32 s25, s20, s23
	s_mul_i32 s23, s20, s23
	s_add_u32 s22, s22, s23
	s_mul_hi_u32 s24, s20, s15
	s_addc_u32 s21, s21, s25
	s_addc_u32 s22, s24, 0
	s_mul_i32 s15, s20, s15
	s_add_u32 s15, s21, s15
	s_addc_u32 s21, 0, s22
	s_add_u32 s22, s14, s15
	s_cselect_b64 s[14:15], -1, 0
	s_cmp_lg_u64 s[14:15], 0
	s_addc_u32 s20, s20, s21
	s_mul_i32 s14, s12, s20
	s_mul_hi_u32 s15, s12, s22
	s_add_i32 s14, s15, s14
	s_mul_i32 s19, s19, s22
	s_add_i32 s14, s14, s19
	s_mul_i32 s12, s12, s22
	s_mul_hi_u32 s19, s20, s12
	s_mul_i32 s21, s20, s12
	s_mul_i32 s24, s22, s14
	s_mul_hi_u32 s12, s22, s12
	s_mul_hi_u32 s23, s22, s14
	s_add_u32 s12, s12, s24
	s_addc_u32 s23, 0, s23
	s_add_u32 s12, s12, s21
	s_mul_hi_u32 s15, s20, s14
	s_addc_u32 s12, s23, s19
	s_addc_u32 s15, s15, 0
	s_mul_i32 s14, s20, s14
	s_add_u32 s12, s12, s14
	s_addc_u32 s19, 0, s15
	s_add_u32 s21, s22, s12
	s_cselect_b64 s[14:15], -1, 0
	s_cmp_lg_u64 s[14:15], 0
	s_addc_u32 s19, s20, s19
	s_ashr_i32 s14, s13, 31
	s_add_u32 s12, s18, s14
	s_mov_b32 s15, s14
	s_addc_u32 s13, s13, s14
	s_xor_b64 s[12:13], s[12:13], s[14:15]
	s_mul_i32 s22, s12, s19
	s_mul_hi_u32 s23, s12, s21
	s_mul_hi_u32 s20, s12, s19
	s_add_u32 s22, s23, s22
	s_addc_u32 s20, 0, s20
	s_mul_hi_u32 s24, s13, s21
	s_mul_i32 s21, s13, s21
	s_add_u32 s21, s22, s21
	s_mul_hi_u32 s23, s13, s19
	s_addc_u32 s20, s20, s24
	s_addc_u32 s21, s23, 0
	s_mul_i32 s19, s13, s19
	s_add_u32 s19, s20, s19
	s_addc_u32 s24, 0, s21
	s_mul_i32 s20, s10, s24
	s_mul_hi_u32 s21, s10, s19
	s_add_i32 s20, s21, s20
	s_mul_i32 s21, s11, s19
	s_add_i32 s25, s20, s21
	s_sub_i32 s22, s13, s25
	s_mul_i32 s20, s10, s19
	s_sub_u32 s12, s12, s20
	s_cselect_b64 s[20:21], -1, 0
	s_cmp_lg_u64 s[20:21], 0
	s_subb_u32 s26, s22, s11
	s_sub_u32 s27, s12, s10
	s_cselect_b64 s[22:23], -1, 0
	s_cmp_lg_u64 s[22:23], 0
	s_subb_u32 s22, s26, 0
	s_cmp_ge_u32 s22, s11
	s_cselect_b32 s23, -1, 0
	s_cmp_ge_u32 s27, s10
	s_cselect_b32 s26, -1, 0
	s_cmp_eq_u32 s22, s11
	s_cselect_b32 s22, s26, s23
	s_add_u32 s23, s19, 1
	s_addc_u32 s26, s24, 0
	s_add_u32 s27, s19, 2
	s_addc_u32 s28, s24, 0
	s_cmp_lg_u32 s22, 0
	s_cselect_b32 s22, s27, s23
	s_cselect_b32 s23, s28, s26
	s_cmp_lg_u64 s[20:21], 0
	s_subb_u32 s13, s13, s25
	s_cmp_ge_u32 s13, s11
	s_cselect_b32 s20, -1, 0
	s_cmp_ge_u32 s12, s10
	s_cselect_b32 s10, -1, 0
	s_cmp_eq_u32 s13, s11
	s_cselect_b32 s10, s10, s20
	s_cmp_lg_u32 s10, 0
	s_cselect_b32 s11, s23, s24
	s_cselect_b32 s10, s22, s19
	s_xor_b64 s[12:13], s[14:15], 0
	s_xor_b64 s[10:11], s[10:11], s[12:13]
	s_sub_u32 s10, s10, s12
	s_load_dwordx4 s[12:15], s[4:5], 0x44
	s_cbranch_execnz .LBB32_3
.LBB32_2:
	v_cvt_f32_u32_e32 v1, s9
	s_sub_i32 s10, 0, s9
	v_rcp_iflag_f32_e32 v1, v1
	v_mul_f32_e32 v1, 0x4f7ffffe, v1
	v_cvt_u32_f32_e32 v1, v1
	v_readfirstlane_b32 s11, v1
	s_mul_i32 s10, s10, s11
	s_mul_hi_u32 s10, s11, s10
	s_add_i32 s11, s11, s10
	s_mul_hi_u32 s10, s18, s11
	s_waitcnt lgkmcnt(0)
	s_mul_i32 s15, s10, s9
	s_sub_i32 s15, s18, s15
	s_add_i32 s11, s10, 1
	s_sub_i32 s16, s15, s9
	s_cmp_ge_u32 s15, s9
	s_cselect_b32 s10, s11, s10
	s_cselect_b32 s15, s16, s15
	s_add_i32 s11, s10, 1
	s_cmp_ge_u32 s15, s9
	s_cselect_b32 s10, s11, s10
.LBB32_3:
	s_add_i32 s11, s6, 1
	s_mul_hi_i32 s21, s3, s11
	s_mov_b32 s20, 0
	s_cmp_lg_u64 s[20:21], 0
	s_mul_i32 s11, s3, s11
	s_cbranch_scc0 .LBB32_21
; %bb.4:
	s_add_u32 s16, s9, 0
	s_addc_u32 s17, 0, 0
	s_xor_b64 s[18:19], s[16:17], 0
	v_cvt_f32_u32_e32 v1, s18
	v_cvt_f32_u32_e32 v2, s19
	s_waitcnt lgkmcnt(0)
	s_sub_u32 s15, 0, s18
	s_subb_u32 s20, 0, s19
	v_madmk_f32 v1, v2, 0x4f800000, v1
	v_rcp_f32_e32 v1, v1
	v_mul_f32_e32 v1, 0x5f7ffffc, v1
	v_mul_f32_e32 v2, 0x2f800000, v1
	v_trunc_f32_e32 v2, v2
	v_madmk_f32 v1, v2, 0xcf800000, v1
	v_cvt_u32_f32_e32 v2, v2
	v_cvt_u32_f32_e32 v1, v1
	v_readfirstlane_b32 s24, v2
	v_readfirstlane_b32 s22, v1
	s_mul_i32 s23, s15, s24
	s_mul_hi_u32 s26, s15, s22
	s_mul_i32 s25, s20, s22
	s_add_i32 s23, s26, s23
	s_add_i32 s23, s23, s25
	s_mul_i32 s27, s15, s22
	s_mul_i32 s26, s22, s23
	s_mul_hi_u32 s28, s22, s27
	s_mul_hi_u32 s25, s22, s23
	s_add_u32 s26, s28, s26
	s_addc_u32 s25, 0, s25
	s_mul_hi_u32 s29, s24, s27
	s_mul_i32 s27, s24, s27
	s_add_u32 s26, s26, s27
	s_mul_hi_u32 s28, s24, s23
	s_addc_u32 s25, s25, s29
	s_addc_u32 s26, s28, 0
	s_mul_i32 s23, s24, s23
	s_add_u32 s23, s25, s23
	s_addc_u32 s25, 0, s26
	s_add_u32 s26, s22, s23
	s_cselect_b64 s[22:23], -1, 0
	s_cmp_lg_u64 s[22:23], 0
	s_addc_u32 s24, s24, s25
	s_mul_i32 s22, s15, s24
	s_mul_hi_u32 s23, s15, s26
	s_add_i32 s22, s23, s22
	s_mul_i32 s20, s20, s26
	s_add_i32 s22, s22, s20
	s_mul_i32 s15, s15, s26
	s_mul_hi_u32 s23, s24, s15
	s_mul_i32 s25, s24, s15
	s_mul_i32 s28, s26, s22
	s_mul_hi_u32 s15, s26, s15
	s_mul_hi_u32 s27, s26, s22
	s_add_u32 s15, s15, s28
	s_addc_u32 s27, 0, s27
	s_add_u32 s15, s15, s25
	s_mul_hi_u32 s20, s24, s22
	s_addc_u32 s15, s27, s23
	s_addc_u32 s20, s20, 0
	s_mul_i32 s22, s24, s22
	s_add_u32 s15, s15, s22
	s_addc_u32 s20, 0, s20
	s_add_u32 s15, s26, s15
	s_cselect_b64 s[22:23], -1, 0
	s_cmp_lg_u64 s[22:23], 0
	s_addc_u32 s24, s24, s20
	s_ashr_i32 s22, s21, 31
	s_add_u32 s20, s11, s22
	s_mov_b32 s23, s22
	s_addc_u32 s21, s21, s22
	s_xor_b64 s[20:21], s[20:21], s[22:23]
	s_mul_i32 s26, s20, s24
	s_mul_hi_u32 s27, s20, s15
	s_mul_hi_u32 s25, s20, s24
	s_add_u32 s26, s27, s26
	s_addc_u32 s25, 0, s25
	s_mul_hi_u32 s28, s21, s15
	s_mul_i32 s15, s21, s15
	s_add_u32 s15, s26, s15
	s_mul_hi_u32 s27, s21, s24
	s_addc_u32 s15, s25, s28
	s_addc_u32 s25, s27, 0
	s_mul_i32 s24, s21, s24
	s_add_u32 s15, s15, s24
	s_addc_u32 s28, 0, s25
	s_mul_i32 s24, s18, s28
	s_mul_hi_u32 s25, s18, s15
	s_add_i32 s24, s25, s24
	s_mul_i32 s25, s19, s15
	s_add_i32 s29, s24, s25
	s_sub_i32 s26, s21, s29
	s_mul_i32 s24, s18, s15
	s_sub_u32 s20, s20, s24
	s_cselect_b64 s[24:25], -1, 0
	s_cmp_lg_u64 s[24:25], 0
	s_subb_u32 s30, s26, s19
	s_sub_u32 s31, s20, s18
	s_cselect_b64 s[26:27], -1, 0
	s_cmp_lg_u64 s[26:27], 0
	s_subb_u32 s26, s30, 0
	s_cmp_ge_u32 s26, s19
	s_cselect_b32 s27, -1, 0
	s_cmp_ge_u32 s31, s18
	s_cselect_b32 s30, -1, 0
	s_cmp_eq_u32 s26, s19
	s_cselect_b32 s26, s30, s27
	s_add_u32 s27, s15, 1
	s_addc_u32 s30, s28, 0
	s_add_u32 s31, s15, 2
	s_addc_u32 s33, s28, 0
	s_cmp_lg_u32 s26, 0
	s_cselect_b32 s26, s31, s27
	s_cselect_b32 s27, s33, s30
	s_cmp_lg_u64 s[24:25], 0
	s_subb_u32 s21, s21, s29
	s_cmp_ge_u32 s21, s19
	s_cselect_b32 s24, -1, 0
	s_cmp_ge_u32 s20, s18
	s_cselect_b32 s18, -1, 0
	s_cmp_eq_u32 s21, s19
	s_cselect_b32 s18, s18, s24
	s_cmp_lg_u32 s18, 0
	s_cselect_b32 s19, s27, s28
	s_cselect_b32 s18, s26, s15
	s_xor_b64 s[20:21], s[22:23], 0
	s_xor_b64 s[18:19], s[18:19], s[20:21]
	s_sub_u32 s18, s18, s20
	s_cbranch_execnz .LBB32_6
.LBB32_5:
	v_cvt_f32_u32_e32 v1, s9
	s_waitcnt lgkmcnt(0)
	s_sub_i32 s15, 0, s9
	v_rcp_iflag_f32_e32 v1, v1
	v_mul_f32_e32 v1, 0x4f7ffffe, v1
	v_cvt_u32_f32_e32 v1, v1
	v_readfirstlane_b32 s16, v1
	s_mul_i32 s15, s15, s16
	s_mul_hi_u32 s15, s16, s15
	s_add_i32 s16, s16, s15
	s_mul_hi_u32 s15, s11, s16
	s_mul_i32 s17, s15, s9
	s_sub_i32 s11, s11, s17
	s_add_i32 s16, s15, 1
	s_sub_i32 s17, s11, s9
	s_cmp_ge_u32 s11, s9
	s_cselect_b32 s15, s16, s15
	s_cselect_b32 s11, s17, s11
	s_add_i32 s16, s15, 1
	s_cmp_ge_u32 s11, s9
	s_cselect_b32 s18, s16, s15
.LBB32_6:
	s_cmp_eq_u32 s10, s18
	s_waitcnt lgkmcnt(0)
	s_mul_hi_u32 s11, s10, s12
	s_cselect_b64 s[16:17], -1, 0
	s_add_i32 s11, s11, s10
	s_lshr_b32 s11, s11, s13
	s_mul_i32 s15, s11, s14
	s_cmp_eq_u32 s15, s10
	s_mul_hi_u32 s15, s18, s12
	s_cselect_b64 s[20:21], -1, 0
	s_add_i32 s15, s15, s18
	s_lshr_b32 s15, s15, s13
	s_cmp_eq_u32 s11, s15
	s_mul_i32 s15, s15, s14
	s_cselect_b64 s[22:23], -1, 0
	s_cmp_lg_u32 s15, s18
	s_cselect_b64 s[18:19], -1, 0
	s_and_b64 s[18:19], s[22:23], s[18:19]
	s_or_b64 s[16:17], s[16:17], s[20:21]
	s_or_b64 s[16:17], s[16:17], s[18:19]
	s_and_b64 vcc, exec, s[16:17]
	s_cbranch_vccnz .LBB32_23
; %bb.7:
	s_load_dwordx8 s[20:27], s[4:5], 0x20
	s_load_dword s15, s[4:5], 0x40
	s_waitcnt lgkmcnt(0)
	s_mul_hi_u32 s16, s10, s20
	s_add_i32 s16, s16, s10
	s_lshr_b32 s20, s16, s21
	s_mul_i32 s16, s20, s22
	s_sub_i32 s16, s10, s16
	s_mul_hi_u32 s17, s16, s23
	s_add_i32 s17, s16, s17
	s_lshr_b32 s21, s17, s24
	s_mul_i32 s17, s21, s25
	s_sub_i32 s16, s16, s17
	;; [unrolled: 5-line block ×3, first 2 shown]
	s_mul_hi_u32 s16, s15, s12
	s_add_i32 s15, s15, s16
	s_lshr_b32 s23, s15, s13
	s_lshl_b32 s24, s17, 2
	s_add_i32 s23, s23, s7
	s_cmp_lt_i32 s23, s0
	s_cselect_b64 s[16:17], -1, 0
	s_add_i32 s24, s24, s8
	s_cmp_lt_i32 s24, s2
	s_cselect_b64 s[18:19], -1, 0
	s_and_b64 s[16:17], s[16:17], s[18:19]
	s_andn2_b64 vcc, exec, s[16:17]
	s_cbranch_vccnz .LBB32_23
; %bb.8:
	s_load_dwordx4 s[16:19], s[4:5], 0x0
	s_mov_b32 s4, 0
	s_lshl_b32 s26, s9, 4
	s_mov_b32 s27, s4
	s_lshl_b64 s[26:27], s[26:27], 2
	s_waitcnt lgkmcnt(0)
	s_add_u32 s15, s18, s26
	s_mul_i32 s20, s20, s0
	s_addc_u32 s22, s19, s27
	s_mul_i32 s21, s21, s2
	s_add_i32 s0, s23, s20
	s_mul_i32 s0, s0, s1
	s_add_i32 s1, s24, s21
	s_add_i32 s1, s1, s0
	v_lshl_or_b32 v1, s1, 7, v0
	v_ashrrev_i32_e32 v2, 31, v1
	v_lshlrev_b64 v[1:2], 2, v[1:2]
	v_mov_b32_e32 v3, s17
	v_add_co_u32_e32 v1, vcc, s16, v1
	v_addc_co_u32_e32 v2, vcc, v3, v2, vcc
	global_load_dword v3, v[1:2], off
	s_add_i32 s0, s7, s6
	v_cvt_f32_u32_e32 v4, s9
	s_lshl_b32 s0, s0, 2
	s_add_i32 s0, s0, s8
	s_ashr_i32 s1, s0, 31
	s_lshl_b64 s[0:1], s[0:1], 3
	v_rcp_iflag_f32_e32 v4, v4
	s_add_u32 s0, s18, s0
	s_addc_u32 s1, s19, s1
	s_load_dwordx2 s[0:1], s[0:1], 0x0
	v_mul_f32_e32 v4, 0x4f7ffffe, v4
	v_cvt_u32_f32_e32 v4, v4
	s_add_i32 s25, s6, -1
	v_lshl_or_b32 v0, s8, 7, v0
	s_waitcnt lgkmcnt(0)
	v_mov_b32_e32 v6, s1
	v_mov_b32_e32 v7, s0
	s_mov_b32 s2, 0x3fb8aa3b
	s_mov_b32 s6, 0xc2ce8ed0
	;; [unrolled: 1-line block ×4, first 2 shown]
	v_mov_b32_e32 v5, 0x7f800000
	s_mul_hi_i32 s5, s25, s3
	s_cmp_lg_u64 s[4:5], 0
	s_mul_i32 s20, s25, s3
	s_cbranch_scc0 .LBB32_19
.LBB32_9:
	s_add_u32 s0, s9, 0
	s_addc_u32 s1, 0, 0
	s_xor_b64 s[0:1], s[0:1], 0
	v_cvt_f32_u32_e32 v8, s0
	v_cvt_f32_u32_e32 v9, s1
	s_sub_u32 s21, 0, s0
	s_subb_u32 s26, 0, s1
	v_mac_f32_e32 v8, 0x4f800000, v9
	v_rcp_f32_e32 v8, v8
	v_mul_f32_e32 v8, 0x5f7ffffc, v8
	v_mul_f32_e32 v9, 0x2f800000, v8
	v_trunc_f32_e32 v9, v9
	v_mac_f32_e32 v8, 0xcf800000, v9
	v_cvt_u32_f32_e32 v9, v9
	v_cvt_u32_f32_e32 v8, v8
	v_readfirstlane_b32 s27, v9
	v_readfirstlane_b32 s16, v8
	s_mul_i32 s17, s21, s27
	s_mul_hi_u32 s29, s21, s16
	s_mul_i32 s28, s26, s16
	s_add_i32 s17, s29, s17
	s_mul_i32 s30, s21, s16
	s_add_i32 s17, s17, s28
	s_mul_i32 s29, s16, s17
	s_mul_hi_u32 s31, s16, s30
	s_mul_hi_u32 s28, s16, s17
	s_add_u32 s29, s31, s29
	s_addc_u32 s28, 0, s28
	s_mul_hi_u32 s33, s27, s30
	s_mul_i32 s30, s27, s30
	s_add_u32 s29, s29, s30
	s_mul_hi_u32 s31, s27, s17
	s_addc_u32 s28, s28, s33
	s_addc_u32 s29, s31, 0
	s_mul_i32 s17, s27, s17
	s_add_u32 s17, s28, s17
	s_addc_u32 s28, 0, s29
	s_add_u32 s29, s16, s17
	s_cselect_b64 s[16:17], -1, 0
	s_cmp_lg_u64 s[16:17], 0
	s_addc_u32 s27, s27, s28
	s_mul_i32 s16, s21, s27
	s_mul_hi_u32 s17, s21, s29
	s_add_i32 s16, s17, s16
	s_mul_i32 s26, s26, s29
	s_add_i32 s16, s16, s26
	s_mul_i32 s21, s21, s29
	s_mul_hi_u32 s26, s27, s21
	s_mul_i32 s28, s27, s21
	s_mul_i32 s31, s29, s16
	s_mul_hi_u32 s21, s29, s21
	s_mul_hi_u32 s30, s29, s16
	s_add_u32 s21, s21, s31
	s_addc_u32 s30, 0, s30
	s_add_u32 s21, s21, s28
	s_mul_hi_u32 s17, s27, s16
	s_addc_u32 s21, s30, s26
	s_addc_u32 s17, s17, 0
	s_mul_i32 s16, s27, s16
	s_add_u32 s16, s21, s16
	s_addc_u32 s21, 0, s17
	s_add_u32 s28, s29, s16
	s_cselect_b64 s[16:17], -1, 0
	s_cmp_lg_u64 s[16:17], 0
	s_addc_u32 s21, s27, s21
	s_ashr_i32 s16, s5, 31
	s_add_u32 s26, s20, s16
	s_mov_b32 s17, s16
	s_addc_u32 s27, s5, s16
	s_xor_b64 s[26:27], s[26:27], s[16:17]
	s_mul_i32 s29, s26, s21
	s_mul_hi_u32 s30, s26, s28
	s_mul_hi_u32 s5, s26, s21
	s_add_u32 s29, s30, s29
	s_addc_u32 s5, 0, s5
	s_mul_hi_u32 s31, s27, s28
	s_mul_i32 s28, s27, s28
	s_add_u32 s28, s29, s28
	s_mul_hi_u32 s30, s27, s21
	s_addc_u32 s5, s5, s31
	s_addc_u32 s28, s30, 0
	s_mul_i32 s21, s27, s21
	s_add_u32 s5, s5, s21
	s_addc_u32 s21, 0, s28
	s_mul_i32 s28, s0, s21
	s_mul_hi_u32 s29, s0, s5
	s_add_i32 s28, s29, s28
	s_mul_i32 s29, s1, s5
	s_add_i32 s33, s28, s29
	s_sub_i32 s30, s27, s33
	s_mul_i32 s28, s0, s5
	s_sub_u32 s26, s26, s28
	s_cselect_b64 s[28:29], -1, 0
	s_cmp_lg_u64 s[28:29], 0
	s_subb_u32 s34, s30, s1
	s_sub_u32 s35, s26, s0
	s_cselect_b64 s[30:31], -1, 0
	s_cmp_lg_u64 s[30:31], 0
	s_subb_u32 s30, s34, 0
	s_cmp_ge_u32 s30, s1
	s_cselect_b32 s31, -1, 0
	s_cmp_ge_u32 s35, s0
	s_cselect_b32 s34, -1, 0
	s_cmp_eq_u32 s30, s1
	s_cselect_b32 s30, s34, s31
	s_add_u32 s31, s5, 1
	s_addc_u32 s34, s21, 0
	s_add_u32 s35, s5, 2
	s_addc_u32 s36, s21, 0
	s_cmp_lg_u32 s30, 0
	s_cselect_b32 s30, s35, s31
	s_cselect_b32 s31, s36, s34
	s_cmp_lg_u64 s[28:29], 0
	s_subb_u32 s27, s27, s33
	s_cmp_ge_u32 s27, s1
	s_cselect_b32 s28, -1, 0
	s_cmp_ge_u32 s26, s0
	s_cselect_b32 s0, -1, 0
	s_cmp_eq_u32 s27, s1
	s_cselect_b32 s0, s0, s28
	s_cmp_lg_u32 s0, 0
	s_cselect_b32 s1, s31, s21
	s_cselect_b32 s0, s30, s5
	s_xor_b64 s[16:17], s[16:17], 0
	s_xor_b64 s[0:1], s[0:1], s[16:17]
	s_sub_u32 s16, s0, s16
	s_cbranch_execnz .LBB32_11
.LBB32_10:
	s_sub_i32 s0, 0, s9
	v_readfirstlane_b32 s1, v4
	s_mul_i32 s0, s0, s1
	s_mul_hi_u32 s0, s1, s0
	s_add_i32 s1, s1, s0
	s_mul_hi_u32 s0, s20, s1
	s_mul_i32 s5, s0, s9
	s_sub_i32 s5, s20, s5
	s_add_i32 s1, s0, 1
	s_sub_i32 s16, s5, s9
	s_cmp_ge_u32 s5, s9
	s_cselect_b32 s0, s1, s0
	s_cselect_b32 s5, s16, s5
	s_add_i32 s1, s0, 1
	s_cmp_ge_u32 s5, s9
	s_cselect_b32 s16, s1, s0
.LBB32_11:
	s_cmp_lg_u32 s10, s16
	s_mov_b64 s[20:21], -1
                                        ; implicit-def: $sgpr0_sgpr1
                                        ; implicit-def: $vgpr10
                                        ; implicit-def: $vgpr8
                                        ; implicit-def: $vgpr9
                                        ; implicit-def: $sgpr5
                                        ; implicit-def: $sgpr17
	s_cbranch_scc1 .LBB32_14
; %bb.12:
	s_andn2_b64 vcc, exec, s[20:21]
	s_cbranch_vccz .LBB32_17
.LBB32_13:
	s_andn2_b64 vcc, exec, s[0:1]
	s_cbranch_vccnz .LBB32_18
	s_branch .LBB32_22
.LBB32_14:
	s_add_i32 s26, s25, s7
	s_add_i32 s0, s26, s9
	s_lshl_b32 s0, s0, 2
	s_add_i32 s0, s0, s8
	s_mov_b32 s1, s4
	s_lshl_b64 s[0:1], s[0:1], 3
	s_add_u32 s20, s18, s0
	s_mul_hi_u32 s0, s16, s12
	s_addc_u32 s21, s19, s1
	s_add_i32 s0, s0, s16
	s_lshr_b32 s5, s0, s13
	s_mul_i32 s0, s5, s14
	s_cmp_eq_u32 s0, s16
	s_cselect_b64 s[0:1], -1, 0
	s_cmp_lt_u32 s5, s11
	s_cselect_b64 s[28:29], -1, 0
	s_or_b64 s[28:29], s[28:29], s[0:1]
	s_mov_b64 s[0:1], -1
	s_and_b64 vcc, exec, s[28:29]
	s_mov_b32 s5, s25
	s_mov_b32 s17, s10
	s_cbranch_vccnz .LBB32_16
; %bb.15:
	s_add_i32 s5, s25, -1
	s_mov_b64 s[0:1], 0
	s_mov_b32 s17, s16
.LBB32_16:
	v_lshl_add_u32 v8, s26, 9, v0
	v_ashrrev_i32_e32 v9, 31, v8
	v_lshlrev_b64 v[8:9], 2, v[8:9]
	v_mov_b32_e32 v10, s22
	v_add_co_u32_e32 v8, vcc, s15, v8
	v_addc_co_u32_e32 v9, vcc, v10, v9, vcc
	global_load_dword v10, v[8:9], off
	s_load_dwordx2 s[20:21], s[20:21], 0x0
	v_max_f32_e32 v8, v7, v7
	s_waitcnt lgkmcnt(0)
	v_max_f32_e64 v9, s20, s20
	v_max_f32_e32 v8, v8, v9
	v_sub_f32_e32 v9, v7, v8
	v_sub_f32_e32 v11, s20, v8
	v_mul_f32_e32 v12, 0x3fb8aa3b, v9
	v_mul_f32_e32 v13, 0x3fb8aa3b, v11
	v_fma_f32 v14, v9, s2, -v12
	v_rndne_f32_e32 v15, v12
	v_fma_f32 v16, v11, s2, -v13
	v_rndne_f32_e32 v17, v13
	v_fmac_f32_e32 v14, 0x32a5705f, v9
	v_sub_f32_e32 v12, v12, v15
	v_fmac_f32_e32 v16, 0x32a5705f, v11
	v_sub_f32_e32 v13, v13, v17
	v_add_f32_e32 v12, v12, v14
	v_cvt_i32_f32_e32 v15, v15
	v_add_f32_e32 v13, v13, v16
	v_exp_f32_e32 v12, v12
	v_cvt_i32_f32_e32 v17, v17
	v_exp_f32_e32 v13, v13
	v_cmp_ngt_f32_e32 vcc, s6, v9
	v_ldexp_f32 v12, v12, v15
	v_cndmask_b32_e32 v12, 0, v12, vcc
	v_ldexp_f32 v13, v13, v17
	v_cmp_ngt_f32_e32 vcc, s6, v11
	v_cndmask_b32_e32 v13, 0, v13, vcc
	v_cmp_nlt_f32_e32 vcc, s23, v9
	v_cndmask_b32_e32 v12, v5, v12, vcc
	v_cmp_nlt_f32_e32 vcc, s23, v11
	v_cndmask_b32_e32 v13, v5, v13, vcc
	v_cmp_le_f32_e32 vcc, s24, v9
	v_cndmask_b32_e32 v12, 0, v12, vcc
	v_cmp_le_f32_e32 vcc, s24, v11
	v_cndmask_b32_e32 v11, 0, v13, vcc
	v_mul_f32_e32 v9, s21, v11
	v_fmac_f32_e32 v9, v6, v12
	s_waitcnt vmcnt(0)
	v_mul_f32_e32 v10, v10, v11
	v_fmac_f32_e32 v10, v3, v12
	s_cbranch_execnz .LBB32_13
.LBB32_17:
	s_add_i32 s5, s25, -1
	s_mov_b32 s17, s10
	v_mov_b32_e32 v9, v6
	v_mov_b32_e32 v8, v7
	s_waitcnt vmcnt(0)
	v_mov_b32_e32 v10, v3
	s_cbranch_execz .LBB32_22
.LBB32_18:
	s_mov_b32 s10, s17
	s_mov_b32 s25, s5
	v_mov_b32_e32 v6, v9
	v_mov_b32_e32 v7, v8
	s_waitcnt vmcnt(0)
	v_mov_b32_e32 v3, v10
	s_mul_hi_i32 s5, s25, s3
	s_cmp_lg_u64 s[4:5], 0
	s_mul_i32 s20, s25, s3
	s_cbranch_scc1 .LBB32_9
.LBB32_19:
                                        ; implicit-def: $sgpr16_sgpr17
	s_branch .LBB32_10
.LBB32_20:
                                        ; implicit-def: $sgpr10_sgpr11
	s_load_dwordx4 s[12:15], s[4:5], 0x44
	s_branch .LBB32_2
.LBB32_21:
                                        ; implicit-def: $sgpr18_sgpr19
	s_branch .LBB32_5
.LBB32_22:
	v_div_scale_f32 v0, s[0:1], v9, v9, v10
	s_waitcnt vmcnt(0)
	v_div_scale_f32 v3, vcc, v10, v9, v10
	v_rcp_f32_e32 v4, v0
	v_fma_f32 v5, -v0, v4, 1.0
	v_fmac_f32_e32 v4, v5, v4
	v_mul_f32_e32 v5, v3, v4
	v_fma_f32 v6, -v0, v5, v3
	v_fmac_f32_e32 v5, v6, v4
	v_fma_f32 v0, -v0, v5, v3
	v_div_fmas_f32 v0, v0, v4, v5
	v_div_fixup_f32 v0, v0, v9, v10
	global_store_dword v[1:2], v0, off
.LBB32_23:
	s_endpgm
	.section	.rodata,"a",@progbits
	.p2align	6, 0x0
	.amdhsa_kernel _ZL33flash_attn_stream_k_fixup_generalILi128ELi1ELi4EEvPfPK15HIP_vector_typeIfLj2EEiiiiS1_IjLj3EES5_S5_S5_
		.amdhsa_group_segment_fixed_size 0
		.amdhsa_private_segment_fixed_size 0
		.amdhsa_kernarg_size 336
		.amdhsa_user_sgpr_count 6
		.amdhsa_user_sgpr_private_segment_buffer 1
		.amdhsa_user_sgpr_dispatch_ptr 0
		.amdhsa_user_sgpr_queue_ptr 0
		.amdhsa_user_sgpr_kernarg_segment_ptr 1
		.amdhsa_user_sgpr_dispatch_id 0
		.amdhsa_user_sgpr_flat_scratch_init 0
		.amdhsa_user_sgpr_private_segment_size 0
		.amdhsa_uses_dynamic_stack 0
		.amdhsa_system_sgpr_private_segment_wavefront_offset 0
		.amdhsa_system_sgpr_workgroup_id_x 1
		.amdhsa_system_sgpr_workgroup_id_y 1
		.amdhsa_system_sgpr_workgroup_id_z 1
		.amdhsa_system_sgpr_workgroup_info 0
		.amdhsa_system_vgpr_workitem_id 0
		.amdhsa_next_free_vgpr 18
		.amdhsa_next_free_sgpr 37
		.amdhsa_reserve_vcc 1
		.amdhsa_reserve_flat_scratch 0
		.amdhsa_float_round_mode_32 0
		.amdhsa_float_round_mode_16_64 0
		.amdhsa_float_denorm_mode_32 3
		.amdhsa_float_denorm_mode_16_64 3
		.amdhsa_dx10_clamp 1
		.amdhsa_ieee_mode 1
		.amdhsa_fp16_overflow 0
		.amdhsa_exception_fp_ieee_invalid_op 0
		.amdhsa_exception_fp_denorm_src 0
		.amdhsa_exception_fp_ieee_div_zero 0
		.amdhsa_exception_fp_ieee_overflow 0
		.amdhsa_exception_fp_ieee_underflow 0
		.amdhsa_exception_fp_ieee_inexact 0
		.amdhsa_exception_int_div_zero 0
	.end_amdhsa_kernel
	.section	.text._ZL33flash_attn_stream_k_fixup_generalILi128ELi1ELi4EEvPfPK15HIP_vector_typeIfLj2EEiiiiS1_IjLj3EES5_S5_S5_,"axG",@progbits,_ZL33flash_attn_stream_k_fixup_generalILi128ELi1ELi4EEvPfPK15HIP_vector_typeIfLj2EEiiiiS1_IjLj3EES5_S5_S5_,comdat
.Lfunc_end32:
	.size	_ZL33flash_attn_stream_k_fixup_generalILi128ELi1ELi4EEvPfPK15HIP_vector_typeIfLj2EEiiiiS1_IjLj3EES5_S5_S5_, .Lfunc_end32-_ZL33flash_attn_stream_k_fixup_generalILi128ELi1ELi4EEvPfPK15HIP_vector_typeIfLj2EEiiiiS1_IjLj3EES5_S5_S5_
                                        ; -- End function
	.set _ZL33flash_attn_stream_k_fixup_generalILi128ELi1ELi4EEvPfPK15HIP_vector_typeIfLj2EEiiiiS1_IjLj3EES5_S5_S5_.num_vgpr, 18
	.set _ZL33flash_attn_stream_k_fixup_generalILi128ELi1ELi4EEvPfPK15HIP_vector_typeIfLj2EEiiiiS1_IjLj3EES5_S5_S5_.num_agpr, 0
	.set _ZL33flash_attn_stream_k_fixup_generalILi128ELi1ELi4EEvPfPK15HIP_vector_typeIfLj2EEiiiiS1_IjLj3EES5_S5_S5_.numbered_sgpr, 37
	.set _ZL33flash_attn_stream_k_fixup_generalILi128ELi1ELi4EEvPfPK15HIP_vector_typeIfLj2EEiiiiS1_IjLj3EES5_S5_S5_.num_named_barrier, 0
	.set _ZL33flash_attn_stream_k_fixup_generalILi128ELi1ELi4EEvPfPK15HIP_vector_typeIfLj2EEiiiiS1_IjLj3EES5_S5_S5_.private_seg_size, 0
	.set _ZL33flash_attn_stream_k_fixup_generalILi128ELi1ELi4EEvPfPK15HIP_vector_typeIfLj2EEiiiiS1_IjLj3EES5_S5_S5_.uses_vcc, 1
	.set _ZL33flash_attn_stream_k_fixup_generalILi128ELi1ELi4EEvPfPK15HIP_vector_typeIfLj2EEiiiiS1_IjLj3EES5_S5_S5_.uses_flat_scratch, 0
	.set _ZL33flash_attn_stream_k_fixup_generalILi128ELi1ELi4EEvPfPK15HIP_vector_typeIfLj2EEiiiiS1_IjLj3EES5_S5_S5_.has_dyn_sized_stack, 0
	.set _ZL33flash_attn_stream_k_fixup_generalILi128ELi1ELi4EEvPfPK15HIP_vector_typeIfLj2EEiiiiS1_IjLj3EES5_S5_S5_.has_recursion, 0
	.set _ZL33flash_attn_stream_k_fixup_generalILi128ELi1ELi4EEvPfPK15HIP_vector_typeIfLj2EEiiiiS1_IjLj3EES5_S5_S5_.has_indirect_call, 0
	.section	.AMDGPU.csdata,"",@progbits
; Kernel info:
; codeLenInByte = 2920
; TotalNumSgprs: 41
; NumVgprs: 18
; ScratchSize: 0
; MemoryBound: 0
; FloatMode: 240
; IeeeMode: 1
; LDSByteSize: 0 bytes/workgroup (compile time only)
; SGPRBlocks: 5
; VGPRBlocks: 4
; NumSGPRsForWavesPerEU: 41
; NumVGPRsForWavesPerEU: 18
; Occupancy: 10
; WaveLimiterHint : 0
; COMPUTE_PGM_RSRC2:SCRATCH_EN: 0
; COMPUTE_PGM_RSRC2:USER_SGPR: 6
; COMPUTE_PGM_RSRC2:TRAP_HANDLER: 0
; COMPUTE_PGM_RSRC2:TGID_X_EN: 1
; COMPUTE_PGM_RSRC2:TGID_Y_EN: 1
; COMPUTE_PGM_RSRC2:TGID_Z_EN: 1
; COMPUTE_PGM_RSRC2:TIDIG_COMP_CNT: 0
	.section	.text._ZL15flash_attn_tileILi128ELi128ELi32ELi2ELb0EEvPKcS1_S1_S1_S1_PKiPfP15HIP_vector_typeIfLj2EEffffjfiS5_IjLj3EEiiiiiiiiiiiliiliiiiil,"axG",@progbits,_ZL15flash_attn_tileILi128ELi128ELi32ELi2ELb0EEvPKcS1_S1_S1_S1_PKiPfP15HIP_vector_typeIfLj2EEffffjfiS5_IjLj3EEiiiiiiiiiiiliiliiiiil,comdat
	.globl	_ZL15flash_attn_tileILi128ELi128ELi32ELi2ELb0EEvPKcS1_S1_S1_S1_PKiPfP15HIP_vector_typeIfLj2EEffffjfiS5_IjLj3EEiiiiiiiiiiiliiliiiiil ; -- Begin function _ZL15flash_attn_tileILi128ELi128ELi32ELi2ELb0EEvPKcS1_S1_S1_S1_PKiPfP15HIP_vector_typeIfLj2EEffffjfiS5_IjLj3EEiiiiiiiiiiiliiliiiiil
	.p2align	8
	.type	_ZL15flash_attn_tileILi128ELi128ELi32ELi2ELb0EEvPKcS1_S1_S1_S1_PKiPfP15HIP_vector_typeIfLj2EEffffjfiS5_IjLj3EEiiiiiiiiiiiliiliiiiil,@function
_ZL15flash_attn_tileILi128ELi128ELi32ELi2ELb0EEvPKcS1_S1_S1_S1_PKiPfP15HIP_vector_typeIfLj2EEffffjfiS5_IjLj3EEiiiiiiiiiiiliiliiiiil: ; @_ZL15flash_attn_tileILi128ELi128ELi32ELi2ELb0EEvPKcS1_S1_S1_S1_PKiPfP15HIP_vector_typeIfLj2EEffffjfiS5_IjLj3EEiiiiiiiiiiiliiliiiiil
; %bb.0:
	s_mov_b64 s[46:47], s[2:3]
	s_mov_b64 s[44:45], s[0:1]
	s_load_dwordx4 s[0:3], s[4:5], 0x5c
	s_load_dwordx2 s[30:31], s[4:5], 0x80
	s_add_u32 s44, s44, s9
	s_addc_u32 s45, s45, 0
	v_mov_b32_e32 v62, v0
	s_waitcnt lgkmcnt(0)
	s_lshr_b32 s9, s3, 31
	s_add_i32 s9, s3, s9
	s_ashr_i32 s9, s9, 1
	v_cvt_f32_u32_e32 v0, s9
	s_sub_i32 s10, 0, s9
	s_load_dwordx2 s[36:37], s[4:5], 0xb8
	s_mov_b64 s[34:35], 0
	v_rcp_iflag_f32_e32 v0, v0
	v_mul_f32_e32 v0, 0x4f7ffffe, v0
	v_cvt_u32_f32_e32 v0, v0
	v_readfirstlane_b32 s11, v0
	s_mul_i32 s10, s10, s11
	s_mul_hi_u32 s10, s11, s10
	s_add_i32 s11, s11, s10
	s_mul_hi_u32 s10, s8, s11
	s_mul_i32 s11, s10, s9
	s_sub_i32 s11, s8, s11
	s_add_i32 s12, s10, 1
	s_sub_i32 s13, s11, s9
	s_cmp_ge_u32 s11, s9
	s_cselect_b32 s10, s12, s10
	s_cselect_b32 s11, s13, s11
	s_add_i32 s12, s10, 1
	s_cmp_ge_u32 s11, s9
	s_cselect_b32 s33, s12, s10
	s_abs_i32 s9, s31
	v_cvt_f32_u32_e32 v0, s9
	s_lshl_b32 s8, s8, 1
	s_mul_i32 s12, s33, s3
	s_sub_i32 s13, 0, s9
	v_rcp_iflag_f32_e32 v0, v0
	s_sub_i32 s28, s8, s12
	s_abs_i32 s11, s3
	s_xor_b32 s10, s3, s31
	v_mul_f32_e32 v0, 0x4f7ffffe, v0
	v_cvt_u32_f32_e32 v0, v0
	s_ashr_i32 s10, s10, 31
	v_readfirstlane_b32 s8, v0
	s_mul_i32 s13, s13, s8
	s_mul_hi_u32 s12, s8, s13
	s_add_i32 s8, s8, s12
	s_mul_hi_u32 s8, s11, s8
	s_mul_i32 s12, s8, s9
	s_sub_i32 s11, s11, s12
	s_add_i32 s13, s8, 1
	s_sub_i32 s12, s11, s9
	s_cmp_ge_u32 s11, s9
	s_cselect_b32 s8, s13, s8
	s_cselect_b32 s11, s12, s11
	s_add_i32 s12, s8, 1
	s_cmp_ge_u32 s11, s9
	s_cselect_b32 s8, s12, s8
	s_xor_b32 s8, s8, s10
	s_sub_i32 s31, s8, s10
	s_abs_i32 s29, s31
	v_cvt_f32_u32_e32 v0, s29
	s_load_dwordx16 s[8:23], s[4:5], 0x0
	v_rcp_iflag_f32_e32 v0, v0
	s_waitcnt lgkmcnt(0)
	s_cmp_eq_u64 s[14:15], 0
	v_mul_f32_e32 v0, 0x4f7ffffe, v0
	v_cvt_u32_f32_e32 v0, v0
	v_readfirstlane_b32 s38, v0
	s_cbranch_scc1 .LBB33_2
; %bb.1:
	s_abs_i32 s26, s36
	v_cvt_f32_u32_e32 v0, s26
	s_sub_i32 s35, 0, s26
	s_abs_i32 s34, s33
	s_ashr_i32 s27, s33, 31
	v_rcp_iflag_f32_e32 v0, v0
	s_load_dwordx2 s[24:25], s[4:5], 0xc8
	v_mul_f32_e32 v0, 0x4f7ffffe, v0
	v_cvt_u32_f32_e32 v0, v0
	v_readfirstlane_b32 s36, v0
	s_mul_i32 s35, s35, s36
	s_mul_hi_u32 s35, s36, s35
	s_add_i32 s36, s36, s35
	s_mul_hi_u32 s35, s34, s36
	s_mul_i32 s35, s35, s26
	s_sub_i32 s34, s34, s35
	s_sub_i32 s35, s34, s26
	s_cmp_ge_u32 s34, s26
	s_cselect_b32 s34, s35, s34
	s_sub_i32 s35, s34, s26
	s_cmp_ge_u32 s34, s26
	s_cselect_b32 s26, s35, s34
	s_xor_b32 s26, s26, s27
	s_sub_i32 s26, s26, s27
	s_ashr_i32 s27, s26, 31
	s_waitcnt lgkmcnt(0)
	s_mul_hi_u32 s34, s24, s26
	s_mul_i32 s27, s24, s27
	s_mul_i32 s25, s25, s26
	s_add_i32 s27, s34, s27
	s_add_i32 s27, s27, s25
	s_mul_i32 s24, s24, s26
	s_add_u32 s34, s14, s24
	s_addc_u32 s35, s15, s27
.LBB33_2:
	s_lshl_b32 s14, s6, 5
	v_lshlrev_b32_e32 v65, 2, v1
	s_load_dwordx4 s[24:27], s[4:5], 0x70
	v_add_u32_e32 v67, s14, v65
	v_mul_hi_u32 v0, v67, s0
	v_lshlrev_b32_e32 v58, 11, v1
	s_waitcnt lgkmcnt(0)
	s_mul_i32 s15, s33, s26
	v_add_u32_e32 v0, v67, v0
	s_ashr_i32 s27, s15, 31
	v_lshrrev_b32_e32 v0, s1, v0
	s_mul_i32 s26, s28, s25
	s_add_u32 s8, s8, s15
	v_mul_lo_u32 v0, v0, s2
	s_addc_u32 s9, s9, s27
	s_ashr_i32 s27, s26, 31
	s_add_u32 s15, s8, s26
	s_addc_u32 s26, s9, s27
	s_ashr_i32 s41, s24, 31
	s_mov_b32 s40, s24
	s_lshr_b64 s[8:9], s[40:41], 2
	v_sub_u32_e32 v4, v67, v0
	v_mad_u64_u32 v[2:3], s[42:43], s8, v4, 0
	s_lshr_b32 s24, s41, 2
	s_ashr_i32 s27, s25, 31
	v_mov_b32_e32 v0, v3
	v_mad_u64_u32 v[5:6], s[40:41], s24, v4, v[0:1]
	v_mov_b32_e32 v0, s26
	s_and_b32 s25, s25, -4
	v_mov_b32_e32 v3, v5
	v_lshlrev_b64 v[14:15], 2, v[2:3]
	v_lshlrev_b32_e32 v2, 4, v62
	v_add_co_u32_e32 v3, vcc, s15, v14
	v_addc_co_u32_e32 v0, vcc, v0, v15, vcc
	v_add_co_u32_e32 v5, vcc, v3, v2
	v_addc_co_u32_e32 v6, vcc, 0, v0, vcc
	global_load_dwordx4 v[10:13], v[5:6], off
	v_lshlrev_b32_e32 v5, 3, v1
	v_or_b32_e32 v7, 2, v5
	v_or_b32_e32 v8, 3, v5
	v_lshrrev_b32_e32 v64, 1, v7
	v_lshrrev_b32_e32 v54, 1, v8
	v_add_u32_e32 v66, s14, v64
	v_add_u32_e32 v63, s14, v54
	v_mul_hi_u32 v0, v66, s0
	v_mul_hi_u32 v16, v63, s0
	s_add_u32 s36, s15, s25
	s_addc_u32 s39, s26, s27
	v_add_u32_e32 v0, v66, v0
	v_add_u32_e32 v16, v63, v16
	v_lshrrev_b32_e32 v0, s1, v0
	v_lshrrev_b32_e32 v16, s1, v16
	v_mul_lo_u32 v0, v0, s2
	v_mul_lo_u32 v16, v16, s2
	v_or_b32_e32 v9, 4, v5
	v_add_co_u32_e32 v14, vcc, s36, v14
	v_sub_u32_e32 v20, v66, v0
	v_sub_u32_e32 v21, v63, v16
	v_mad_u64_u32 v[16:17], s[40:41], s8, v20, 0
	v_mad_u64_u32 v[18:19], s[40:41], s8, v21, 0
	v_mov_b32_e32 v0, v17
	s_load_dword s9, s[4:5], 0x40
	v_mov_b32_e32 v17, v19
	v_mad_u64_u32 v[19:20], s[40:41], s24, v20, v[0:1]
	v_mad_u64_u32 v[20:21], s[40:41], s24, v21, v[17:18]
	v_mov_b32_e32 v0, s39
	v_lshrrev_b32_e32 v49, 1, v9
	v_mov_b32_e32 v17, v19
	v_addc_co_u32_e32 v0, vcc, v0, v15, vcc
	v_add_u32_e32 v52, s14, v49
	v_mov_b32_e32 v19, v20
	v_lshlrev_b64 v[20:21], 2, v[16:17]
	v_add_co_u32_e32 v14, vcc, v14, v2
	v_mul_hi_u32 v24, v52, s0
	v_addc_co_u32_e32 v15, vcc, 0, v0, vcc
	v_mov_b32_e32 v22, s26
	v_add_co_u32_e32 v0, vcc, s15, v20
	v_addc_co_u32_e32 v20, vcc, v22, v21, vcc
	v_add_co_u32_e32 v22, vcc, v0, v2
	v_lshlrev_b64 v[18:19], 2, v[18:19]
	v_addc_co_u32_e32 v23, vcc, 0, v20, vcc
	v_mov_b32_e32 v25, s39
	v_or_b32_e32 v41, 5, v5
	global_load_dwordx4 v[14:17], v[14:15], off
	v_lshrrev_b32_e32 v50, 1, v41
	v_add_u32_e32 v51, s14, v50
	v_or_b32_e32 v42, 6, v5
	v_lshrrev_b32_e32 v47, 1, v42
	v_add_u32_e32 v48, s14, v47
	v_or_b32_e32 v43, 7, v5
	v_lshrrev_b32_e32 v45, 1, v43
	v_add_u32_e32 v46, s14, v45
	v_lshlrev_b32_e32 v3, 3, v62
	v_or_b32_e32 v6, v3, v58
	v_lshl_add_u32 v8, v8, 8, v3
	s_cmp_eq_u64 s[18:19], 0
	s_waitcnt vmcnt(1) lgkmcnt(0)
	v_fma_mixlo_f16 v0, s9, v10, 0
	v_fma_mixlo_f16 v10, s9, v11, 0
	;; [unrolled: 1-line block ×3, first 2 shown]
	v_lshlrev_b32_e32 v38, 16, v11
	v_add_u32_e32 v11, v52, v24
	v_lshrrev_b32_e32 v11, s1, v11
	v_lshlrev_b32_e32 v10, 16, v10
	v_and_b32_e32 v0, 0xffff, v0
	v_mul_lo_u32 v26, v11, s2
	v_or_b32_e32 v40, v10, v0
	v_add_co_u32_e32 v0, vcc, s36, v18
	v_addc_co_u32_e32 v10, vcc, v25, v19, vcc
	v_add_co_u32_e32 v24, vcc, v0, v2
	v_fma_mixlo_f16 v37, s9, v12, 0
	v_addc_co_u32_e32 v25, vcc, 0, v10, vcc
	global_load_dwordx4 v[10:13], v[22:23], off
	global_load_dwordx4 v[18:21], v[24:25], off
	v_sub_u32_e32 v24, v52, v26
	v_mad_u64_u32 v[22:23], s[40:41], s8, v24, 0
	v_mul_hi_u32 v25, v51, s0
	v_mov_b32_e32 v26, s26
	v_mov_b32_e32 v0, v23
	v_mad_u64_u32 v[23:24], s[40:41], s24, v24, v[0:1]
	v_add_u32_e32 v0, v51, v25
	v_lshrrev_b32_e32 v0, s1, v0
	v_mul_lo_u32 v0, v0, s2
	v_lshlrev_b64 v[22:23], 2, v[22:23]
	v_add_co_u32_e32 v28, vcc, s15, v22
	v_sub_u32_e32 v27, v51, v0
	v_mad_u64_u32 v[24:25], s[40:41], s8, v27, 0
	v_addc_co_u32_e32 v26, vcc, v26, v23, vcc
	v_mov_b32_e32 v0, v25
	v_mad_u64_u32 v[22:23], s[40:41], s24, v27, v[0:1]
	v_add_co_u32_e32 v30, vcc, v28, v2
	v_mov_b32_e32 v25, v22
	v_lshlrev_b64 v[22:23], 2, v[24:25]
	v_mul_hi_u32 v24, v48, s0
	v_addc_co_u32_e32 v31, vcc, 0, v26, vcc
	v_mov_b32_e32 v0, s39
	v_add_co_u32_e32 v22, vcc, s36, v22
	v_addc_co_u32_e32 v0, vcc, v0, v23, vcc
	v_add_u32_e32 v23, v48, v24
	v_lshrrev_b32_e32 v23, s1, v23
	v_mul_lo_u32 v34, v23, s2
	v_add_co_u32_e32 v32, vcc, v22, v2
	v_addc_co_u32_e32 v33, vcc, 0, v0, vcc
	global_load_dwordx4 v[22:25], v[30:31], off
	global_load_dwordx4 v[26:29], v[32:33], off
	v_sub_u32_e32 v32, v48, v34
	v_mad_u64_u32 v[30:31], s[40:41], s8, v32, 0
	v_mul_hi_u32 v33, v46, s0
	v_mov_b32_e32 v0, v31
	v_mad_u64_u32 v[31:32], s[40:41], s24, v32, v[0:1]
	v_add_u32_e32 v0, v46, v33
	v_lshrrev_b32_e32 v0, s1, v0
	v_mul_lo_u32 v0, v0, s2
	v_mov_b32_e32 v32, s26
	v_lshlrev_b64 v[30:31], 2, v[30:31]
	v_sub_u32_e32 v33, v46, v0
	v_mad_u64_u32 v[34:35], s[26:27], s8, v33, 0
	v_add_co_u32_e32 v30, vcc, s15, v30
	v_mov_b32_e32 v0, v35
	v_mad_u64_u32 v[35:36], s[24:25], s24, v33, v[0:1]
	v_addc_co_u32_e32 v31, vcc, v32, v31, vcc
	v_add_co_u32_e32 v30, vcc, v30, v2
	v_addc_co_u32_e32 v31, vcc, 0, v31, vcc
	v_lshlrev_b64 v[34:35], 2, v[34:35]
	global_load_dwordx4 v[30:33], v[30:31], off
	v_mov_b32_e32 v36, s39
	v_add_co_u32_e32 v34, vcc, s36, v34
	v_addc_co_u32_e32 v35, vcc, v36, v35, vcc
	v_add_co_u32_e32 v34, vcc, v34, v2
	v_addc_co_u32_e32 v35, vcc, 0, v35, vcc
	v_and_b32_e32 v0, 0xffff, v37
	global_load_dwordx4 v[34:37], v[34:35], off
	v_or3_b32 v39, v38, v0, 0
	s_waitcnt vmcnt(6)
	v_fma_mixlo_f16 v0, s9, v14, 0
	v_fma_mixlo_f16 v14, s9, v15, 0
	v_lshlrev_b32_e32 v14, 16, v14
	v_and_b32_e32 v0, 0xffff, v0
	v_or_b32_e32 v0, v14, v0
	v_fma_mixlo_f16 v14, s9, v16, 0
	v_fma_mixlo_f16 v15, s9, v17, 0
	v_lshlrev_b32_e32 v15, 16, v15
	v_and_b32_e32 v14, 0xffff, v14
	v_or3_b32 v38, 0, 0, v40
	v_or3_b32 v15, v15, v14, 0
	;; [unrolled: 1-line block ×3, first 2 shown]
	ds_write2_b64 v6, v[38:39], v[14:15] offset1:32
	s_waitcnt vmcnt(5)
	v_fma_mixlo_f16 v0, s9, v10, 0
	v_fma_mixlo_f16 v6, s9, v11, 0
	v_lshlrev_b32_e32 v6, 16, v6
	v_and_b32_e32 v0, 0xffff, v0
	v_or_b32_e32 v0, v6, v0
	v_fma_mixlo_f16 v6, s9, v12, 0
	v_fma_mixlo_f16 v10, s9, v13, 0
	v_lshl_add_u32 v11, v7, 8, v3
	v_lshlrev_b32_e32 v7, 16, v10
	v_and_b32_e32 v6, 0xffff, v6
	v_or3_b32 v7, v7, v6, 0
	v_or3_b32 v6, 0, 0, v0
	ds_write_b64 v11, v[6:7]
	s_waitcnt vmcnt(4)
	v_fma_mixlo_f16 v0, s9, v18, 0
	v_fma_mixlo_f16 v6, s9, v19, 0
	v_lshlrev_b32_e32 v6, 16, v6
	v_and_b32_e32 v0, 0xffff, v0
	v_or_b32_e32 v0, v6, v0
	v_fma_mixlo_f16 v6, s9, v20, 0
	v_fma_mixlo_f16 v7, s9, v21, 0
	v_lshlrev_b32_e32 v7, 16, v7
	v_and_b32_e32 v6, 0xffff, v6
	v_or3_b32 v7, v7, v6, 0
	v_or3_b32 v6, 0, 0, v0
	ds_write_b64 v8, v[6:7]
	s_waitcnt vmcnt(3)
	v_fma_mixlo_f16 v0, s9, v22, 0
	v_fma_mixlo_f16 v6, s9, v23, 0
	v_lshlrev_b32_e32 v6, 16, v6
	v_and_b32_e32 v0, 0xffff, v0
	v_or_b32_e32 v0, v6, v0
	v_fma_mixlo_f16 v6, s9, v24, 0
	v_fma_mixlo_f16 v7, s9, v25, 0
	v_lshlrev_b32_e32 v7, 16, v7
	v_and_b32_e32 v6, 0xffff, v6
	v_lshl_add_u32 v8, v9, 8, v3
	v_or3_b32 v7, v7, v6, 0
	v_or3_b32 v6, 0, 0, v0
	ds_write_b64 v8, v[6:7]
	s_waitcnt vmcnt(2)
	v_fma_mixlo_f16 v0, s9, v26, 0
	v_fma_mixlo_f16 v6, s9, v27, 0
	v_lshlrev_b32_e32 v6, 16, v6
	v_and_b32_e32 v0, 0xffff, v0
	v_or_b32_e32 v0, v6, v0
	v_fma_mixlo_f16 v6, s9, v28, 0
	v_fma_mixlo_f16 v7, s9, v29, 0
	v_lshlrev_b32_e32 v7, 16, v7
	v_and_b32_e32 v6, 0xffff, v6
	v_lshl_add_u32 v8, v41, 8, v3
	v_or3_b32 v7, v7, v6, 0
	v_or3_b32 v6, 0, 0, v0
	ds_write_b64 v8, v[6:7]
	v_lshl_add_u32 v8, v42, 8, v3
	s_waitcnt vmcnt(1)
	v_fma_mixlo_f16 v0, s9, v30, 0
	v_fma_mixlo_f16 v6, s9, v31, 0
	v_lshlrev_b32_e32 v6, 16, v6
	v_and_b32_e32 v0, 0xffff, v0
	v_or_b32_e32 v0, v6, v0
	v_fma_mixlo_f16 v6, s9, v32, 0
	v_fma_mixlo_f16 v7, s9, v33, 0
	v_lshlrev_b32_e32 v7, 16, v7
	v_and_b32_e32 v6, 0xffff, v6
	v_or3_b32 v7, v7, v6, 0
	v_or3_b32 v6, 0, 0, v0
	ds_write_b64 v8, v[6:7]
	s_waitcnt vmcnt(0)
	v_fma_mixlo_f16 v0, s9, v34, 0
	v_fma_mixlo_f16 v6, s9, v35, 0
	v_lshlrev_b32_e32 v6, 16, v6
	v_and_b32_e32 v0, 0xffff, v0
	v_or_b32_e32 v0, v6, v0
	v_fma_mixlo_f16 v6, s9, v36, 0
	v_fma_mixlo_f16 v7, s9, v37, 0
	v_lshlrev_b32_e32 v7, 16, v7
	v_and_b32_e32 v6, 0xffff, v6
	v_lshl_add_u32 v8, v43, 8, v3
	v_or3_b32 v7, v7, v6, 0
	v_or3_b32 v6, 0, 0, v0
	ds_write_b64 v8, v[6:7]
	s_waitcnt lgkmcnt(0)
	s_barrier
	s_cbranch_scc1 .LBB33_4
; %bb.3:
	s_load_dword s8, s[4:5], 0xd0
	s_mov_b32 s9, 0
	s_waitcnt lgkmcnt(0)
	s_mul_i32 s8, s8, s33
	s_add_i32 s8, s8, s6
	s_lshl_b64 s[8:9], s[8:9], 2
	s_add_u32 s8, s18, s8
	s_addc_u32 s9, s19, s9
	s_load_dword s30, s[8:9], 0x0
.LBB33_4:
	s_lshl_b32 s6, s7, 6
	s_waitcnt lgkmcnt(0)
	s_cmp_lt_i32 s6, s30
	v_mbcnt_lo_u32_b32 v6, -1, 0
	s_cbranch_scc1 .LBB33_7
; %bb.5:
	v_mbcnt_hi_u32_b32 v60, -1, v6
	v_and_b32_e32 v0, 0x60, v60
	v_add_u32_e32 v61, 32, v0
	v_xor_b32_e32 v72, 16, v60
	v_xor_b32_e32 v56, 8, v60
	;; [unrolled: 1-line block ×5, first 2 shown]
	v_lshlrev_b32_e32 v53, 2, v62
	s_cbranch_execz .LBB33_8
; %bb.6:
	v_mov_b32_e32 v98, 0
	v_mov_b32_e32 v59, 0
	;; [unrolled: 1-line block ×32, first 2 shown]
	s_branch .LBB33_11
.LBB33_7:
                                        ; implicit-def: $vgpr60
                                        ; implicit-def: $vgpr61
                                        ; implicit-def: $vgpr72
                                        ; implicit-def: $vgpr56
                                        ; implicit-def: $vgpr69
                                        ; implicit-def: $vgpr71
                                        ; implicit-def: $vgpr68
	v_lshlrev_b32_e32 v53, 2, v62
.LBB33_8:
	s_sub_i32 s8, 0, s29
	s_mul_i32 s8, s8, s38
	buffer_store_dword v66, off, s[44:47], 0 offset:80 ; 4-byte Folded Spill
	buffer_store_dword v65, off, s[44:47], 0 offset:76 ; 4-byte Folded Spill
	;; [unrolled: 1-line block ×13, first 2 shown]
	s_mul_hi_u32 s8, s38, s8
	s_add_i32 s38, s38, s8
	s_load_dwordx2 s[8:9], s[4:5], 0x8c
	s_load_dwordx4 s[24:27], s[4:5], 0x98
	s_abs_i32 s19, s28
	s_mul_hi_u32 s36, s19, s38
	s_ashr_i32 s40, s28, 31
	s_waitcnt lgkmcnt(0)
	s_ashr_i32 s18, s8, 2
	s_ashr_i32 s8, s33, 31
	;; [unrolled: 1-line block ×4, first 2 shown]
	s_mul_hi_u32 s37, s24, s33
	s_mul_i32 s41, s24, s8
	s_add_i32 s37, s37, s41
	s_mul_i32 s25, s25, s33
	s_ashr_i32 s31, s31, 31
	s_add_i32 s37, s37, s25
	s_mul_i32 s24, s24, s33
	s_add_u32 s10, s10, s24
	s_mul_i32 s25, s36, s29
	s_addc_u32 s11, s11, s37
	s_sub_i32 s19, s19, s25
	s_xor_b32 s24, s40, s31
	s_add_i32 s25, s36, 1
	s_sub_i32 s31, s19, s29
	s_cmp_ge_u32 s19, s29
	s_cselect_b32 s25, s25, s36
	s_cselect_b32 s19, s31, s19
	s_add_i32 s31, s25, 1
	s_cmp_ge_u32 s19, s29
	s_cselect_b32 s19, s31, s25
	s_load_dwordx2 s[38:39], s[4:5], 0xa8
	s_xor_b32 s19, s19, s24
	s_sub_i32 s19, s19, s24
	s_mul_i32 s9, s19, s9
	s_ashr_i32 s24, s9, 31
	s_add_u32 s9, s10, s9
	v_lshrrev_b32_e32 v0, 2, v62
	s_addc_u32 s10, s11, s24
	s_waitcnt lgkmcnt(0)
	s_mul_hi_u32 s11, s38, s33
	s_mul_i32 s8, s38, s8
	v_add_u32_e32 v0, v0, v5
	s_add_i32 s8, s11, s8
	s_mul_i32 s11, s39, s33
	v_mul_lo_u32 v7, s18, v0
	s_add_i32 s8, s8, s11
	s_mul_i32 s11, s38, s33
	s_add_u32 s11, s12, s11
	v_and_b32_e32 v5, 12, v53
	s_addc_u32 s8, s13, s8
	v_mul_u32_u24_e32 v8, 0x50, v0
	v_lshlrev_b32_e32 v0, 2, v5
	s_movk_i32 s13, 0x6000
	v_add3_u32 v127, v8, v0, s13
	v_ashrrev_i32_e32 v8, 31, v7
	v_lshlrev_b64 v[7:8], 2, v[7:8]
	v_mov_b32_e32 v5, s10
	v_add_co_u32_e32 v7, vcc, s9, v7
	v_addc_co_u32_e32 v5, vcc, v5, v8, vcc
	v_add_u32_e32 v8, 1, v67
	s_mul_i32 s19, s19, s27
	v_mul_hi_u32 v9, s0, v8
	v_mul_lo_u32 v4, v4, s26
	s_ashr_i32 s12, s19, 31
	v_add_co_u32_e32 v0, vcc, v7, v0
	s_add_u32 s11, s11, s19
	buffer_store_dword v0, off, s[44:47], 0 ; 4-byte Folded Spill
	v_addc_co_u32_e32 v0, vcc, 0, v5, vcc
	s_addc_u32 s8, s8, s12
	s_movk_i32 s12, 0x50
	buffer_store_dword v0, off, s[44:47], 0 offset:4 ; 4-byte Folded Spill
	v_mov_b32_e32 v0, 0x6000
	v_mad_u32_u24 v70, v62, s12, v0
	v_add_u32_e32 v0, v8, v9
	buffer_store_dword v4, off, s[44:47], 0 offset:8 ; 4-byte Folded Spill
	v_add_u32_e32 v4, 2, v67
	v_lshrrev_b32_e32 v0, s1, v0
	v_mul_hi_u32 v5, s0, v4
	v_mul_lo_u32 v0, v0, s2
	v_add_u32_e32 v7, 3, v67
	v_mbcnt_hi_u32_b32 v60, -1, v6
	v_add_u32_e32 v5, v4, v5
	v_sub_u32_e32 v0, v8, v0
	v_mul_hi_u32 v8, s0, v7
	v_lshrrev_b32_e32 v5, s1, v5
	v_mul_lo_u32 v5, v5, s2
	v_mul_lo_u32 v0, v0, s26
	v_add_u32_e32 v8, v7, v8
	v_lshrrev_b32_e32 v8, s1, v8
	v_mul_lo_u32 v8, v8, s2
	buffer_store_dword v0, off, s[44:47], 0 offset:12 ; 4-byte Folded Spill
	v_sub_u32_e32 v0, v4, v5
	v_mul_lo_u32 v0, v0, s26
	v_and_b32_e32 v4, 60, v53
	v_lshlrev_b32_e32 v4, 2, v4
	v_mov_b32_e32 v5, s8
	buffer_store_dword v0, off, s[44:47], 0 offset:16 ; 4-byte Folded Spill
	v_sub_u32_e32 v0, v7, v8
	v_mul_lo_u32 v0, v0, s26
	v_or_b32_e32 v79, 0x6000, v3
	s_add_u32 s0, s4, 0xd0
	v_mov_b32_e32 v13, 0
	buffer_store_dword v0, off, s[44:47], 0 offset:20 ; 4-byte Folded Spill
	v_mov_b32_e32 v0, 0x4000
	v_lshl_add_u32 v75, v1, 10, v0
	v_lshrrev_b32_e32 v0, 4, v62
	v_lshl_add_u32 v1, v1, 1, v0
	v_mul_lo_u32 v0, s15, v1
	v_lshl_or_b32 v1, v1, 8, v4
	v_add_u32_e32 v76, 0x6000, v1
	s_addc_u32 s1, s5, 0
	v_ashrrev_i32_e32 v1, 31, v0
	v_lshlrev_b64 v[0:1], 2, v[0:1]
	v_mov_b32_e32 v57, 0
	v_add_co_u32_e32 v0, vcc, s11, v0
	v_addc_co_u32_e32 v1, vcc, v5, v1, vcc
	v_add_co_u32_e32 v77, vcc, v0, v4
	v_and_b32_e32 v0, 0x60, v60
	v_add_u32_e32 v61, 32, v0
	v_add_u32_e32 v0, v75, v2
	v_addc_co_u32_e32 v78, vcc, 0, v1, vcc
	v_mov_b32_e32 v1, 0xfeffffff
	v_xor_b32_e32 v72, 16, v60
	v_xor_b32_e32 v56, 8, v60
	;; [unrolled: 1-line block ×5, first 2 shown]
	v_mov_b32_e32 v80, s35
	s_mov_b32 s10, 0x3fb8aa3b
	s_mov_b32 s11, 0xc2ce8ed0
	;; [unrolled: 1-line block ×3, first 2 shown]
	v_mov_b32_e32 v81, 0x7f800000
	s_mov_b32 s13, 0x10001
	buffer_store_dword v0, off, s[44:47], 0 offset:24 ; 4-byte Folded Spill
	v_add_u32_e32 v0, 0x800, v79
	v_mov_b32_e32 v55, 0
	v_mov_b32_e32 v87, 0
	;; [unrolled: 1-line block ×29, first 2 shown]
	buffer_store_dword v67, off, s[44:47], 0 offset:84 ; 4-byte Folded Spill
	buffer_store_dword v53, off, s[44:47], 0 offset:60 ; 4-byte Folded Spill
.LBB33_9:                               ; =>This Inner Loop Header: Depth=1
	v_mov_b32_e32 v114, v1
	buffer_load_dword v1, off, s[44:47], 0  ; 4-byte Folded Reload
	v_mov_b32_e32 v113, v2
	buffer_load_dword v2, off, s[44:47], 0 offset:4 ; 4-byte Folded Reload
	s_mul_hi_i32 s9, s6, s18
	s_mul_i32 s8, s6, s18
	s_lshl_b64 s[8:9], s[8:9], 2
	v_mov_b32_e32 v109, v4
	v_mov_b32_e32 v111, v3
	;; [unrolled: 1-line block ×21, first 2 shown]
	s_waitcnt vmcnt(1)
	v_add_co_u32_e32 v41, vcc, s8, v1
	v_mov_b32_e32 v1, s9
	s_waitcnt vmcnt(0)
	v_addc_co_u32_e32 v42, vcc, v2, v1, vcc
	global_load_dwordx4 v[1:4], v[41:42], off
	s_mul_hi_i32 s9, s6, s15
	s_mul_i32 s8, s6, s15
	s_lshl_b64 s[8:9], s[8:9], 2
	s_waitcnt vmcnt(0)
	ds_write_b128 v127, v[1:4]
	s_waitcnt lgkmcnt(0)
	s_barrier
	ds_read_b128 v[37:40], v70
	ds_read_b128 v[1:4], v70 offset:2560
	ds_read_b128 v[33:36], v58
	ds_read_b128 v[29:32], v58 offset:256
	ds_read_b128 v[25:28], v58 offset:512
	;; [unrolled: 1-line block ×7, first 2 shown]
	s_waitcnt lgkmcnt(7)
	;;#ASMSTART
	v_dot2_f32_f16 v115, v37, v33, v115
	;;#ASMEND
	;;#ASMSTART
	v_dot2_f32_f16 v115, v38, v34, v115
	;;#ASMEND
	;;#ASMSTART
	v_dot2_f32_f16 v115, v39, v35, v115
	;;#ASMEND
	;;#ASMSTART
	v_dot2_f32_f16 v115, v40, v36, v115
	;;#ASMEND
	s_waitcnt lgkmcnt(6)
	;;#ASMSTART
	v_dot2_f32_f16 v116, v37, v29, v116
	;;#ASMEND
	;;#ASMSTART
	v_dot2_f32_f16 v116, v38, v30, v116
	;;#ASMEND
	;;#ASMSTART
	v_dot2_f32_f16 v116, v39, v31, v116
	;;#ASMEND
	;;#ASMSTART
	v_dot2_f32_f16 v116, v40, v32, v116
	;;#ASMEND
	s_waitcnt lgkmcnt(5)
	;;#ASMSTART
	v_dot2_f32_f16 v117, v37, v25, v117
	;;#ASMEND
	;;#ASMSTART
	v_dot2_f32_f16 v117, v38, v26, v117
	;;#ASMEND
	;;#ASMSTART
	v_dot2_f32_f16 v117, v39, v27, v117
	;;#ASMEND
	;;#ASMSTART
	v_dot2_f32_f16 v117, v40, v28, v117
	;;#ASMEND
	s_waitcnt lgkmcnt(4)
	;;#ASMSTART
	v_dot2_f32_f16 v118, v37, v21, v118
	;;#ASMEND
	;;#ASMSTART
	v_dot2_f32_f16 v118, v38, v22, v118
	;;#ASMEND
	;;#ASMSTART
	v_dot2_f32_f16 v118, v39, v23, v118
	;;#ASMEND
	;;#ASMSTART
	v_dot2_f32_f16 v118, v40, v24, v118
	;;#ASMEND
	s_waitcnt lgkmcnt(3)
	;;#ASMSTART
	v_dot2_f32_f16 v119, v37, v17, v119
	;;#ASMEND
	;;#ASMSTART
	v_dot2_f32_f16 v119, v38, v18, v119
	;;#ASMEND
	;;#ASMSTART
	v_dot2_f32_f16 v119, v39, v19, v119
	;;#ASMEND
	;;#ASMSTART
	v_dot2_f32_f16 v119, v40, v20, v119
	;;#ASMEND
	s_waitcnt lgkmcnt(2)
	;;#ASMSTART
	v_dot2_f32_f16 v120, v37, v13, v120
	;;#ASMEND
	;;#ASMSTART
	v_dot2_f32_f16 v120, v38, v14, v120
	;;#ASMEND
	;;#ASMSTART
	v_dot2_f32_f16 v120, v39, v15, v120
	;;#ASMEND
	;;#ASMSTART
	v_dot2_f32_f16 v120, v40, v16, v120
	;;#ASMEND
	s_waitcnt lgkmcnt(1)
	;;#ASMSTART
	v_dot2_f32_f16 v121, v37, v9, v121
	;;#ASMEND
	;;#ASMSTART
	v_dot2_f32_f16 v121, v38, v10, v121
	;;#ASMEND
	;;#ASMSTART
	v_dot2_f32_f16 v121, v39, v11, v121
	;;#ASMEND
	;;#ASMSTART
	v_dot2_f32_f16 v121, v40, v12, v121
	;;#ASMEND
	s_waitcnt lgkmcnt(0)
	;;#ASMSTART
	v_dot2_f32_f16 v122, v37, v5, v122
	;;#ASMEND
	;;#ASMSTART
	v_dot2_f32_f16 v122, v38, v6, v122
	;;#ASMEND
	;;#ASMSTART
	v_dot2_f32_f16 v122, v39, v7, v122
	;;#ASMEND
	v_mov_b32_e32 v37, 0
	;;#ASMSTART
	v_dot2_f32_f16 v122, v40, v8, v122
	;;#ASMEND
	;;#ASMSTART
	v_dot2_f32_f16 v37, v1, v33, v37
	;;#ASMEND
	;;#ASMSTART
	v_dot2_f32_f16 v37, v2, v34, v37
	;;#ASMEND
	;;#ASMSTART
	v_dot2_f32_f16 v37, v3, v35, v37
	;;#ASMEND
	v_mov_b32_e32 v33, 0
	;;#ASMSTART
	v_dot2_f32_f16 v37, v4, v36, v37
	;;#ASMEND
	;; [unrolled: 13-line block ×8, first 2 shown]
	;;#ASMSTART
	v_dot2_f32_f16 v9, v1, v5, v9
	;;#ASMEND
	;;#ASMSTART
	v_dot2_f32_f16 v9, v2, v6, v9
	;;#ASMEND
	;; [unrolled: 3-line block ×4, first 2 shown]
	ds_read_b128 v[1:4], v70 offset:16
	ds_read_b128 v[5:8], v70 offset:2576
	;; [unrolled: 1-line block ×6, first 2 shown]
	v_mov_b32_e32 v14, v71
	v_mov_b32_e32 v15, v72
	ds_read_b128 v[71:74], v58 offset:1040
	v_mov_b32_e32 v10, v62
	ds_read_b128 v[62:65], v58 offset:1296
	v_mov_b32_e32 v11, v68
	v_mov_b32_e32 v12, v69
	ds_read_b128 v[66:69], v58 offset:1552
	ds_read_b128 v[82:85], v58 offset:1808
	s_waitcnt lgkmcnt(7)
	;;#ASMSTART
	v_dot2_f32_f16 v115, v1, v123, v115
	;;#ASMEND
	;;#ASMSTART
	v_dot2_f32_f16 v115, v2, v124, v115
	;;#ASMEND
	;;#ASMSTART
	v_dot2_f32_f16 v115, v3, v125, v115
	;;#ASMEND
	;;#ASMSTART
	v_dot2_f32_f16 v115, v4, v126, v115
	;;#ASMEND
	s_waitcnt lgkmcnt(6)
	;;#ASMSTART
	v_dot2_f32_f16 v116, v1, v43, v116
	;;#ASMEND
	;;#ASMSTART
	v_dot2_f32_f16 v116, v2, v44, v116
	;;#ASMEND
	;;#ASMSTART
	v_dot2_f32_f16 v116, v3, v45, v116
	;;#ASMEND
	;;#ASMSTART
	v_dot2_f32_f16 v116, v4, v46, v116
	;;#ASMEND
	;; [unrolled: 13-line block ×8, first 2 shown]
	;;#ASMSTART
	v_dot2_f32_f16 v37, v5, v123, v37
	;;#ASMEND
	;;#ASMSTART
	v_dot2_f32_f16 v37, v6, v124, v37
	;;#ASMEND
	;; [unrolled: 3-line block ×32, first 2 shown]
	ds_read_b128 v[1:4], v70 offset:32
	ds_read_b128 v[5:8], v70 offset:2592
	ds_read_b128 v[43:46], v58 offset:32
	ds_read_b128 v[47:50], v58 offset:288
	ds_read_b128 v[51:54], v58 offset:544
	ds_read_b128 v[62:65], v58 offset:800
	ds_read_b128 v[66:69], v58 offset:1056
	ds_read_b128 v[71:74], v58 offset:1312
	ds_read_b128 v[82:85], v58 offset:1568
	ds_read_b128 v[123:126], v58 offset:1824
	s_waitcnt lgkmcnt(7)
	;;#ASMSTART
	v_dot2_f32_f16 v115, v1, v43, v115
	;;#ASMEND
	;;#ASMSTART
	v_dot2_f32_f16 v115, v2, v44, v115
	;;#ASMEND
	;;#ASMSTART
	v_dot2_f32_f16 v115, v3, v45, v115
	;;#ASMEND
	;;#ASMSTART
	v_dot2_f32_f16 v115, v4, v46, v115
	;;#ASMEND
	s_waitcnt lgkmcnt(6)
	;;#ASMSTART
	v_dot2_f32_f16 v116, v1, v47, v116
	;;#ASMEND
	;;#ASMSTART
	v_dot2_f32_f16 v116, v2, v48, v116
	;;#ASMEND
	;;#ASMSTART
	v_dot2_f32_f16 v116, v3, v49, v116
	;;#ASMEND
	;;#ASMSTART
	v_dot2_f32_f16 v116, v4, v50, v116
	;;#ASMEND
	;; [unrolled: 13-line block ×8, first 2 shown]
	;;#ASMSTART
	v_dot2_f32_f16 v37, v5, v43, v37
	;;#ASMEND
	;;#ASMSTART
	v_dot2_f32_f16 v37, v6, v44, v37
	;;#ASMEND
	;; [unrolled: 3-line block ×32, first 2 shown]
	ds_read_b128 v[1:4], v70 offset:48
	ds_read_b128 v[5:8], v70 offset:2608
	;; [unrolled: 1-line block ×10, first 2 shown]
	s_waitcnt lgkmcnt(7)
	;;#ASMSTART
	v_dot2_f32_f16 v115, v1, v43, v115
	;;#ASMEND
	;;#ASMSTART
	v_dot2_f32_f16 v115, v2, v44, v115
	;;#ASMEND
	;;#ASMSTART
	v_dot2_f32_f16 v115, v3, v45, v115
	;;#ASMEND
	;;#ASMSTART
	v_dot2_f32_f16 v115, v4, v46, v115
	;;#ASMEND
	s_waitcnt lgkmcnt(6)
	;;#ASMSTART
	v_dot2_f32_f16 v116, v1, v47, v116
	;;#ASMEND
	;;#ASMSTART
	v_dot2_f32_f16 v116, v2, v48, v116
	;;#ASMEND
	;;#ASMSTART
	v_dot2_f32_f16 v116, v3, v49, v116
	;;#ASMEND
	;;#ASMSTART
	v_dot2_f32_f16 v116, v4, v50, v116
	;;#ASMEND
	;; [unrolled: 13-line block ×8, first 2 shown]
	;;#ASMSTART
	v_dot2_f32_f16 v37, v5, v43, v37
	;;#ASMEND
	;;#ASMSTART
	v_dot2_f32_f16 v37, v6, v44, v37
	;;#ASMEND
	;; [unrolled: 3-line block ×32, first 2 shown]
	s_barrier
	global_load_dwordx4 v[1:4], v[41:42], off offset:64
	s_waitcnt vmcnt(0)
	ds_write_b128 v127, v[1:4]
	s_waitcnt lgkmcnt(0)
	s_barrier
	ds_read_b128 v[1:4], v70
	ds_read_b128 v[5:8], v70 offset:2560
	ds_read_b128 v[43:46], v58 offset:64
	;; [unrolled: 1-line block ×9, first 2 shown]
	s_waitcnt lgkmcnt(7)
	;;#ASMSTART
	v_dot2_f32_f16 v115, v1, v43, v115
	;;#ASMEND
	;;#ASMSTART
	v_dot2_f32_f16 v115, v2, v44, v115
	;;#ASMEND
	;;#ASMSTART
	v_dot2_f32_f16 v115, v3, v45, v115
	;;#ASMEND
	;;#ASMSTART
	v_dot2_f32_f16 v115, v4, v46, v115
	;;#ASMEND
	s_waitcnt lgkmcnt(6)
	;;#ASMSTART
	v_dot2_f32_f16 v116, v1, v47, v116
	;;#ASMEND
	;;#ASMSTART
	v_dot2_f32_f16 v116, v2, v48, v116
	;;#ASMEND
	;;#ASMSTART
	v_dot2_f32_f16 v116, v3, v49, v116
	;;#ASMEND
	;;#ASMSTART
	v_dot2_f32_f16 v116, v4, v50, v116
	;;#ASMEND
	;; [unrolled: 13-line block ×8, first 2 shown]
	;;#ASMSTART
	v_dot2_f32_f16 v37, v5, v43, v37
	;;#ASMEND
	;;#ASMSTART
	v_dot2_f32_f16 v37, v6, v44, v37
	;;#ASMEND
	;; [unrolled: 3-line block ×32, first 2 shown]
	ds_read_b128 v[1:4], v70 offset:16
	ds_read_b128 v[5:8], v70 offset:2576
	;; [unrolled: 1-line block ×10, first 2 shown]
	s_waitcnt lgkmcnt(7)
	;;#ASMSTART
	v_dot2_f32_f16 v115, v1, v43, v115
	;;#ASMEND
	;;#ASMSTART
	v_dot2_f32_f16 v115, v2, v44, v115
	;;#ASMEND
	;;#ASMSTART
	v_dot2_f32_f16 v115, v3, v45, v115
	;;#ASMEND
	;;#ASMSTART
	v_dot2_f32_f16 v115, v4, v46, v115
	;;#ASMEND
	s_waitcnt lgkmcnt(6)
	;;#ASMSTART
	v_dot2_f32_f16 v116, v1, v47, v116
	;;#ASMEND
	;;#ASMSTART
	v_dot2_f32_f16 v116, v2, v48, v116
	;;#ASMEND
	;;#ASMSTART
	v_dot2_f32_f16 v116, v3, v49, v116
	;;#ASMEND
	;;#ASMSTART
	v_dot2_f32_f16 v116, v4, v50, v116
	;;#ASMEND
	;; [unrolled: 13-line block ×8, first 2 shown]
	;;#ASMSTART
	v_dot2_f32_f16 v37, v5, v43, v37
	;;#ASMEND
	;;#ASMSTART
	v_dot2_f32_f16 v37, v6, v44, v37
	;;#ASMEND
	;; [unrolled: 3-line block ×32, first 2 shown]
	ds_read_b128 v[1:4], v70 offset:32
	ds_read_b128 v[5:8], v70 offset:2592
	;; [unrolled: 1-line block ×10, first 2 shown]
	s_waitcnt lgkmcnt(7)
	;;#ASMSTART
	v_dot2_f32_f16 v115, v1, v43, v115
	;;#ASMEND
	;;#ASMSTART
	v_dot2_f32_f16 v115, v2, v44, v115
	;;#ASMEND
	;;#ASMSTART
	v_dot2_f32_f16 v115, v3, v45, v115
	;;#ASMEND
	;;#ASMSTART
	v_dot2_f32_f16 v115, v4, v46, v115
	;;#ASMEND
	s_waitcnt lgkmcnt(6)
	;;#ASMSTART
	v_dot2_f32_f16 v116, v1, v47, v116
	;;#ASMEND
	;;#ASMSTART
	v_dot2_f32_f16 v116, v2, v48, v116
	;;#ASMEND
	;;#ASMSTART
	v_dot2_f32_f16 v116, v3, v49, v116
	;;#ASMEND
	;;#ASMSTART
	v_dot2_f32_f16 v116, v4, v50, v116
	;;#ASMEND
	;; [unrolled: 13-line block ×8, first 2 shown]
	;;#ASMSTART
	v_dot2_f32_f16 v37, v5, v43, v37
	;;#ASMEND
	;;#ASMSTART
	v_dot2_f32_f16 v37, v6, v44, v37
	;;#ASMEND
	;; [unrolled: 3-line block ×32, first 2 shown]
	ds_read_b128 v[1:4], v70 offset:48
	ds_read_b128 v[5:8], v70 offset:2608
	;; [unrolled: 1-line block ×10, first 2 shown]
	s_waitcnt lgkmcnt(7)
	;;#ASMSTART
	v_dot2_f32_f16 v115, v1, v43, v115
	;;#ASMEND
	;;#ASMSTART
	v_dot2_f32_f16 v115, v2, v44, v115
	;;#ASMEND
	;;#ASMSTART
	v_dot2_f32_f16 v115, v3, v45, v115
	;;#ASMEND
	;;#ASMSTART
	v_dot2_f32_f16 v115, v4, v46, v115
	;;#ASMEND
	s_waitcnt lgkmcnt(6)
	;;#ASMSTART
	v_dot2_f32_f16 v116, v1, v47, v116
	;;#ASMEND
	;;#ASMSTART
	v_dot2_f32_f16 v116, v2, v48, v116
	;;#ASMEND
	;;#ASMSTART
	v_dot2_f32_f16 v116, v3, v49, v116
	;;#ASMEND
	;;#ASMSTART
	v_dot2_f32_f16 v116, v4, v50, v116
	;;#ASMEND
	;; [unrolled: 13-line block ×8, first 2 shown]
	;;#ASMSTART
	v_dot2_f32_f16 v37, v5, v43, v37
	;;#ASMEND
	;;#ASMSTART
	v_dot2_f32_f16 v37, v6, v44, v37
	;;#ASMEND
	;; [unrolled: 3-line block ×32, first 2 shown]
	s_barrier
	global_load_dwordx4 v[1:4], v[41:42], off offset:128
	s_waitcnt vmcnt(0)
	ds_write_b128 v127, v[1:4]
	s_waitcnt lgkmcnt(0)
	s_barrier
	ds_read_b128 v[1:4], v70
	ds_read_b128 v[5:8], v70 offset:2560
	ds_read_b128 v[43:46], v58 offset:128
	;; [unrolled: 1-line block ×9, first 2 shown]
	s_waitcnt lgkmcnt(7)
	;;#ASMSTART
	v_dot2_f32_f16 v115, v1, v43, v115
	;;#ASMEND
	;;#ASMSTART
	v_dot2_f32_f16 v115, v2, v44, v115
	;;#ASMEND
	;;#ASMSTART
	v_dot2_f32_f16 v115, v3, v45, v115
	;;#ASMEND
	;;#ASMSTART
	v_dot2_f32_f16 v115, v4, v46, v115
	;;#ASMEND
	s_waitcnt lgkmcnt(6)
	;;#ASMSTART
	v_dot2_f32_f16 v116, v1, v47, v116
	;;#ASMEND
	;;#ASMSTART
	v_dot2_f32_f16 v116, v2, v48, v116
	;;#ASMEND
	;;#ASMSTART
	v_dot2_f32_f16 v116, v3, v49, v116
	;;#ASMEND
	;;#ASMSTART
	v_dot2_f32_f16 v116, v4, v50, v116
	;;#ASMEND
	s_waitcnt lgkmcnt(5)
	;;#ASMSTART
	v_dot2_f32_f16 v117, v1, v51, v117
	;;#ASMEND
	;;#ASMSTART
	v_dot2_f32_f16 v117, v2, v52, v117
	;;#ASMEND
	;;#ASMSTART
	v_dot2_f32_f16 v117, v3, v53, v117
	;;#ASMEND
	;;#ASMSTART
	v_dot2_f32_f16 v117, v4, v54, v117
	;;#ASMEND
	s_waitcnt lgkmcnt(4)
	;;#ASMSTART
	v_dot2_f32_f16 v118, v1, v62, v118
	;;#ASMEND
	;;#ASMSTART
	v_dot2_f32_f16 v118, v2, v63, v118
	;;#ASMEND
	;;#ASMSTART
	v_dot2_f32_f16 v118, v3, v64, v118
	;;#ASMEND
	;;#ASMSTART
	v_dot2_f32_f16 v118, v4, v65, v118
	;;#ASMEND
	s_waitcnt lgkmcnt(3)
	;;#ASMSTART
	v_dot2_f32_f16 v119, v1, v66, v119
	;;#ASMEND
	;;#ASMSTART
	v_dot2_f32_f16 v119, v2, v67, v119
	;;#ASMEND
	;;#ASMSTART
	v_dot2_f32_f16 v119, v3, v68, v119
	;;#ASMEND
	;;#ASMSTART
	v_dot2_f32_f16 v119, v4, v69, v119
	;;#ASMEND
	s_waitcnt lgkmcnt(2)
	;;#ASMSTART
	v_dot2_f32_f16 v120, v1, v71, v120
	;;#ASMEND
	;;#ASMSTART
	v_dot2_f32_f16 v120, v2, v72, v120
	;;#ASMEND
	;;#ASMSTART
	v_dot2_f32_f16 v120, v3, v73, v120
	;;#ASMEND
	;;#ASMSTART
	v_dot2_f32_f16 v120, v4, v74, v120
	;;#ASMEND
	s_waitcnt lgkmcnt(1)
	;;#ASMSTART
	v_dot2_f32_f16 v121, v1, v82, v121
	;;#ASMEND
	;;#ASMSTART
	v_dot2_f32_f16 v121, v2, v83, v121
	;;#ASMEND
	;;#ASMSTART
	v_dot2_f32_f16 v121, v3, v84, v121
	;;#ASMEND
	;;#ASMSTART
	v_dot2_f32_f16 v121, v4, v85, v121
	;;#ASMEND
	s_waitcnt lgkmcnt(0)
	;;#ASMSTART
	v_dot2_f32_f16 v122, v1, v123, v122
	;;#ASMEND
	;;#ASMSTART
	v_dot2_f32_f16 v122, v2, v124, v122
	;;#ASMEND
	;;#ASMSTART
	v_dot2_f32_f16 v122, v3, v125, v122
	;;#ASMEND
	;;#ASMSTART
	v_dot2_f32_f16 v122, v4, v126, v122
	;;#ASMEND
	;;#ASMSTART
	v_dot2_f32_f16 v37, v5, v43, v37
	;;#ASMEND
	;;#ASMSTART
	v_dot2_f32_f16 v37, v6, v44, v37
	;;#ASMEND
	;; [unrolled: 3-line block ×32, first 2 shown]
	ds_read_b128 v[1:4], v70 offset:16
	ds_read_b128 v[5:8], v70 offset:2576
	;; [unrolled: 1-line block ×10, first 2 shown]
	s_waitcnt lgkmcnt(7)
	;;#ASMSTART
	v_dot2_f32_f16 v115, v1, v43, v115
	;;#ASMEND
	;;#ASMSTART
	v_dot2_f32_f16 v115, v2, v44, v115
	;;#ASMEND
	;;#ASMSTART
	v_dot2_f32_f16 v115, v3, v45, v115
	;;#ASMEND
	;;#ASMSTART
	v_dot2_f32_f16 v115, v4, v46, v115
	;;#ASMEND
	s_waitcnt lgkmcnt(6)
	;;#ASMSTART
	v_dot2_f32_f16 v116, v1, v47, v116
	;;#ASMEND
	;;#ASMSTART
	v_dot2_f32_f16 v116, v2, v48, v116
	;;#ASMEND
	;;#ASMSTART
	v_dot2_f32_f16 v116, v3, v49, v116
	;;#ASMEND
	;;#ASMSTART
	v_dot2_f32_f16 v116, v4, v50, v116
	;;#ASMEND
	;; [unrolled: 13-line block ×8, first 2 shown]
	;;#ASMSTART
	v_dot2_f32_f16 v37, v5, v43, v37
	;;#ASMEND
	;;#ASMSTART
	v_dot2_f32_f16 v37, v6, v44, v37
	;;#ASMEND
	;; [unrolled: 3-line block ×32, first 2 shown]
	ds_read_b128 v[1:4], v70 offset:32
	ds_read_b128 v[5:8], v70 offset:2592
	;; [unrolled: 1-line block ×10, first 2 shown]
	s_waitcnt lgkmcnt(7)
	;;#ASMSTART
	v_dot2_f32_f16 v115, v1, v43, v115
	;;#ASMEND
	;;#ASMSTART
	v_dot2_f32_f16 v115, v2, v44, v115
	;;#ASMEND
	;;#ASMSTART
	v_dot2_f32_f16 v115, v3, v45, v115
	;;#ASMEND
	;;#ASMSTART
	v_dot2_f32_f16 v115, v4, v46, v115
	;;#ASMEND
	s_waitcnt lgkmcnt(6)
	;;#ASMSTART
	v_dot2_f32_f16 v116, v1, v47, v116
	;;#ASMEND
	;;#ASMSTART
	v_dot2_f32_f16 v116, v2, v48, v116
	;;#ASMEND
	;;#ASMSTART
	v_dot2_f32_f16 v116, v3, v49, v116
	;;#ASMEND
	;;#ASMSTART
	v_dot2_f32_f16 v116, v4, v50, v116
	;;#ASMEND
	;; [unrolled: 13-line block ×8, first 2 shown]
	;;#ASMSTART
	v_dot2_f32_f16 v37, v5, v43, v37
	;;#ASMEND
	;;#ASMSTART
	v_dot2_f32_f16 v37, v6, v44, v37
	;;#ASMEND
	;; [unrolled: 3-line block ×32, first 2 shown]
	ds_read_b128 v[1:4], v70 offset:48
	ds_read_b128 v[5:8], v70 offset:2608
	;; [unrolled: 1-line block ×10, first 2 shown]
	s_waitcnt lgkmcnt(7)
	;;#ASMSTART
	v_dot2_f32_f16 v115, v1, v43, v115
	;;#ASMEND
	;;#ASMSTART
	v_dot2_f32_f16 v115, v2, v44, v115
	;;#ASMEND
	;;#ASMSTART
	v_dot2_f32_f16 v115, v3, v45, v115
	;;#ASMEND
	;;#ASMSTART
	v_dot2_f32_f16 v115, v4, v46, v115
	;;#ASMEND
	s_waitcnt lgkmcnt(6)
	;;#ASMSTART
	v_dot2_f32_f16 v116, v1, v47, v116
	;;#ASMEND
	;;#ASMSTART
	v_dot2_f32_f16 v116, v2, v48, v116
	;;#ASMEND
	;;#ASMSTART
	v_dot2_f32_f16 v116, v3, v49, v116
	;;#ASMEND
	;;#ASMSTART
	v_dot2_f32_f16 v116, v4, v50, v116
	;;#ASMEND
	;; [unrolled: 13-line block ×8, first 2 shown]
	;;#ASMSTART
	v_dot2_f32_f16 v37, v5, v43, v37
	;;#ASMEND
	;;#ASMSTART
	v_dot2_f32_f16 v37, v6, v44, v37
	;;#ASMEND
	;; [unrolled: 3-line block ×32, first 2 shown]
	s_barrier
	global_load_dwordx4 v[1:4], v[41:42], off offset:192
	s_waitcnt vmcnt(0)
	ds_write_b128 v127, v[1:4]
	s_waitcnt lgkmcnt(0)
	s_barrier
	ds_read_b128 v[1:4], v70
	ds_read_b128 v[5:8], v70 offset:2560
	ds_read_b128 v[38:41], v58 offset:192
	;; [unrolled: 1-line block ×9, first 2 shown]
	s_waitcnt lgkmcnt(7)
	;;#ASMSTART
	v_dot2_f32_f16 v115, v1, v38, v115
	;;#ASMEND
	;;#ASMSTART
	v_dot2_f32_f16 v115, v2, v39, v115
	;;#ASMEND
	;;#ASMSTART
	v_dot2_f32_f16 v115, v3, v40, v115
	;;#ASMEND
	;;#ASMSTART
	v_dot2_f32_f16 v115, v4, v41, v115
	;;#ASMEND
	s_waitcnt lgkmcnt(6)
	;;#ASMSTART
	v_dot2_f32_f16 v116, v1, v42, v116
	;;#ASMEND
	;;#ASMSTART
	v_dot2_f32_f16 v116, v2, v43, v116
	;;#ASMEND
	;;#ASMSTART
	v_dot2_f32_f16 v116, v3, v44, v116
	;;#ASMEND
	;;#ASMSTART
	v_dot2_f32_f16 v116, v4, v45, v116
	;;#ASMEND
	;; [unrolled: 13-line block ×8, first 2 shown]
	;;#ASMSTART
	v_dot2_f32_f16 v37, v5, v38, v37
	;;#ASMEND
	;;#ASMSTART
	v_dot2_f32_f16 v37, v6, v39, v37
	;;#ASMEND
	;; [unrolled: 3-line block ×32, first 2 shown]
	ds_read_b128 v[1:4], v70 offset:16
	ds_read_b128 v[5:8], v70 offset:2576
	;; [unrolled: 1-line block ×10, first 2 shown]
	s_waitcnt lgkmcnt(7)
	;;#ASMSTART
	v_dot2_f32_f16 v115, v1, v38, v115
	;;#ASMEND
	;;#ASMSTART
	v_dot2_f32_f16 v115, v2, v39, v115
	;;#ASMEND
	;;#ASMSTART
	v_dot2_f32_f16 v115, v3, v40, v115
	;;#ASMEND
	;;#ASMSTART
	v_dot2_f32_f16 v115, v4, v41, v115
	;;#ASMEND
	s_waitcnt lgkmcnt(6)
	;;#ASMSTART
	v_dot2_f32_f16 v116, v1, v42, v116
	;;#ASMEND
	;;#ASMSTART
	v_dot2_f32_f16 v116, v2, v43, v116
	;;#ASMEND
	;;#ASMSTART
	v_dot2_f32_f16 v116, v3, v44, v116
	;;#ASMEND
	;;#ASMSTART
	v_dot2_f32_f16 v116, v4, v45, v116
	;;#ASMEND
	s_waitcnt lgkmcnt(5)
	;;#ASMSTART
	v_dot2_f32_f16 v117, v1, v46, v117
	;;#ASMEND
	;;#ASMSTART
	v_dot2_f32_f16 v117, v2, v47, v117
	;;#ASMEND
	;;#ASMSTART
	v_dot2_f32_f16 v117, v3, v48, v117
	;;#ASMEND
	;;#ASMSTART
	v_dot2_f32_f16 v117, v4, v49, v117
	;;#ASMEND
	s_waitcnt lgkmcnt(4)
	;;#ASMSTART
	v_dot2_f32_f16 v118, v1, v50, v118
	;;#ASMEND
	;;#ASMSTART
	v_dot2_f32_f16 v118, v2, v51, v118
	;;#ASMEND
	;;#ASMSTART
	v_dot2_f32_f16 v118, v3, v52, v118
	;;#ASMEND
	;;#ASMSTART
	v_dot2_f32_f16 v118, v4, v53, v118
	;;#ASMEND
	s_waitcnt lgkmcnt(3)
	;;#ASMSTART
	v_dot2_f32_f16 v119, v1, v62, v119
	;;#ASMEND
	;;#ASMSTART
	v_dot2_f32_f16 v119, v2, v63, v119
	;;#ASMEND
	;;#ASMSTART
	v_dot2_f32_f16 v119, v3, v64, v119
	;;#ASMEND
	;;#ASMSTART
	v_dot2_f32_f16 v119, v4, v65, v119
	;;#ASMEND
	s_waitcnt lgkmcnt(2)
	;;#ASMSTART
	v_dot2_f32_f16 v120, v1, v66, v120
	;;#ASMEND
	;;#ASMSTART
	v_dot2_f32_f16 v120, v2, v67, v120
	;;#ASMEND
	;;#ASMSTART
	v_dot2_f32_f16 v120, v3, v68, v120
	;;#ASMEND
	;;#ASMSTART
	v_dot2_f32_f16 v120, v4, v69, v120
	;;#ASMEND
	s_waitcnt lgkmcnt(1)
	;;#ASMSTART
	v_dot2_f32_f16 v121, v1, v71, v121
	;;#ASMEND
	;;#ASMSTART
	v_dot2_f32_f16 v121, v2, v72, v121
	;;#ASMEND
	;;#ASMSTART
	v_dot2_f32_f16 v121, v3, v73, v121
	;;#ASMEND
	;;#ASMSTART
	v_dot2_f32_f16 v121, v4, v74, v121
	;;#ASMEND
	s_waitcnt lgkmcnt(0)
	;;#ASMSTART
	v_dot2_f32_f16 v122, v1, v82, v122
	;;#ASMEND
	;;#ASMSTART
	v_dot2_f32_f16 v122, v2, v83, v122
	;;#ASMEND
	;;#ASMSTART
	v_dot2_f32_f16 v122, v3, v84, v122
	;;#ASMEND
	;;#ASMSTART
	v_dot2_f32_f16 v122, v4, v85, v122
	;;#ASMEND
	;;#ASMSTART
	v_dot2_f32_f16 v37, v5, v38, v37
	;;#ASMEND
	;;#ASMSTART
	v_dot2_f32_f16 v37, v6, v39, v37
	;;#ASMEND
	;; [unrolled: 3-line block ×32, first 2 shown]
	ds_read_b128 v[1:4], v70 offset:32
	ds_read_b128 v[5:8], v70 offset:2592
	;; [unrolled: 1-line block ×10, first 2 shown]
	s_waitcnt lgkmcnt(7)
	;;#ASMSTART
	v_dot2_f32_f16 v115, v1, v38, v115
	;;#ASMEND
	;;#ASMSTART
	v_dot2_f32_f16 v115, v2, v39, v115
	;;#ASMEND
	;;#ASMSTART
	v_dot2_f32_f16 v115, v3, v40, v115
	;;#ASMEND
	;;#ASMSTART
	v_dot2_f32_f16 v115, v4, v41, v115
	;;#ASMEND
	s_waitcnt lgkmcnt(6)
	;;#ASMSTART
	v_dot2_f32_f16 v116, v1, v42, v116
	;;#ASMEND
	;;#ASMSTART
	v_dot2_f32_f16 v116, v2, v43, v116
	;;#ASMEND
	;;#ASMSTART
	v_dot2_f32_f16 v116, v3, v44, v116
	;;#ASMEND
	;;#ASMSTART
	v_dot2_f32_f16 v116, v4, v45, v116
	;;#ASMEND
	;; [unrolled: 13-line block ×8, first 2 shown]
	;;#ASMSTART
	v_dot2_f32_f16 v37, v5, v38, v37
	;;#ASMEND
	;;#ASMSTART
	v_dot2_f32_f16 v37, v6, v39, v37
	;;#ASMEND
	;; [unrolled: 3-line block ×32, first 2 shown]
	ds_read_b128 v[1:4], v70 offset:48
	ds_read_b128 v[5:8], v70 offset:2608
	;; [unrolled: 1-line block ×10, first 2 shown]
	s_waitcnt lgkmcnt(7)
	;;#ASMSTART
	v_dot2_f32_f16 v115, v1, v38, v115
	;;#ASMEND
	;;#ASMSTART
	v_dot2_f32_f16 v115, v2, v39, v115
	;;#ASMEND
	;;#ASMSTART
	v_dot2_f32_f16 v115, v3, v40, v115
	;;#ASMEND
	;;#ASMSTART
	v_dot2_f32_f16 v115, v4, v41, v115
	;;#ASMEND
	s_waitcnt lgkmcnt(6)
	;;#ASMSTART
	v_dot2_f32_f16 v116, v1, v42, v116
	;;#ASMEND
	;;#ASMSTART
	v_dot2_f32_f16 v116, v2, v43, v116
	;;#ASMEND
	;;#ASMSTART
	v_dot2_f32_f16 v116, v3, v44, v116
	;;#ASMEND
	;;#ASMSTART
	v_dot2_f32_f16 v116, v4, v45, v116
	;;#ASMEND
	;; [unrolled: 13-line block ×8, first 2 shown]
	;;#ASMSTART
	v_dot2_f32_f16 v37, v5, v38, v37
	;;#ASMEND
	;;#ASMSTART
	v_dot2_f32_f16 v37, v6, v39, v37
	;;#ASMEND
	;; [unrolled: 3-line block ×26, first 2 shown]
	v_mov_b32_e32 v72, v15
	v_cmp_lt_i32_e32 vcc, v72, v61
	v_mov_b32_e32 v69, v12
	v_cndmask_b32_e32 v1, v60, v72, vcc
	v_cmp_lt_i32_e32 vcc, v56, v61
	v_mov_b32_e32 v68, v11
	v_mov_b32_e32 v71, v14
	;;#ASMSTART
	v_dot2_f32_f16 v13, v7, v73, v13
	;;#ASMEND
	v_lshlrev_b32_e32 v11, 2, v1
	v_cndmask_b32_e32 v1, v60, v56, vcc
	v_cmp_lt_i32_e32 vcc, v69, v61
	;;#ASMSTART
	v_dot2_f32_f16 v13, v8, v74, v13
	;;#ASMEND
	;;#ASMSTART
	v_dot2_f32_f16 v9, v5, v82, v9
	;;#ASMEND
	v_lshlrev_b32_e32 v14, 2, v1
	v_cndmask_b32_e32 v1, v60, v69, vcc
	v_cmp_lt_i32_e32 vcc, v71, v61
	;;#ASMSTART
	v_dot2_f32_f16 v9, v6, v83, v9
	;;#ASMEND
	v_lshlrev_b32_e32 v15, 2, v1
	v_cndmask_b32_e32 v1, v60, v71, vcc
	v_cmp_lt_i32_e32 vcc, v68, v61
	;;#ASMSTART
	v_dot2_f32_f16 v9, v7, v84, v9
	;;#ASMEND
	v_lshlrev_b32_e32 v20, 2, v1
	v_cndmask_b32_e32 v1, v60, v68, vcc
	;;#ASMSTART
	v_dot2_f32_f16 v9, v8, v85, v9
	;;#ASMEND
	v_lshlrev_b32_e32 v22, 2, v1
	buffer_load_dword v1, off, s[44:47], 0 offset:8 ; 4-byte Folded Reload
	v_mov_b32_e32 v62, v10
	v_add_u32_e32 v7, s6, v62
	s_waitcnt vmcnt(0)
	v_add_u32_e32 v1, v7, v1
	v_ashrrev_i32_e32 v2, 31, v1
	v_lshlrev_b64 v[1:2], 1, v[1:2]
	v_add_co_u32_e32 v1, vcc, s34, v1
	v_addc_co_u32_e32 v2, vcc, v80, v2, vcc
	global_load_ushort v3, v[1:2], off
	s_waitcnt vmcnt(0)
	v_cvt_f32_f16_e32 v3, v3
	global_load_ushort v1, v[1:2], off offset:64
	v_add_f32_e32 v27, v116, v3
	v_add_f32_e32 v23, v115, v3
	;; [unrolled: 1-line block ×4, first 2 shown]
	s_waitcnt vmcnt(0)
	v_cvt_f32_f16_e32 v2, v1
	v_add_f32_e32 v31, v33, v2
	v_add_f32_e32 v24, v37, v2
	;; [unrolled: 1-line block ×3, first 2 shown]
	v_max3_f32 v2, v113, v3, v2
	ds_bpermute_b32 v3, v11, v2
	v_add_f32_e32 v1, 0x40051340, v24
	v_max3_f32 v1, v114, v4, v1
	ds_bpermute_b32 v4, v11, v1
	s_waitcnt lgkmcnt(1)
	v_max_f32_e32 v3, v3, v3
	v_max_f32_e32 v2, v2, v3
	ds_bpermute_b32 v3, v14, v2
	s_waitcnt lgkmcnt(1)
	v_max_f32_e32 v4, v4, v4
	v_max_f32_e32 v1, v1, v4
	;; [unrolled: 4-line block ×9, first 2 shown]
	buffer_load_dword v3, off, s[44:47], 0 offset:12 ; 4-byte Folded Reload
	s_waitcnt lgkmcnt(0)
	v_max_f32_e32 v4, v4, v4
	v_max_f32_e32 v1, v1, v4
	s_waitcnt vmcnt(0)
	v_add_u32_e32 v3, v7, v3
	v_ashrrev_i32_e32 v4, 31, v3
	v_lshlrev_b64 v[3:4], 1, v[3:4]
	v_add_co_u32_e32 v3, vcc, s34, v3
	v_addc_co_u32_e32 v4, vcc, v80, v4, vcc
	global_load_ushort v5, v[3:4], off
	s_waitcnt vmcnt(0)
	v_cvt_f32_f16_e32 v5, v5
	global_load_ushort v3, v[3:4], off offset:64
	v_add_f32_e32 v26, v118, v5
	v_add_f32_e32 v33, v117, v5
	;; [unrolled: 1-line block ×4, first 2 shown]
	s_waitcnt vmcnt(0)
	v_cvt_f32_f16_e32 v4, v3
	v_add_f32_e32 v16, v25, v4
	v_add_f32_e32 v34, v29, v4
	;; [unrolled: 1-line block ×3, first 2 shown]
	v_max3_f32 v4, v109, v5, v4
	ds_bpermute_b32 v5, v11, v4
	v_add_f32_e32 v3, 0x40051340, v34
	v_max3_f32 v3, v111, v6, v3
	ds_bpermute_b32 v6, v11, v3
	s_waitcnt lgkmcnt(1)
	v_max_f32_e32 v5, v5, v5
	v_max_f32_e32 v4, v4, v5
	ds_bpermute_b32 v5, v14, v4
	s_waitcnt lgkmcnt(1)
	v_max_f32_e32 v6, v6, v6
	v_max_f32_e32 v3, v3, v6
	ds_bpermute_b32 v6, v14, v3
	s_waitcnt lgkmcnt(1)
	v_max_f32_e32 v5, v5, v5
	v_max_f32_e32 v4, v4, v5
	ds_bpermute_b32 v5, v15, v4
	s_waitcnt lgkmcnt(1)
	v_max_f32_e32 v6, v6, v6
	v_max_f32_e32 v3, v3, v6
	ds_bpermute_b32 v6, v15, v3
	s_waitcnt lgkmcnt(1)
	v_max_f32_e32 v5, v5, v5
	v_max_f32_e32 v4, v4, v5
	ds_bpermute_b32 v5, v20, v4
	s_waitcnt lgkmcnt(1)
	v_max_f32_e32 v6, v6, v6
	v_max_f32_e32 v3, v3, v6
	ds_bpermute_b32 v6, v20, v3
	s_waitcnt lgkmcnt(1)
	v_max_f32_e32 v5, v5, v5
	v_max_f32_e32 v4, v4, v5
	ds_bpermute_b32 v5, v22, v4
	s_waitcnt lgkmcnt(1)
	v_max_f32_e32 v6, v6, v6
	v_max_f32_e32 v3, v3, v6
	ds_bpermute_b32 v6, v22, v3
	s_waitcnt lgkmcnt(1)
	v_max_f32_e32 v5, v5, v5
	v_max_f32_e32 v4, v4, v5
	buffer_load_dword v5, off, s[44:47], 0 offset:16 ; 4-byte Folded Reload
	s_waitcnt lgkmcnt(0)
	v_max_f32_e32 v6, v6, v6
	v_max_f32_e32 v3, v3, v6
	v_sub_f32_e32 v26, v26, v4
	v_sub_f32_e32 v16, v16, v4
	s_waitcnt vmcnt(0)
	v_add_u32_e32 v5, v7, v5
	v_ashrrev_i32_e32 v6, 31, v5
	v_lshlrev_b64 v[5:6], 1, v[5:6]
	v_add_co_u32_e32 v5, vcc, s34, v5
	v_addc_co_u32_e32 v6, vcc, v80, v6, vcc
	global_load_ushort v8, v[5:6], off
	s_waitcnt vmcnt(0)
	v_cvt_f32_f16_e32 v8, v8
	global_load_ushort v5, v[5:6], off offset:64
	v_add_f32_e32 v30, v120, v8
	v_add_f32_e32 v29, v119, v8
	;; [unrolled: 1-line block ×4, first 2 shown]
	s_waitcnt vmcnt(0)
	v_cvt_f32_f16_e32 v6, v5
	v_add_f32_e32 v18, v17, v6
	v_add_f32_e32 v28, v21, v6
	;; [unrolled: 1-line block ×3, first 2 shown]
	v_max3_f32 v6, v105, v8, v6
	ds_bpermute_b32 v8, v11, v6
	v_add_f32_e32 v5, 0x40051340, v28
	v_max3_f32 v5, v107, v10, v5
	ds_bpermute_b32 v10, v11, v5
	s_waitcnt lgkmcnt(1)
	v_max_f32_e32 v8, v8, v8
	v_max_f32_e32 v6, v6, v8
	ds_bpermute_b32 v8, v14, v6
	s_waitcnt lgkmcnt(1)
	v_max_f32_e32 v10, v10, v10
	v_max_f32_e32 v5, v5, v10
	;; [unrolled: 4-line block ×9, first 2 shown]
	buffer_load_dword v8, off, s[44:47], 0 offset:20 ; 4-byte Folded Reload
	s_waitcnt lgkmcnt(0)
	v_max_f32_e32 v10, v10, v10
	v_max_f32_e32 v5, v5, v10
	v_sub_f32_e32 v28, v28, v5
	v_sub_f32_e32 v30, v30, v6
	v_sub_f32_e32 v18, v18, v6
	s_waitcnt vmcnt(0)
	v_add_u32_e32 v7, v7, v8
	v_ashrrev_i32_e32 v8, 31, v7
	v_lshlrev_b64 v[7:8], 1, v[7:8]
	v_add_co_u32_e32 v7, vcc, s34, v7
	v_addc_co_u32_e32 v8, vcc, v80, v8, vcc
	global_load_ushort v10, v[7:8], off
	s_waitcnt vmcnt(0)
	v_cvt_f32_f16_e32 v10, v10
	global_load_ushort v7, v[7:8], off offset:64
	s_waitcnt vmcnt(0)
	s_barrier
	v_add_f32_e32 v32, v121, v10
	v_add_f32_e32 v12, 0x40051340, v32
	v_cvt_f32_f16_e32 v8, v7
	v_add_f32_e32 v19, v13, v8
	v_add_f32_e32 v7, 0x40051340, v19
	v_max3_f32 v7, v103, v12, v7
	ds_bpermute_b32 v12, v11, v7
	s_waitcnt lgkmcnt(0)
	v_max_f32_e32 v12, v12, v12
	v_max_f32_e32 v7, v7, v12
	ds_bpermute_b32 v12, v14, v7
	s_waitcnt lgkmcnt(0)
	v_max_f32_e32 v12, v12, v12
	v_max_f32_e32 v7, v7, v12
	;; [unrolled: 4-line block ×5, first 2 shown]
	v_add_f32_e32 v12, v122, v10
	v_add_f32_e32 v10, v9, v8
	;; [unrolled: 1-line block ×4, first 2 shown]
	v_max3_f32 v8, v101, v13, v8
	ds_bpermute_b32 v9, v11, v8
	v_sub_f32_e32 v32, v32, v7
	v_sub_f32_e32 v19, v19, v7
	s_waitcnt lgkmcnt(0)
	v_max_f32_e32 v9, v9, v9
	v_max_f32_e32 v8, v8, v9
	ds_bpermute_b32 v9, v14, v8
	v_sub_f32_e32 v14, v114, v1
	s_waitcnt lgkmcnt(0)
	v_max_f32_e32 v9, v9, v9
	v_max_f32_e32 v8, v8, v9
	ds_bpermute_b32 v9, v15, v8
	s_waitcnt lgkmcnt(0)
	v_max_f32_e32 v9, v9, v9
	v_max_f32_e32 v8, v8, v9
	ds_bpermute_b32 v9, v20, v8
	;; [unrolled: 4-line block ×3, first 2 shown]
	s_waitcnt lgkmcnt(0)
	v_max_f32_e32 v9, v9, v9
	v_max_f32_e32 v8, v8, v9
	v_sub_f32_e32 v9, v23, v1
	v_mul_f32_e32 v11, 0x3fb8aa3b, v9
	v_fma_f32 v13, v9, s10, -v11
	v_rndne_f32_e32 v15, v11
	v_fmac_f32_e32 v13, 0x32a5705f, v9
	v_sub_f32_e32 v11, v11, v15
	v_add_f32_e32 v11, v11, v13
	v_exp_f32_e32 v11, v11
	v_cvt_i32_f32_e32 v13, v15
	v_cmp_ngt_f32_e32 vcc, s11, v9
	v_sub_f32_e32 v12, v12, v8
	v_sub_f32_e32 v10, v10, v8
	v_ldexp_f32 v11, v11, v13
	v_sub_f32_e32 v13, v24, v1
	v_mul_f32_e32 v15, 0x3fb8aa3b, v13
	v_fma_f32 v17, v13, s10, -v15
	v_rndne_f32_e32 v20, v15
	v_fmac_f32_e32 v17, 0x32a5705f, v13
	v_sub_f32_e32 v15, v15, v20
	v_add_f32_e32 v15, v15, v17
	v_exp_f32_e32 v15, v15
	v_cvt_i32_f32_e32 v17, v20
	v_cndmask_b32_e32 v11, 0, v11, vcc
	v_cmp_nlt_f32_e32 vcc, s12, v9
	v_cndmask_b32_e32 v11, v81, v11, vcc
	v_ldexp_f32 v15, v15, v17
	v_cmp_ngt_f32_e32 vcc, s11, v13
	v_cndmask_b32_e32 v15, 0, v15, vcc
	v_cmp_nlt_f32_e32 vcc, s12, v13
	v_cndmask_b32_e32 v15, v81, v15, vcc
	v_cvt_f16_f32_e32 v9, v11
	v_add_f32_e32 v13, v11, v15
	v_cvt_f16_f32_e32 v11, v15
	v_mul_f32_e32 v15, 0x3fb8aa3b, v14
	v_fma_f32 v17, v14, s10, -v15
	v_rndne_f32_e32 v20, v15
	v_fmac_f32_e32 v17, 0x32a5705f, v14
	v_sub_f32_e32 v15, v15, v20
	v_add_f32_e32 v15, v15, v17
	v_exp_f32_e32 v15, v15
	v_cvt_i32_f32_e32 v17, v20
	v_cmp_ngt_f32_e32 vcc, s11, v14
	v_ldexp_f32 v15, v15, v17
	v_cndmask_b32_e32 v15, 0, v15, vcc
	v_cmp_nlt_f32_e32 vcc, s12, v14
	v_cndmask_b32_e32 v14, v81, v15, vcc
	v_fmac_f32_e32 v13, v112, v14
	v_cvt_f16_f32_e32 v14, v14
	v_sub_f32_e32 v15, v113, v2
	v_mul_u32_u24_e32 v14, 0x10001, v14
	v_pk_mul_f16 v21, v98, v14
	v_pk_mul_f16 v20, v99, v14
	v_sub_f32_e32 v14, v27, v2
	v_mul_f32_e32 v17, 0x3fb8aa3b, v14
	v_fma_f32 v22, v14, s10, -v17
	v_rndne_f32_e32 v23, v17
	v_fmac_f32_e32 v22, 0x32a5705f, v14
	v_sub_f32_e32 v17, v17, v23
	v_add_f32_e32 v17, v17, v22
	v_exp_f32_e32 v17, v17
	v_cvt_i32_f32_e32 v22, v23
	v_cmp_ngt_f32_e32 vcc, s11, v14
	v_ldexp_f32 v17, v17, v22
	v_cndmask_b32_e32 v17, 0, v17, vcc
	v_cmp_nlt_f32_e32 vcc, s12, v14
	v_cndmask_b32_e32 v14, v81, v17, vcc
	v_sub_f32_e32 v17, v31, v2
	v_mul_f32_e32 v22, 0x3fb8aa3b, v17
	v_fma_f32 v23, v17, s10, -v22
	v_rndne_f32_e32 v24, v22
	v_fmac_f32_e32 v23, 0x32a5705f, v17
	v_sub_f32_e32 v22, v22, v24
	v_add_f32_e32 v22, v22, v23
	v_exp_f32_e32 v22, v22
	v_cvt_i32_f32_e32 v23, v24
	v_cmp_ngt_f32_e32 vcc, s11, v17
	v_cvt_f16_f32_e32 v36, v14
	v_ldexp_f32 v22, v22, v23
	v_cndmask_b32_e32 v22, 0, v22, vcc
	v_cmp_nlt_f32_e32 vcc, s12, v17
	v_cndmask_b32_e32 v17, v81, v22, vcc
	v_add_f32_e32 v14, v14, v17
	v_cvt_f16_f32_e32 v37, v17
	v_mul_f32_e32 v17, 0x3fb8aa3b, v15
	v_fma_f32 v22, v15, s10, -v17
	v_rndne_f32_e32 v23, v17
	v_fmac_f32_e32 v22, 0x32a5705f, v15
	v_sub_f32_e32 v17, v17, v23
	v_add_f32_e32 v17, v17, v22
	v_exp_f32_e32 v17, v17
	v_cvt_i32_f32_e32 v22, v23
	v_cmp_ngt_f32_e32 vcc, s11, v15
	v_ldexp_f32 v17, v17, v22
	v_cndmask_b32_e32 v17, 0, v17, vcc
	v_cmp_nlt_f32_e32 vcc, s12, v15
	v_cndmask_b32_e32 v15, v81, v17, vcc
	v_fmac_f32_e32 v14, v110, v15
	v_cvt_f16_f32_e32 v15, v15
	v_sub_f32_e32 v17, v111, v3
	v_mul_u32_u24_e32 v15, 0x10001, v15
	v_pk_mul_f16 v23, v96, v15
	v_pk_mul_f16 v22, v97, v15
	v_sub_f32_e32 v15, v33, v3
	v_mul_f32_e32 v24, 0x3fb8aa3b, v15
	v_fma_f32 v25, v15, s10, -v24
	v_rndne_f32_e32 v27, v24
	v_fmac_f32_e32 v25, 0x32a5705f, v15
	v_sub_f32_e32 v24, v24, v27
	v_add_f32_e32 v24, v24, v25
	v_exp_f32_e32 v24, v24
	v_cvt_i32_f32_e32 v25, v27
	v_cmp_ngt_f32_e32 vcc, s11, v15
	v_ldexp_f32 v24, v24, v25
	v_cndmask_b32_e32 v24, 0, v24, vcc
	v_cmp_nlt_f32_e32 vcc, s12, v15
	v_cndmask_b32_e32 v15, v81, v24, vcc
	v_sub_f32_e32 v24, v34, v3
	v_mul_f32_e32 v25, 0x3fb8aa3b, v24
	v_fma_f32 v27, v24, s10, -v25
	v_rndne_f32_e32 v31, v25
	v_fmac_f32_e32 v27, 0x32a5705f, v24
	v_sub_f32_e32 v25, v25, v31
	v_add_f32_e32 v25, v25, v27
	v_exp_f32_e32 v25, v25
	v_cvt_i32_f32_e32 v27, v31
	v_cmp_ngt_f32_e32 vcc, s11, v24
	v_cvt_f16_f32_e32 v38, v15
	v_ldexp_f32 v25, v25, v27
	v_cndmask_b32_e32 v25, 0, v25, vcc
	v_cmp_nlt_f32_e32 vcc, s12, v24
	v_cndmask_b32_e32 v24, v81, v25, vcc
	v_add_f32_e32 v15, v15, v24
	v_cvt_f16_f32_e32 v39, v24
	v_mul_f32_e32 v24, 0x3fb8aa3b, v17
	v_fma_f32 v25, v17, s10, -v24
	v_rndne_f32_e32 v27, v24
	v_fmac_f32_e32 v25, 0x32a5705f, v17
	v_sub_f32_e32 v24, v24, v27
	v_add_f32_e32 v24, v24, v25
	v_cvt_i32_f32_e32 v25, v27
	v_mul_f32_e32 v27, 0x3fb8aa3b, v26
	v_fma_f32 v31, v26, s10, -v27
	v_rndne_f32_e32 v33, v27
	v_exp_f32_e32 v24, v24
	v_fmac_f32_e32 v31, 0x32a5705f, v26
	v_sub_f32_e32 v27, v27, v33
	v_add_f32_e32 v27, v27, v31
	v_exp_f32_e32 v27, v27
	v_cvt_i32_f32_e32 v31, v33
	v_ldexp_f32 v24, v24, v25
	v_cmp_ngt_f32_e32 vcc, s11, v17
	v_cndmask_b32_e32 v24, 0, v24, vcc
	v_cmp_nlt_f32_e32 vcc, s12, v17
	v_cndmask_b32_e32 v17, v81, v24, vcc
	v_ldexp_f32 v27, v27, v31
	v_cmp_ngt_f32_e32 vcc, s11, v26
	v_cndmask_b32_e32 v27, 0, v27, vcc
	v_cmp_nlt_f32_e32 vcc, s12, v26
	v_cndmask_b32_e32 v26, v81, v27, vcc
	v_mul_f32_e32 v27, 0x3fb8aa3b, v16
	v_fma_f32 v31, v16, s10, -v27
	v_rndne_f32_e32 v33, v27
	v_fmac_f32_e32 v31, 0x32a5705f, v16
	v_sub_f32_e32 v27, v27, v33
	v_add_f32_e32 v27, v27, v31
	v_exp_f32_e32 v27, v27
	v_cvt_i32_f32_e32 v31, v33
	v_fmac_f32_e32 v15, v108, v17
	v_cvt_f16_f32_e32 v17, v17
	v_cmp_ngt_f32_e32 vcc, s11, v16
	v_ldexp_f32 v27, v27, v31
	v_cndmask_b32_e32 v27, 0, v27, vcc
	v_mul_u32_u24_e32 v17, 0x10001, v17
	v_cmp_nlt_f32_e32 vcc, s12, v16
	v_pk_mul_f16 v25, v94, v17
	v_pk_mul_f16 v24, v95, v17
	v_sub_f32_e32 v17, v109, v4
	v_cndmask_b32_e32 v27, v81, v27, vcc
	v_cvt_f16_f32_e32 v40, v26
	v_add_f32_e32 v16, v26, v27
	v_mul_f32_e32 v26, 0x3fb8aa3b, v17
	v_cvt_f16_f32_e32 v44, v27
	v_fma_f32 v27, v17, s10, -v26
	v_rndne_f32_e32 v31, v26
	v_fmac_f32_e32 v27, 0x32a5705f, v17
	v_sub_f32_e32 v26, v26, v31
	v_add_f32_e32 v26, v26, v27
	v_exp_f32_e32 v26, v26
	v_cvt_i32_f32_e32 v27, v31
	v_cmp_ngt_f32_e32 vcc, s11, v17
	v_sub_f32_e32 v31, v107, v5
	v_pack_b32_f16 v39, v39, v44
	v_ldexp_f32 v26, v26, v27
	v_cndmask_b32_e32 v26, 0, v26, vcc
	v_cmp_nlt_f32_e32 vcc, s12, v17
	v_cndmask_b32_e32 v17, v81, v26, vcc
	v_fmac_f32_e32 v16, v106, v17
	v_cvt_f16_f32_e32 v17, v17
	v_mul_u32_u24_e32 v17, 0x10001, v17
	v_pk_mul_f16 v27, v92, v17
	v_pk_mul_f16 v26, v93, v17
	v_sub_f32_e32 v17, v29, v5
	v_mul_f32_e32 v29, 0x3fb8aa3b, v17
	v_fma_f32 v33, v17, s10, -v29
	v_rndne_f32_e32 v34, v29
	v_fmac_f32_e32 v33, 0x32a5705f, v17
	v_sub_f32_e32 v29, v29, v34
	v_add_f32_e32 v29, v29, v33
	v_exp_f32_e32 v29, v29
	v_cvt_i32_f32_e32 v33, v34
	v_cmp_ngt_f32_e32 vcc, s11, v17
	v_ldexp_f32 v29, v29, v33
	v_cndmask_b32_e32 v29, 0, v29, vcc
	v_cmp_nlt_f32_e32 vcc, s12, v17
	v_cndmask_b32_e32 v17, v81, v29, vcc
	v_mul_f32_e32 v29, 0x3fb8aa3b, v28
	v_fma_f32 v33, v28, s10, -v29
	v_rndne_f32_e32 v34, v29
	v_fmac_f32_e32 v33, 0x32a5705f, v28
	v_sub_f32_e32 v29, v29, v34
	v_add_f32_e32 v29, v29, v33
	v_exp_f32_e32 v29, v29
	v_cvt_i32_f32_e32 v33, v34
	v_cmp_ngt_f32_e32 vcc, s11, v28
	v_cvt_f16_f32_e32 v41, v17
	v_ldexp_f32 v29, v29, v33
	v_cndmask_b32_e32 v29, 0, v29, vcc
	v_cmp_nlt_f32_e32 vcc, s12, v28
	v_cndmask_b32_e32 v28, v81, v29, vcc
	v_add_f32_e32 v17, v17, v28
	v_cvt_f16_f32_e32 v45, v28
	v_mul_f32_e32 v28, 0x3fb8aa3b, v31
	v_fma_f32 v29, v31, s10, -v28
	v_rndne_f32_e32 v33, v28
	v_fmac_f32_e32 v29, 0x32a5705f, v31
	v_sub_f32_e32 v28, v28, v33
	v_add_f32_e32 v28, v28, v29
	v_cvt_i32_f32_e32 v29, v33
	v_mul_f32_e32 v33, 0x3fb8aa3b, v30
	v_fma_f32 v34, v30, s10, -v33
	v_rndne_f32_e32 v35, v33
	v_exp_f32_e32 v28, v28
	v_fmac_f32_e32 v34, 0x32a5705f, v30
	v_sub_f32_e32 v33, v33, v35
	v_add_f32_e32 v33, v33, v34
	v_exp_f32_e32 v33, v33
	v_cvt_i32_f32_e32 v34, v35
	v_ldexp_f32 v28, v28, v29
	v_cmp_ngt_f32_e32 vcc, s11, v31
	v_cndmask_b32_e32 v28, 0, v28, vcc
	v_cmp_nlt_f32_e32 vcc, s12, v31
	v_cndmask_b32_e32 v28, v81, v28, vcc
	v_ldexp_f32 v33, v33, v34
	v_cmp_ngt_f32_e32 vcc, s11, v30
	v_cndmask_b32_e32 v33, 0, v33, vcc
	v_cmp_nlt_f32_e32 vcc, s12, v30
	v_cndmask_b32_e32 v30, v81, v33, vcc
	v_cvt_f16_f32_e32 v42, v30
	v_mul_f32_e32 v33, 0x3fb8aa3b, v18
	v_fma_f32 v34, v18, s10, -v33
	v_rndne_f32_e32 v35, v33
	v_pack_b32_f16 v42, v41, v42
	v_pack_b32_f16 v41, v38, v40
	;; [unrolled: 1-line block ×3, first 2 shown]
	buffer_load_dword v9, off, s[44:47], 0 offset:24 ; 4-byte Folded Reload
	v_fmac_f32_e32 v34, 0x32a5705f, v18
	v_sub_f32_e32 v33, v33, v35
	v_add_f32_e32 v33, v33, v34
	v_exp_f32_e32 v33, v33
	v_cvt_i32_f32_e32 v34, v35
	v_cmp_ngt_f32_e32 vcc, s11, v18
	v_sub_f32_e32 v31, v105, v6
	v_pack_b32_f16 v38, v11, v37
	v_ldexp_f32 v33, v33, v34
	v_cndmask_b32_e32 v33, 0, v33, vcc
	v_cmp_nlt_f32_e32 vcc, s12, v18
	v_cndmask_b32_e32 v33, v81, v33, vcc
	v_add_f32_e32 v18, v30, v33
	v_mul_f32_e32 v30, 0x3fb8aa3b, v31
	v_cvt_f16_f32_e32 v46, v33
	v_fma_f32 v33, v31, s10, -v30
	v_rndne_f32_e32 v34, v30
	v_fmac_f32_e32 v33, 0x32a5705f, v31
	v_sub_f32_e32 v30, v30, v34
	v_add_f32_e32 v30, v30, v33
	v_cvt_i32_f32_e32 v33, v34
	v_mul_f32_e32 v34, 0x3fb8aa3b, v32
	v_fma_f32 v35, v32, s10, -v34
	v_rndne_f32_e32 v43, v34
	v_exp_f32_e32 v30, v30
	v_fmac_f32_e32 v35, 0x32a5705f, v32
	v_sub_f32_e32 v34, v34, v43
	v_add_f32_e32 v34, v34, v35
	v_exp_f32_e32 v34, v34
	v_cvt_i32_f32_e32 v35, v43
	v_ldexp_f32 v30, v30, v33
	v_cmp_ngt_f32_e32 vcc, s11, v31
	v_cndmask_b32_e32 v30, 0, v30, vcc
	v_cmp_nlt_f32_e32 vcc, s12, v31
	v_cndmask_b32_e32 v30, v81, v30, vcc
	v_ldexp_f32 v34, v34, v35
	v_cmp_ngt_f32_e32 vcc, s11, v32
	v_cndmask_b32_e32 v34, 0, v34, vcc
	v_cmp_nlt_f32_e32 vcc, s12, v32
	v_cndmask_b32_e32 v32, v81, v34, vcc
	v_mul_f32_e32 v34, 0x3fb8aa3b, v19
	v_fma_f32 v35, v19, s10, -v34
	v_rndne_f32_e32 v47, v34
	v_fmac_f32_e32 v35, 0x32a5705f, v19
	v_sub_f32_e32 v34, v34, v47
	v_add_f32_e32 v34, v34, v35
	v_exp_f32_e32 v34, v34
	v_cvt_i32_f32_e32 v35, v47
	v_cmp_ngt_f32_e32 vcc, s11, v19
	v_sub_f32_e32 v33, v103, v7
	v_cvt_f16_f32_e32 v43, v32
	v_ldexp_f32 v34, v34, v35
	v_cndmask_b32_e32 v34, 0, v34, vcc
	v_cmp_nlt_f32_e32 vcc, s12, v19
	v_cndmask_b32_e32 v34, v81, v34, vcc
	v_add_f32_e32 v19, v32, v34
	v_mul_f32_e32 v32, 0x3fb8aa3b, v33
	v_cvt_f16_f32_e32 v47, v34
	v_fma_f32 v34, v33, s10, -v32
	v_rndne_f32_e32 v35, v32
	v_fmac_f32_e32 v34, 0x32a5705f, v33
	v_sub_f32_e32 v32, v32, v35
	v_add_f32_e32 v32, v32, v34
	v_cvt_i32_f32_e32 v34, v35
	v_mul_f32_e32 v35, 0x3fb8aa3b, v12
	v_fma_f32 v48, v12, s10, -v35
	v_rndne_f32_e32 v49, v35
	v_exp_f32_e32 v32, v32
	v_fmac_f32_e32 v48, 0x32a5705f, v12
	v_sub_f32_e32 v35, v35, v49
	v_add_f32_e32 v35, v35, v48
	v_exp_f32_e32 v35, v35
	v_cvt_i32_f32_e32 v48, v49
	v_ldexp_f32 v32, v32, v34
	v_cmp_ngt_f32_e32 vcc, s11, v33
	v_cndmask_b32_e32 v32, 0, v32, vcc
	v_cmp_nlt_f32_e32 vcc, s12, v33
	v_cndmask_b32_e32 v32, v81, v32, vcc
	v_ldexp_f32 v35, v35, v48
	v_cmp_ngt_f32_e32 vcc, s11, v12
	v_cndmask_b32_e32 v35, 0, v35, vcc
	v_cmp_nlt_f32_e32 vcc, s12, v12
	v_cndmask_b32_e32 v12, v81, v35, vcc
	v_mul_f32_e32 v35, 0x3fb8aa3b, v10
	v_fma_f32 v49, v10, s10, -v35
	v_rndne_f32_e32 v50, v35
	v_fmac_f32_e32 v49, 0x32a5705f, v10
	v_sub_f32_e32 v35, v35, v50
	v_add_f32_e32 v35, v35, v49
	v_exp_f32_e32 v35, v35
	v_cvt_i32_f32_e32 v49, v50
	v_cmp_ngt_f32_e32 vcc, s11, v10
	v_sub_f32_e32 v34, v101, v8
	v_cvt_f16_f32_e32 v48, v12
	v_ldexp_f32 v35, v35, v49
	v_cndmask_b32_e32 v35, 0, v35, vcc
	v_cmp_nlt_f32_e32 vcc, s12, v10
	v_cndmask_b32_e32 v10, v81, v35, vcc
	v_mul_f32_e32 v35, 0x3fb8aa3b, v34
	v_fma_f32 v49, v34, s10, -v35
	v_rndne_f32_e32 v50, v35
	v_fmac_f32_e32 v49, 0x32a5705f, v34
	v_sub_f32_e32 v35, v35, v50
	v_add_f32_e32 v35, v35, v49
	v_exp_f32_e32 v35, v35
	v_cvt_i32_f32_e32 v49, v50
	v_cmp_ngt_f32_e32 vcc, s11, v34
	v_add_f32_e32 v12, v12, v10
	v_cvt_f16_f32_e32 v10, v10
	v_ldexp_f32 v35, v35, v49
	v_cndmask_b32_e32 v35, 0, v35, vcc
	v_cmp_nlt_f32_e32 vcc, s12, v34
	v_cndmask_b32_e32 v34, v81, v35, vcc
	v_mov_b32_e32 v35, v59
	v_mov_b32_e32 v59, v12
	v_cvt_f16_f32_e32 v12, v34
	v_pack_b32_f16 v43, v43, v48
	s_waitcnt vmcnt(0)
	ds_write_b128 v9, v[40:43]
	v_pack_b32_f16 v41, v47, v10
	v_pack_b32_f16 v40, v45, v46
	ds_write_b128 v9, v[38:41] offset:512
	v_add_co_u32_e32 v9, vcc, s8, v77
	v_mov_b32_e32 v10, s9
	v_mul_u32_u24_e32 v12, 0x10001, v12
	v_addc_co_u32_e32 v10, vcc, v78, v10, vcc
	v_fmac_f32_e32 v59, v35, v34
	v_pk_mul_f16 v35, v55, v12
	v_pk_mul_f16 v34, v57, v12
	global_load_dwordx4 v[9:12], v[9:10], off
	v_fmac_f32_e32 v17, v104, v28
	v_cvt_f16_f32_e32 v28, v28
	v_fmac_f32_e32 v18, v102, v30
	v_cvt_f16_f32_e32 v30, v30
	v_fmac_f32_e32 v19, v100, v32
	v_cvt_f16_f32_e32 v32, v32
	v_mul_u32_u24_e32 v28, 0x10001, v28
	v_mul_u32_u24_e32 v30, 0x10001, v30
	v_pk_mul_f16 v29, v90, v28
	v_mul_u32_u24_e32 v32, 0x10001, v32
	v_pk_mul_f16 v28, v91, v28
	v_pk_mul_f16 v31, v88, v30
	;; [unrolled: 1-line block ×5, first 2 shown]
	s_or_b32 s8, s6, 16
	s_mul_hi_i32 s9, s8, s15
	s_mul_i32 s8, s8, s15
	s_lshl_b64 s[8:9], s[8:9], 2
	s_waitcnt vmcnt(0)
	ds_write_b128 v76, v[9:12]
	s_waitcnt lgkmcnt(0)
	s_barrier
	ds_read2_b64 v[9:12], v79 offset1:32
	ds_read_b128 v[36:39], v75
	ds_read_b128 v[40:43], v75 offset:16
	ds_read_b128 v[44:47], v75 offset:32
	;; [unrolled: 1-line block ×3, first 2 shown]
	s_waitcnt lgkmcnt(3)
	v_mul_u32_u24_sdwa v52, v36, s13 dst_sel:DWORD dst_unused:UNUSED_PAD src0_sel:WORD_0 src1_sel:DWORD
	v_mul_u32_u24_sdwa v36, v36, s13 dst_sel:DWORD dst_unused:UNUSED_PAD src0_sel:WORD_1 src1_sel:DWORD
	v_mul_u32_u24_sdwa v53, v37, s13 dst_sel:DWORD dst_unused:UNUSED_PAD src0_sel:WORD_0 src1_sel:DWORD
	v_mul_u32_u24_sdwa v37, v37, s13 dst_sel:DWORD dst_unused:UNUSED_PAD src0_sel:WORD_1 src1_sel:DWORD
	;; [unrolled: 2-line block ×4, first 2 shown]
	v_pk_fma_f16 v21, v9, v52, v21
	v_pk_fma_f16 v23, v9, v36, v23
	;; [unrolled: 1-line block ×16, first 2 shown]
	s_waitcnt lgkmcnt(2)
	v_mul_u32_u24_sdwa v34, v40, s13 dst_sel:DWORD dst_unused:UNUSED_PAD src0_sel:WORD_0 src1_sel:DWORD
	v_mul_u32_u24_sdwa v35, v40, s13 dst_sel:DWORD dst_unused:UNUSED_PAD src0_sel:WORD_1 src1_sel:DWORD
	v_mul_u32_u24_sdwa v36, v41, s13 dst_sel:DWORD dst_unused:UNUSED_PAD src0_sel:WORD_0 src1_sel:DWORD
	v_mul_u32_u24_sdwa v37, v41, s13 dst_sel:DWORD dst_unused:UNUSED_PAD src0_sel:WORD_1 src1_sel:DWORD
	;; [unrolled: 2-line block ×4, first 2 shown]
	v_pk_fma_f16 v21, v11, v34, v21
	v_pk_fma_f16 v23, v11, v35, v23
	;; [unrolled: 1-line block ×16, first 2 shown]
	ds_read2_b64 v[9:12], v79 offset0:64 offset1:96
	s_waitcnt lgkmcnt(2)
	v_mul_u32_u24_sdwa v35, v44, s13 dst_sel:DWORD dst_unused:UNUSED_PAD src0_sel:WORD_0 src1_sel:DWORD
	v_mul_u32_u24_sdwa v36, v44, s13 dst_sel:DWORD dst_unused:UNUSED_PAD src0_sel:WORD_1 src1_sel:DWORD
	v_mul_u32_u24_sdwa v37, v45, s13 dst_sel:DWORD dst_unused:UNUSED_PAD src0_sel:WORD_0 src1_sel:DWORD
	v_mul_u32_u24_sdwa v38, v45, s13 dst_sel:DWORD dst_unused:UNUSED_PAD src0_sel:WORD_1 src1_sel:DWORD
	;; [unrolled: 2-line block ×4, first 2 shown]
	s_waitcnt lgkmcnt(0)
	v_pk_fma_f16 v21, v9, v35, v21
	v_pk_fma_f16 v23, v9, v36, v23
	;; [unrolled: 1-line block ×16, first 2 shown]
	v_mul_u32_u24_sdwa v28, v48, s13 dst_sel:DWORD dst_unused:UNUSED_PAD src0_sel:WORD_0 src1_sel:DWORD
	v_mul_u32_u24_sdwa v30, v48, s13 dst_sel:DWORD dst_unused:UNUSED_PAD src0_sel:WORD_1 src1_sel:DWORD
	v_mul_u32_u24_sdwa v32, v49, s13 dst_sel:DWORD dst_unused:UNUSED_PAD src0_sel:WORD_0 src1_sel:DWORD
	v_mul_u32_u24_sdwa v34, v49, s13 dst_sel:DWORD dst_unused:UNUSED_PAD src0_sel:WORD_1 src1_sel:DWORD
	;; [unrolled: 2-line block ×4, first 2 shown]
	v_pk_fma_f16 v20, v11, v28, v21
	v_pk_fma_f16 v21, v11, v30, v23
	;; [unrolled: 1-line block ×16, first 2 shown]
	ds_read2_b64 v[9:12], v79 offset0:128 offset1:160
	ds_read_b128 v[36:39], v75 offset:64
	s_waitcnt lgkmcnt(0)
	v_mul_u32_u24_sdwa v40, v36, s13 dst_sel:DWORD dst_unused:UNUSED_PAD src0_sel:WORD_0 src1_sel:DWORD
	v_mul_u32_u24_sdwa v36, v36, s13 dst_sel:DWORD dst_unused:UNUSED_PAD src0_sel:WORD_1 src1_sel:DWORD
	v_mul_u32_u24_sdwa v41, v37, s13 dst_sel:DWORD dst_unused:UNUSED_PAD src0_sel:WORD_0 src1_sel:DWORD
	v_mul_u32_u24_sdwa v37, v37, s13 dst_sel:DWORD dst_unused:UNUSED_PAD src0_sel:WORD_1 src1_sel:DWORD
	;; [unrolled: 2-line block ×4, first 2 shown]
	v_pk_fma_f16 v21, v9, v36, v21
	v_pk_fma_f16 v23, v9, v37, v23
	;; [unrolled: 1-line block ×11, first 2 shown]
	ds_read_b128 v[35:38], v75 offset:80
	v_pk_fma_f16 v20, v9, v40, v20
	v_pk_fma_f16 v22, v9, v41, v22
	;; [unrolled: 1-line block ×5, first 2 shown]
	s_waitcnt lgkmcnt(0)
	v_mul_u32_u24_sdwa v39, v35, s13 dst_sel:DWORD dst_unused:UNUSED_PAD src0_sel:WORD_0 src1_sel:DWORD
	v_mul_u32_u24_sdwa v35, v35, s13 dst_sel:DWORD dst_unused:UNUSED_PAD src0_sel:WORD_1 src1_sel:DWORD
	v_mul_u32_u24_sdwa v40, v36, s13 dst_sel:DWORD dst_unused:UNUSED_PAD src0_sel:WORD_0 src1_sel:DWORD
	v_mul_u32_u24_sdwa v36, v36, s13 dst_sel:DWORD dst_unused:UNUSED_PAD src0_sel:WORD_1 src1_sel:DWORD
	;; [unrolled: 2-line block ×4, first 2 shown]
	v_pk_fma_f16 v20, v11, v39, v20
	v_pk_fma_f16 v21, v11, v35, v21
	;; [unrolled: 1-line block ×16, first 2 shown]
	ds_read2_b64 v[9:12], v79 offset0:192 offset1:224
	ds_read_b128 v[36:39], v75 offset:96
	s_waitcnt lgkmcnt(0)
	v_mul_u32_u24_sdwa v40, v36, s13 dst_sel:DWORD dst_unused:UNUSED_PAD src0_sel:WORD_0 src1_sel:DWORD
	v_mul_u32_u24_sdwa v36, v36, s13 dst_sel:DWORD dst_unused:UNUSED_PAD src0_sel:WORD_1 src1_sel:DWORD
	v_mul_u32_u24_sdwa v41, v37, s13 dst_sel:DWORD dst_unused:UNUSED_PAD src0_sel:WORD_0 src1_sel:DWORD
	v_mul_u32_u24_sdwa v37, v37, s13 dst_sel:DWORD dst_unused:UNUSED_PAD src0_sel:WORD_1 src1_sel:DWORD
	v_pk_fma_f16 v44, v9, v40, v20
	v_pk_fma_f16 v45, v9, v36, v21
	;; [unrolled: 1-line block ×4, first 2 shown]
	ds_read_b128 v[20:23], v75 offset:112
	v_mul_u32_u24_sdwa v42, v38, s13 dst_sel:DWORD dst_unused:UNUSED_PAD src0_sel:WORD_0 src1_sel:DWORD
	v_mul_u32_u24_sdwa v38, v38, s13 dst_sel:DWORD dst_unused:UNUSED_PAD src0_sel:WORD_1 src1_sel:DWORD
	v_mul_u32_u24_sdwa v43, v39, s13 dst_sel:DWORD dst_unused:UNUSED_PAD src0_sel:WORD_0 src1_sel:DWORD
	v_mul_u32_u24_sdwa v39, v39, s13 dst_sel:DWORD dst_unused:UNUSED_PAD src0_sel:WORD_1 src1_sel:DWORD
	v_pk_fma_f16 v24, v9, v42, v24
	v_pk_fma_f16 v25, v9, v38, v25
	;; [unrolled: 1-line block ×12, first 2 shown]
	s_waitcnt lgkmcnt(0)
	v_mul_u32_u24_sdwa v34, v20, s13 dst_sel:DWORD dst_unused:UNUSED_PAD src0_sel:WORD_0 src1_sel:DWORD
	v_mul_u32_u24_sdwa v20, v20, s13 dst_sel:DWORD dst_unused:UNUSED_PAD src0_sel:WORD_1 src1_sel:DWORD
	v_mul_u32_u24_sdwa v35, v21, s13 dst_sel:DWORD dst_unused:UNUSED_PAD src0_sel:WORD_0 src1_sel:DWORD
	v_mul_u32_u24_sdwa v21, v21, s13 dst_sel:DWORD dst_unused:UNUSED_PAD src0_sel:WORD_1 src1_sel:DWORD
	;; [unrolled: 2-line block ×4, first 2 shown]
	v_pk_fma_f16 v38, v11, v34, v44
	v_pk_fma_f16 v39, v11, v20, v45
	;; [unrolled: 1-line block ×16, first 2 shown]
	ds_read2_b64 v[9:12], v0 offset1:32
	ds_read_b128 v[20:23], v75 offset:128
	s_waitcnt lgkmcnt(0)
	v_mul_u32_u24_sdwa v35, v20, s13 dst_sel:DWORD dst_unused:UNUSED_PAD src0_sel:WORD_0 src1_sel:DWORD
	v_mul_u32_u24_sdwa v20, v20, s13 dst_sel:DWORD dst_unused:UNUSED_PAD src0_sel:WORD_1 src1_sel:DWORD
	v_mul_u32_u24_sdwa v36, v21, s13 dst_sel:DWORD dst_unused:UNUSED_PAD src0_sel:WORD_0 src1_sel:DWORD
	v_mul_u32_u24_sdwa v21, v21, s13 dst_sel:DWORD dst_unused:UNUSED_PAD src0_sel:WORD_1 src1_sel:DWORD
	v_mul_u32_u24_sdwa v37, v22, s13 dst_sel:DWORD dst_unused:UNUSED_PAD src0_sel:WORD_0 src1_sel:DWORD
	v_mul_u32_u24_sdwa v22, v22, s13 dst_sel:DWORD dst_unused:UNUSED_PAD src0_sel:WORD_1 src1_sel:DWORD
	v_mul_u32_u24_sdwa v43, v23, s13 dst_sel:DWORD dst_unused:UNUSED_PAD src0_sel:WORD_0 src1_sel:DWORD
	v_mul_u32_u24_sdwa v23, v23, s13 dst_sel:DWORD dst_unused:UNUSED_PAD src0_sel:WORD_1 src1_sel:DWORD
	v_pk_fma_f16 v38, v9, v35, v38
	v_pk_fma_f16 v39, v9, v20, v39
	v_pk_fma_f16 v40, v9, v36, v40
	v_pk_fma_f16 v41, v9, v21, v41
	v_pk_fma_f16 v24, v9, v37, v24
	v_pk_fma_f16 v25, v9, v22, v25
	v_pk_fma_f16 v26, v9, v43, v26
	v_pk_fma_f16 v9, v9, v23, v42
	v_pk_fma_f16 v27, v10, v35, v27
	v_pk_fma_f16 v28, v10, v20, v28
	v_pk_fma_f16 v29, v10, v36, v29
	v_pk_fma_f16 v30, v10, v21, v30
	v_pk_fma_f16 v31, v10, v37, v31
	v_pk_fma_f16 v32, v10, v22, v32
	v_pk_fma_f16 v33, v10, v43, v33
	v_pk_fma_f16 v10, v10, v23, v34
	ds_read_b128 v[20:23], v75 offset:144
	s_waitcnt lgkmcnt(0)
	v_mul_u32_u24_sdwa v34, v20, s13 dst_sel:DWORD dst_unused:UNUSED_PAD src0_sel:WORD_0 src1_sel:DWORD
	v_mul_u32_u24_sdwa v20, v20, s13 dst_sel:DWORD dst_unused:UNUSED_PAD src0_sel:WORD_1 src1_sel:DWORD
	v_mul_u32_u24_sdwa v35, v21, s13 dst_sel:DWORD dst_unused:UNUSED_PAD src0_sel:WORD_0 src1_sel:DWORD
	v_mul_u32_u24_sdwa v21, v21, s13 dst_sel:DWORD dst_unused:UNUSED_PAD src0_sel:WORD_1 src1_sel:DWORD
	v_mul_u32_u24_sdwa v36, v22, s13 dst_sel:DWORD dst_unused:UNUSED_PAD src0_sel:WORD_0 src1_sel:DWORD
	v_mul_u32_u24_sdwa v22, v22, s13 dst_sel:DWORD dst_unused:UNUSED_PAD src0_sel:WORD_1 src1_sel:DWORD
	v_mul_u32_u24_sdwa v37, v23, s13 dst_sel:DWORD dst_unused:UNUSED_PAD src0_sel:WORD_0 src1_sel:DWORD
	v_mul_u32_u24_sdwa v23, v23, s13 dst_sel:DWORD dst_unused:UNUSED_PAD src0_sel:WORD_1 src1_sel:DWORD
	v_pk_fma_f16 v38, v11, v34, v38
	v_pk_fma_f16 v39, v11, v20, v39
	v_pk_fma_f16 v40, v11, v35, v40
	v_pk_fma_f16 v41, v11, v21, v41
	v_pk_fma_f16 v24, v11, v36, v24
	v_pk_fma_f16 v25, v11, v22, v25
	v_pk_fma_f16 v26, v11, v37, v26
	v_pk_fma_f16 v42, v11, v23, v9
	v_pk_fma_f16 v27, v12, v34, v27
	v_pk_fma_f16 v28, v12, v20, v28
	v_pk_fma_f16 v29, v12, v35, v29
	v_pk_fma_f16 v30, v12, v21, v30
	v_pk_fma_f16 v31, v12, v36, v31
	v_pk_fma_f16 v32, v12, v22, v32
	v_pk_fma_f16 v33, v12, v37, v33
	v_pk_fma_f16 v34, v12, v23, v10
	ds_read2_b64 v[9:12], v0 offset0:64 offset1:96
	ds_read_b128 v[20:23], v75 offset:160
	s_waitcnt lgkmcnt(0)
	v_mul_u32_u24_sdwa v35, v20, s13 dst_sel:DWORD dst_unused:UNUSED_PAD src0_sel:WORD_0 src1_sel:DWORD
	v_mul_u32_u24_sdwa v20, v20, s13 dst_sel:DWORD dst_unused:UNUSED_PAD src0_sel:WORD_1 src1_sel:DWORD
	v_mul_u32_u24_sdwa v36, v21, s13 dst_sel:DWORD dst_unused:UNUSED_PAD src0_sel:WORD_0 src1_sel:DWORD
	v_mul_u32_u24_sdwa v21, v21, s13 dst_sel:DWORD dst_unused:UNUSED_PAD src0_sel:WORD_1 src1_sel:DWORD
	v_mul_u32_u24_sdwa v37, v22, s13 dst_sel:DWORD dst_unused:UNUSED_PAD src0_sel:WORD_0 src1_sel:DWORD
	v_mul_u32_u24_sdwa v22, v22, s13 dst_sel:DWORD dst_unused:UNUSED_PAD src0_sel:WORD_1 src1_sel:DWORD
	v_mul_u32_u24_sdwa v43, v23, s13 dst_sel:DWORD dst_unused:UNUSED_PAD src0_sel:WORD_0 src1_sel:DWORD
	v_mul_u32_u24_sdwa v23, v23, s13 dst_sel:DWORD dst_unused:UNUSED_PAD src0_sel:WORD_1 src1_sel:DWORD
	v_pk_fma_f16 v38, v9, v35, v38
	v_pk_fma_f16 v39, v9, v20, v39
	v_pk_fma_f16 v40, v9, v36, v40
	v_pk_fma_f16 v41, v9, v21, v41
	v_pk_fma_f16 v24, v9, v37, v24
	v_pk_fma_f16 v25, v9, v22, v25
	v_pk_fma_f16 v26, v9, v43, v26
	v_pk_fma_f16 v9, v9, v23, v42
	v_pk_fma_f16 v27, v10, v35, v27
	v_pk_fma_f16 v28, v10, v20, v28
	v_pk_fma_f16 v29, v10, v36, v29
	v_pk_fma_f16 v30, v10, v21, v30
	v_pk_fma_f16 v31, v10, v37, v31
	v_pk_fma_f16 v32, v10, v22, v32
	v_pk_fma_f16 v33, v10, v43, v33
	v_pk_fma_f16 v10, v10, v23, v34
	ds_read_b128 v[20:23], v75 offset:176
	s_waitcnt lgkmcnt(0)
	v_mul_u32_u24_sdwa v34, v20, s13 dst_sel:DWORD dst_unused:UNUSED_PAD src0_sel:WORD_0 src1_sel:DWORD
	v_mul_u32_u24_sdwa v20, v20, s13 dst_sel:DWORD dst_unused:UNUSED_PAD src0_sel:WORD_1 src1_sel:DWORD
	v_mul_u32_u24_sdwa v35, v21, s13 dst_sel:DWORD dst_unused:UNUSED_PAD src0_sel:WORD_0 src1_sel:DWORD
	v_mul_u32_u24_sdwa v21, v21, s13 dst_sel:DWORD dst_unused:UNUSED_PAD src0_sel:WORD_1 src1_sel:DWORD
	v_mul_u32_u24_sdwa v36, v22, s13 dst_sel:DWORD dst_unused:UNUSED_PAD src0_sel:WORD_0 src1_sel:DWORD
	v_mul_u32_u24_sdwa v22, v22, s13 dst_sel:DWORD dst_unused:UNUSED_PAD src0_sel:WORD_1 src1_sel:DWORD
	v_mul_u32_u24_sdwa v37, v23, s13 dst_sel:DWORD dst_unused:UNUSED_PAD src0_sel:WORD_0 src1_sel:DWORD
	v_mul_u32_u24_sdwa v23, v23, s13 dst_sel:DWORD dst_unused:UNUSED_PAD src0_sel:WORD_1 src1_sel:DWORD
	v_pk_fma_f16 v38, v11, v34, v38
	v_pk_fma_f16 v39, v11, v20, v39
	v_pk_fma_f16 v40, v11, v35, v40
	v_pk_fma_f16 v41, v11, v21, v41
	v_pk_fma_f16 v24, v11, v36, v24
	v_pk_fma_f16 v25, v11, v22, v25
	v_pk_fma_f16 v26, v11, v37, v26
	v_pk_fma_f16 v42, v11, v23, v9
	v_pk_fma_f16 v27, v12, v34, v27
	v_pk_fma_f16 v28, v12, v20, v28
	v_pk_fma_f16 v29, v12, v35, v29
	v_pk_fma_f16 v30, v12, v21, v30
	v_pk_fma_f16 v31, v12, v36, v31
	v_pk_fma_f16 v32, v12, v22, v32
	v_pk_fma_f16 v33, v12, v37, v33
	v_pk_fma_f16 v34, v12, v23, v10
	ds_read2_b64 v[9:12], v0 offset0:128 offset1:160
	;; [unrolled: 53-line block ×3, first 2 shown]
	ds_read_b128 v[9:12], v75 offset:224
	s_waitcnt lgkmcnt(0)
	v_mul_u32_u24_sdwa v33, v9, s13 dst_sel:DWORD dst_unused:UNUSED_PAD src0_sel:WORD_0 src1_sel:DWORD
	v_mul_u32_u24_sdwa v9, v9, s13 dst_sel:DWORD dst_unused:UNUSED_PAD src0_sel:WORD_1 src1_sel:DWORD
	v_mul_u32_u24_sdwa v36, v10, s13 dst_sel:DWORD dst_unused:UNUSED_PAD src0_sel:WORD_0 src1_sel:DWORD
	v_mul_u32_u24_sdwa v10, v10, s13 dst_sel:DWORD dst_unused:UNUSED_PAD src0_sel:WORD_1 src1_sel:DWORD
	;; [unrolled: 2-line block ×4, first 2 shown]
	v_pk_fma_f16 v38, v28, v33, v38
	v_pk_fma_f16 v39, v28, v9, v39
	;; [unrolled: 1-line block ×15, first 2 shown]
	ds_read_b128 v[9:12], v75 offset:240
	v_pk_fma_f16 v32, v29, v43, v32
	s_waitcnt lgkmcnt(0)
	s_barrier
	v_mul_u32_u24_sdwa v29, v9, s13 dst_sel:DWORD dst_unused:UNUSED_PAD src0_sel:WORD_0 src1_sel:DWORD
	v_mul_u32_u24_sdwa v43, v9, s13 dst_sel:DWORD dst_unused:UNUSED_PAD src0_sel:WORD_1 src1_sel:DWORD
	v_mul_u32_u24_sdwa v44, v10, s13 dst_sel:DWORD dst_unused:UNUSED_PAD src0_sel:WORD_0 src1_sel:DWORD
	v_mul_u32_u24_sdwa v45, v10, s13 dst_sel:DWORD dst_unused:UNUSED_PAD src0_sel:WORD_1 src1_sel:DWORD
	;; [unrolled: 2-line block ×4, first 2 shown]
	v_pk_fma_f16 v9, v30, v29, v38
	v_pk_fma_f16 v10, v30, v43, v39
	v_pk_fma_f16 v11, v30, v44, v40
	v_pk_fma_f16 v12, v30, v45, v41
	v_pk_fma_f16 v20, v30, v46, v24
	v_pk_fma_f16 v21, v30, v47, v25
	v_pk_fma_f16 v22, v30, v48, v26
	v_pk_fma_f16 v23, v30, v49, v28
	v_pk_fma_f16 v25, v31, v43, v33
	v_pk_fma_f16 v30, v31, v48, v32
	v_add_co_u32_e32 v32, vcc, s8, v77
	v_mov_b32_e32 v33, s9
	v_addc_co_u32_e32 v33, vcc, v78, v33, vcc
	v_pk_fma_f16 v26, v31, v44, v34
	v_pk_fma_f16 v28, v31, v46, v35
	global_load_dwordx4 v[32:35], v[32:33], off
	v_pk_fma_f16 v24, v31, v29, v27
	v_pk_fma_f16 v27, v31, v45, v36
	;; [unrolled: 1-line block ×4, first 2 shown]
	s_or_b32 s8, s6, 32
	s_mul_hi_i32 s9, s8, s15
	s_mul_i32 s8, s8, s15
	s_lshl_b64 s[8:9], s[8:9], 2
	s_waitcnt vmcnt(0)
	ds_write_b128 v76, v[32:35]
	s_waitcnt lgkmcnt(0)
	s_barrier
	ds_read2_b64 v[32:35], v79 offset1:32
	ds_read_b128 v[36:39], v75 offset:256
	ds_read_b128 v[40:43], v75 offset:272
	;; [unrolled: 1-line block ×4, first 2 shown]
	s_waitcnt lgkmcnt(3)
	v_mul_u32_u24_sdwa v52, v36, s13 dst_sel:DWORD dst_unused:UNUSED_PAD src0_sel:WORD_0 src1_sel:DWORD
	v_mul_u32_u24_sdwa v36, v36, s13 dst_sel:DWORD dst_unused:UNUSED_PAD src0_sel:WORD_1 src1_sel:DWORD
	v_mul_u32_u24_sdwa v53, v37, s13 dst_sel:DWORD dst_unused:UNUSED_PAD src0_sel:WORD_0 src1_sel:DWORD
	v_mul_u32_u24_sdwa v37, v37, s13 dst_sel:DWORD dst_unused:UNUSED_PAD src0_sel:WORD_1 src1_sel:DWORD
	;; [unrolled: 2-line block ×4, first 2 shown]
	v_pk_fma_f16 v9, v32, v52, v9
	v_pk_fma_f16 v10, v32, v36, v10
	;; [unrolled: 1-line block ×16, first 2 shown]
	s_waitcnt lgkmcnt(2)
	v_mul_u32_u24_sdwa v32, v40, s13 dst_sel:DWORD dst_unused:UNUSED_PAD src0_sel:WORD_0 src1_sel:DWORD
	v_mul_u32_u24_sdwa v33, v40, s13 dst_sel:DWORD dst_unused:UNUSED_PAD src0_sel:WORD_1 src1_sel:DWORD
	v_mul_u32_u24_sdwa v36, v41, s13 dst_sel:DWORD dst_unused:UNUSED_PAD src0_sel:WORD_0 src1_sel:DWORD
	v_mul_u32_u24_sdwa v37, v41, s13 dst_sel:DWORD dst_unused:UNUSED_PAD src0_sel:WORD_1 src1_sel:DWORD
	;; [unrolled: 2-line block ×4, first 2 shown]
	v_pk_fma_f16 v42, v34, v32, v9
	v_pk_fma_f16 v43, v34, v33, v10
	;; [unrolled: 1-line block ×4, first 2 shown]
	ds_read2_b64 v[9:12], v79 offset0:64 offset1:96
	v_pk_fma_f16 v20, v34, v38, v20
	v_pk_fma_f16 v21, v34, v39, v21
	;; [unrolled: 1-line block ×12, first 2 shown]
	s_waitcnt lgkmcnt(2)
	v_mul_u32_u24_sdwa v32, v44, s13 dst_sel:DWORD dst_unused:UNUSED_PAD src0_sel:WORD_0 src1_sel:DWORD
	v_mul_u32_u24_sdwa v33, v44, s13 dst_sel:DWORD dst_unused:UNUSED_PAD src0_sel:WORD_1 src1_sel:DWORD
	v_mul_u32_u24_sdwa v34, v45, s13 dst_sel:DWORD dst_unused:UNUSED_PAD src0_sel:WORD_0 src1_sel:DWORD
	v_mul_u32_u24_sdwa v35, v45, s13 dst_sel:DWORD dst_unused:UNUSED_PAD src0_sel:WORD_1 src1_sel:DWORD
	;; [unrolled: 2-line block ×4, first 2 shown]
	s_waitcnt lgkmcnt(0)
	v_pk_fma_f16 v40, v9, v32, v42
	v_pk_fma_f16 v41, v9, v33, v43
	;; [unrolled: 1-line block ×16, first 2 shown]
	v_mul_u32_u24_sdwa v28, v48, s13 dst_sel:DWORD dst_unused:UNUSED_PAD src0_sel:WORD_0 src1_sel:DWORD
	v_mul_u32_u24_sdwa v29, v48, s13 dst_sel:DWORD dst_unused:UNUSED_PAD src0_sel:WORD_1 src1_sel:DWORD
	v_mul_u32_u24_sdwa v30, v49, s13 dst_sel:DWORD dst_unused:UNUSED_PAD src0_sel:WORD_0 src1_sel:DWORD
	v_mul_u32_u24_sdwa v31, v49, s13 dst_sel:DWORD dst_unused:UNUSED_PAD src0_sel:WORD_1 src1_sel:DWORD
	;; [unrolled: 2-line block ×4, first 2 shown]
	v_pk_fma_f16 v20, v11, v28, v40
	v_pk_fma_f16 v21, v11, v29, v41
	;; [unrolled: 1-line block ×16, first 2 shown]
	ds_read2_b64 v[9:12], v79 offset0:128 offset1:160
	ds_read_b128 v[36:39], v75 offset:320
	s_waitcnt lgkmcnt(0)
	v_mul_u32_u24_sdwa v40, v36, s13 dst_sel:DWORD dst_unused:UNUSED_PAD src0_sel:WORD_0 src1_sel:DWORD
	v_mul_u32_u24_sdwa v36, v36, s13 dst_sel:DWORD dst_unused:UNUSED_PAD src0_sel:WORD_1 src1_sel:DWORD
	v_mul_u32_u24_sdwa v41, v37, s13 dst_sel:DWORD dst_unused:UNUSED_PAD src0_sel:WORD_0 src1_sel:DWORD
	v_mul_u32_u24_sdwa v37, v37, s13 dst_sel:DWORD dst_unused:UNUSED_PAD src0_sel:WORD_1 src1_sel:DWORD
	v_pk_fma_f16 v44, v9, v40, v20
	v_pk_fma_f16 v45, v9, v36, v21
	;; [unrolled: 1-line block ×4, first 2 shown]
	ds_read_b128 v[20:23], v75 offset:336
	v_mul_u32_u24_sdwa v42, v38, s13 dst_sel:DWORD dst_unused:UNUSED_PAD src0_sel:WORD_0 src1_sel:DWORD
	v_mul_u32_u24_sdwa v38, v38, s13 dst_sel:DWORD dst_unused:UNUSED_PAD src0_sel:WORD_1 src1_sel:DWORD
	v_mul_u32_u24_sdwa v43, v39, s13 dst_sel:DWORD dst_unused:UNUSED_PAD src0_sel:WORD_0 src1_sel:DWORD
	v_mul_u32_u24_sdwa v39, v39, s13 dst_sel:DWORD dst_unused:UNUSED_PAD src0_sel:WORD_1 src1_sel:DWORD
	v_pk_fma_f16 v24, v9, v42, v24
	v_pk_fma_f16 v25, v9, v38, v25
	;; [unrolled: 1-line block ×12, first 2 shown]
	s_waitcnt lgkmcnt(0)
	v_mul_u32_u24_sdwa v34, v20, s13 dst_sel:DWORD dst_unused:UNUSED_PAD src0_sel:WORD_0 src1_sel:DWORD
	v_mul_u32_u24_sdwa v20, v20, s13 dst_sel:DWORD dst_unused:UNUSED_PAD src0_sel:WORD_1 src1_sel:DWORD
	v_mul_u32_u24_sdwa v35, v21, s13 dst_sel:DWORD dst_unused:UNUSED_PAD src0_sel:WORD_0 src1_sel:DWORD
	v_mul_u32_u24_sdwa v21, v21, s13 dst_sel:DWORD dst_unused:UNUSED_PAD src0_sel:WORD_1 src1_sel:DWORD
	;; [unrolled: 2-line block ×4, first 2 shown]
	v_pk_fma_f16 v38, v11, v34, v44
	v_pk_fma_f16 v39, v11, v20, v45
	;; [unrolled: 1-line block ×16, first 2 shown]
	ds_read2_b64 v[9:12], v79 offset0:192 offset1:224
	ds_read_b128 v[20:23], v75 offset:352
	s_waitcnt lgkmcnt(0)
	v_mul_u32_u24_sdwa v35, v20, s13 dst_sel:DWORD dst_unused:UNUSED_PAD src0_sel:WORD_0 src1_sel:DWORD
	v_mul_u32_u24_sdwa v20, v20, s13 dst_sel:DWORD dst_unused:UNUSED_PAD src0_sel:WORD_1 src1_sel:DWORD
	v_mul_u32_u24_sdwa v36, v21, s13 dst_sel:DWORD dst_unused:UNUSED_PAD src0_sel:WORD_0 src1_sel:DWORD
	v_mul_u32_u24_sdwa v21, v21, s13 dst_sel:DWORD dst_unused:UNUSED_PAD src0_sel:WORD_1 src1_sel:DWORD
	;; [unrolled: 2-line block ×4, first 2 shown]
	v_pk_fma_f16 v38, v9, v35, v38
	v_pk_fma_f16 v39, v9, v20, v39
	;; [unrolled: 1-line block ×16, first 2 shown]
	ds_read_b128 v[20:23], v75 offset:368
	s_waitcnt lgkmcnt(0)
	v_mul_u32_u24_sdwa v34, v20, s13 dst_sel:DWORD dst_unused:UNUSED_PAD src0_sel:WORD_0 src1_sel:DWORD
	v_mul_u32_u24_sdwa v20, v20, s13 dst_sel:DWORD dst_unused:UNUSED_PAD src0_sel:WORD_1 src1_sel:DWORD
	v_mul_u32_u24_sdwa v35, v21, s13 dst_sel:DWORD dst_unused:UNUSED_PAD src0_sel:WORD_0 src1_sel:DWORD
	v_mul_u32_u24_sdwa v21, v21, s13 dst_sel:DWORD dst_unused:UNUSED_PAD src0_sel:WORD_1 src1_sel:DWORD
	;; [unrolled: 2-line block ×4, first 2 shown]
	v_pk_fma_f16 v38, v11, v34, v38
	v_pk_fma_f16 v39, v11, v20, v39
	v_pk_fma_f16 v40, v11, v35, v40
	v_pk_fma_f16 v41, v11, v21, v41
	v_pk_fma_f16 v24, v11, v36, v24
	v_pk_fma_f16 v25, v11, v22, v25
	v_pk_fma_f16 v26, v11, v37, v26
	v_pk_fma_f16 v42, v11, v23, v9
	v_pk_fma_f16 v27, v12, v34, v27
	v_pk_fma_f16 v28, v12, v20, v28
	v_pk_fma_f16 v29, v12, v35, v29
	v_pk_fma_f16 v30, v12, v21, v30
	v_pk_fma_f16 v31, v12, v36, v31
	v_pk_fma_f16 v32, v12, v22, v32
	v_pk_fma_f16 v33, v12, v37, v33
	v_pk_fma_f16 v34, v12, v23, v10
	ds_read2_b64 v[9:12], v0 offset1:32
	ds_read_b128 v[20:23], v75 offset:384
	s_waitcnt lgkmcnt(0)
	v_mul_u32_u24_sdwa v35, v20, s13 dst_sel:DWORD dst_unused:UNUSED_PAD src0_sel:WORD_0 src1_sel:DWORD
	v_mul_u32_u24_sdwa v20, v20, s13 dst_sel:DWORD dst_unused:UNUSED_PAD src0_sel:WORD_1 src1_sel:DWORD
	v_mul_u32_u24_sdwa v36, v21, s13 dst_sel:DWORD dst_unused:UNUSED_PAD src0_sel:WORD_0 src1_sel:DWORD
	v_mul_u32_u24_sdwa v21, v21, s13 dst_sel:DWORD dst_unused:UNUSED_PAD src0_sel:WORD_1 src1_sel:DWORD
	v_mul_u32_u24_sdwa v37, v22, s13 dst_sel:DWORD dst_unused:UNUSED_PAD src0_sel:WORD_0 src1_sel:DWORD
	v_mul_u32_u24_sdwa v22, v22, s13 dst_sel:DWORD dst_unused:UNUSED_PAD src0_sel:WORD_1 src1_sel:DWORD
	v_mul_u32_u24_sdwa v43, v23, s13 dst_sel:DWORD dst_unused:UNUSED_PAD src0_sel:WORD_0 src1_sel:DWORD
	v_mul_u32_u24_sdwa v23, v23, s13 dst_sel:DWORD dst_unused:UNUSED_PAD src0_sel:WORD_1 src1_sel:DWORD
	v_pk_fma_f16 v38, v9, v35, v38
	v_pk_fma_f16 v39, v9, v20, v39
	v_pk_fma_f16 v40, v9, v36, v40
	v_pk_fma_f16 v41, v9, v21, v41
	v_pk_fma_f16 v24, v9, v37, v24
	v_pk_fma_f16 v25, v9, v22, v25
	v_pk_fma_f16 v26, v9, v43, v26
	v_pk_fma_f16 v9, v9, v23, v42
	v_pk_fma_f16 v27, v10, v35, v27
	v_pk_fma_f16 v28, v10, v20, v28
	v_pk_fma_f16 v29, v10, v36, v29
	v_pk_fma_f16 v30, v10, v21, v30
	v_pk_fma_f16 v31, v10, v37, v31
	v_pk_fma_f16 v32, v10, v22, v32
	v_pk_fma_f16 v33, v10, v43, v33
	v_pk_fma_f16 v10, v10, v23, v34
	ds_read_b128 v[20:23], v75 offset:400
	s_waitcnt lgkmcnt(0)
	v_mul_u32_u24_sdwa v34, v20, s13 dst_sel:DWORD dst_unused:UNUSED_PAD src0_sel:WORD_0 src1_sel:DWORD
	v_mul_u32_u24_sdwa v20, v20, s13 dst_sel:DWORD dst_unused:UNUSED_PAD src0_sel:WORD_1 src1_sel:DWORD
	v_mul_u32_u24_sdwa v35, v21, s13 dst_sel:DWORD dst_unused:UNUSED_PAD src0_sel:WORD_0 src1_sel:DWORD
	v_mul_u32_u24_sdwa v21, v21, s13 dst_sel:DWORD dst_unused:UNUSED_PAD src0_sel:WORD_1 src1_sel:DWORD
	v_mul_u32_u24_sdwa v36, v22, s13 dst_sel:DWORD dst_unused:UNUSED_PAD src0_sel:WORD_0 src1_sel:DWORD
	v_mul_u32_u24_sdwa v22, v22, s13 dst_sel:DWORD dst_unused:UNUSED_PAD src0_sel:WORD_1 src1_sel:DWORD
	v_mul_u32_u24_sdwa v37, v23, s13 dst_sel:DWORD dst_unused:UNUSED_PAD src0_sel:WORD_0 src1_sel:DWORD
	v_mul_u32_u24_sdwa v23, v23, s13 dst_sel:DWORD dst_unused:UNUSED_PAD src0_sel:WORD_1 src1_sel:DWORD
	v_pk_fma_f16 v38, v11, v34, v38
	v_pk_fma_f16 v39, v11, v20, v39
	v_pk_fma_f16 v40, v11, v35, v40
	v_pk_fma_f16 v41, v11, v21, v41
	v_pk_fma_f16 v24, v11, v36, v24
	v_pk_fma_f16 v25, v11, v22, v25
	v_pk_fma_f16 v26, v11, v37, v26
	v_pk_fma_f16 v42, v11, v23, v9
	v_pk_fma_f16 v27, v12, v34, v27
	v_pk_fma_f16 v28, v12, v20, v28
	v_pk_fma_f16 v29, v12, v35, v29
	v_pk_fma_f16 v30, v12, v21, v30
	v_pk_fma_f16 v31, v12, v36, v31
	v_pk_fma_f16 v32, v12, v22, v32
	v_pk_fma_f16 v33, v12, v37, v33
	v_pk_fma_f16 v34, v12, v23, v10
	ds_read2_b64 v[9:12], v0 offset0:64 offset1:96
	ds_read_b128 v[20:23], v75 offset:416
	s_waitcnt lgkmcnt(0)
	v_mul_u32_u24_sdwa v35, v20, s13 dst_sel:DWORD dst_unused:UNUSED_PAD src0_sel:WORD_0 src1_sel:DWORD
	v_mul_u32_u24_sdwa v20, v20, s13 dst_sel:DWORD dst_unused:UNUSED_PAD src0_sel:WORD_1 src1_sel:DWORD
	v_mul_u32_u24_sdwa v36, v21, s13 dst_sel:DWORD dst_unused:UNUSED_PAD src0_sel:WORD_0 src1_sel:DWORD
	v_mul_u32_u24_sdwa v21, v21, s13 dst_sel:DWORD dst_unused:UNUSED_PAD src0_sel:WORD_1 src1_sel:DWORD
	v_mul_u32_u24_sdwa v37, v22, s13 dst_sel:DWORD dst_unused:UNUSED_PAD src0_sel:WORD_0 src1_sel:DWORD
	v_mul_u32_u24_sdwa v22, v22, s13 dst_sel:DWORD dst_unused:UNUSED_PAD src0_sel:WORD_1 src1_sel:DWORD
	v_mul_u32_u24_sdwa v43, v23, s13 dst_sel:DWORD dst_unused:UNUSED_PAD src0_sel:WORD_0 src1_sel:DWORD
	v_mul_u32_u24_sdwa v23, v23, s13 dst_sel:DWORD dst_unused:UNUSED_PAD src0_sel:WORD_1 src1_sel:DWORD
	v_pk_fma_f16 v38, v9, v35, v38
	v_pk_fma_f16 v39, v9, v20, v39
	v_pk_fma_f16 v40, v9, v36, v40
	v_pk_fma_f16 v41, v9, v21, v41
	v_pk_fma_f16 v24, v9, v37, v24
	v_pk_fma_f16 v25, v9, v22, v25
	v_pk_fma_f16 v26, v9, v43, v26
	v_pk_fma_f16 v9, v9, v23, v42
	v_pk_fma_f16 v27, v10, v35, v27
	v_pk_fma_f16 v28, v10, v20, v28
	v_pk_fma_f16 v29, v10, v36, v29
	v_pk_fma_f16 v30, v10, v21, v30
	v_pk_fma_f16 v31, v10, v37, v31
	v_pk_fma_f16 v32, v10, v22, v32
	v_pk_fma_f16 v33, v10, v43, v33
	v_pk_fma_f16 v10, v10, v23, v34
	ds_read_b128 v[20:23], v75 offset:432
	s_waitcnt lgkmcnt(0)
	v_mul_u32_u24_sdwa v34, v20, s13 dst_sel:DWORD dst_unused:UNUSED_PAD src0_sel:WORD_0 src1_sel:DWORD
	v_mul_u32_u24_sdwa v20, v20, s13 dst_sel:DWORD dst_unused:UNUSED_PAD src0_sel:WORD_1 src1_sel:DWORD
	v_mul_u32_u24_sdwa v35, v21, s13 dst_sel:DWORD dst_unused:UNUSED_PAD src0_sel:WORD_0 src1_sel:DWORD
	v_mul_u32_u24_sdwa v21, v21, s13 dst_sel:DWORD dst_unused:UNUSED_PAD src0_sel:WORD_1 src1_sel:DWORD
	v_mul_u32_u24_sdwa v36, v22, s13 dst_sel:DWORD dst_unused:UNUSED_PAD src0_sel:WORD_0 src1_sel:DWORD
	v_mul_u32_u24_sdwa v22, v22, s13 dst_sel:DWORD dst_unused:UNUSED_PAD src0_sel:WORD_1 src1_sel:DWORD
	v_mul_u32_u24_sdwa v37, v23, s13 dst_sel:DWORD dst_unused:UNUSED_PAD src0_sel:WORD_0 src1_sel:DWORD
	v_mul_u32_u24_sdwa v23, v23, s13 dst_sel:DWORD dst_unused:UNUSED_PAD src0_sel:WORD_1 src1_sel:DWORD
	v_pk_fma_f16 v38, v11, v34, v38
	v_pk_fma_f16 v39, v11, v20, v39
	v_pk_fma_f16 v40, v11, v35, v40
	v_pk_fma_f16 v41, v11, v21, v41
	v_pk_fma_f16 v24, v11, v36, v24
	v_pk_fma_f16 v25, v11, v22, v25
	v_pk_fma_f16 v26, v11, v37, v26
	v_pk_fma_f16 v42, v11, v23, v9
	v_pk_fma_f16 v27, v12, v34, v27
	v_pk_fma_f16 v28, v12, v20, v28
	v_pk_fma_f16 v29, v12, v35, v29
	v_pk_fma_f16 v30, v12, v21, v30
	v_pk_fma_f16 v31, v12, v36, v31
	v_pk_fma_f16 v32, v12, v22, v32
	v_pk_fma_f16 v33, v12, v37, v33
	v_pk_fma_f16 v34, v12, v23, v10
	ds_read2_b64 v[9:12], v0 offset0:128 offset1:160
	;; [unrolled: 53-line block ×3, first 2 shown]
	ds_read_b128 v[9:12], v75 offset:480
	s_waitcnt lgkmcnt(0)
	v_mul_u32_u24_sdwa v33, v9, s13 dst_sel:DWORD dst_unused:UNUSED_PAD src0_sel:WORD_0 src1_sel:DWORD
	v_mul_u32_u24_sdwa v9, v9, s13 dst_sel:DWORD dst_unused:UNUSED_PAD src0_sel:WORD_1 src1_sel:DWORD
	v_mul_u32_u24_sdwa v36, v10, s13 dst_sel:DWORD dst_unused:UNUSED_PAD src0_sel:WORD_0 src1_sel:DWORD
	v_mul_u32_u24_sdwa v10, v10, s13 dst_sel:DWORD dst_unused:UNUSED_PAD src0_sel:WORD_1 src1_sel:DWORD
	;; [unrolled: 2-line block ×4, first 2 shown]
	v_pk_fma_f16 v38, v28, v33, v38
	v_pk_fma_f16 v39, v28, v9, v39
	;; [unrolled: 1-line block ×15, first 2 shown]
	ds_read_b128 v[9:12], v75 offset:496
	v_pk_fma_f16 v32, v29, v43, v32
	s_waitcnt lgkmcnt(0)
	s_barrier
	v_mul_u32_u24_sdwa v29, v9, s13 dst_sel:DWORD dst_unused:UNUSED_PAD src0_sel:WORD_0 src1_sel:DWORD
	v_mul_u32_u24_sdwa v43, v9, s13 dst_sel:DWORD dst_unused:UNUSED_PAD src0_sel:WORD_1 src1_sel:DWORD
	v_mul_u32_u24_sdwa v44, v10, s13 dst_sel:DWORD dst_unused:UNUSED_PAD src0_sel:WORD_0 src1_sel:DWORD
	v_mul_u32_u24_sdwa v45, v10, s13 dst_sel:DWORD dst_unused:UNUSED_PAD src0_sel:WORD_1 src1_sel:DWORD
	;; [unrolled: 2-line block ×4, first 2 shown]
	v_pk_fma_f16 v9, v30, v29, v38
	v_pk_fma_f16 v10, v30, v43, v39
	;; [unrolled: 1-line block ×10, first 2 shown]
	v_add_co_u32_e32 v32, vcc, s8, v77
	v_mov_b32_e32 v33, s9
	v_addc_co_u32_e32 v33, vcc, v78, v33, vcc
	v_pk_fma_f16 v26, v31, v44, v34
	v_pk_fma_f16 v28, v31, v46, v35
	global_load_dwordx4 v[32:35], v[32:33], off
	v_pk_fma_f16 v24, v31, v29, v27
	v_pk_fma_f16 v27, v31, v45, v36
	;; [unrolled: 1-line block ×4, first 2 shown]
	s_or_b32 s8, s6, 48
	s_mul_hi_i32 s9, s8, s15
	s_mul_i32 s8, s8, s15
	s_lshl_b64 s[8:9], s[8:9], 2
	s_waitcnt vmcnt(0)
	ds_write_b128 v76, v[32:35]
	s_waitcnt lgkmcnt(0)
	s_barrier
	ds_read2_b64 v[32:35], v79 offset1:32
	ds_read_b128 v[36:39], v75 offset:512
	ds_read_b128 v[40:43], v75 offset:528
	;; [unrolled: 1-line block ×4, first 2 shown]
	s_waitcnt lgkmcnt(3)
	v_mul_u32_u24_sdwa v52, v36, s13 dst_sel:DWORD dst_unused:UNUSED_PAD src0_sel:WORD_0 src1_sel:DWORD
	v_mul_u32_u24_sdwa v36, v36, s13 dst_sel:DWORD dst_unused:UNUSED_PAD src0_sel:WORD_1 src1_sel:DWORD
	v_mul_u32_u24_sdwa v53, v37, s13 dst_sel:DWORD dst_unused:UNUSED_PAD src0_sel:WORD_0 src1_sel:DWORD
	v_mul_u32_u24_sdwa v37, v37, s13 dst_sel:DWORD dst_unused:UNUSED_PAD src0_sel:WORD_1 src1_sel:DWORD
	;; [unrolled: 2-line block ×4, first 2 shown]
	v_pk_fma_f16 v9, v32, v52, v9
	v_pk_fma_f16 v10, v32, v36, v10
	v_pk_fma_f16 v11, v32, v53, v11
	v_pk_fma_f16 v12, v32, v37, v12
	v_pk_fma_f16 v20, v32, v54, v20
	v_pk_fma_f16 v21, v32, v38, v21
	v_pk_fma_f16 v22, v32, v55, v22
	v_pk_fma_f16 v23, v32, v39, v23
	v_pk_fma_f16 v24, v33, v52, v24
	v_pk_fma_f16 v25, v33, v36, v25
	v_pk_fma_f16 v26, v33, v53, v26
	v_pk_fma_f16 v27, v33, v37, v27
	v_pk_fma_f16 v28, v33, v54, v28
	v_pk_fma_f16 v29, v33, v38, v29
	v_pk_fma_f16 v30, v33, v55, v30
	v_pk_fma_f16 v31, v33, v39, v31
	s_waitcnt lgkmcnt(2)
	v_mul_u32_u24_sdwa v32, v40, s13 dst_sel:DWORD dst_unused:UNUSED_PAD src0_sel:WORD_0 src1_sel:DWORD
	v_mul_u32_u24_sdwa v33, v40, s13 dst_sel:DWORD dst_unused:UNUSED_PAD src0_sel:WORD_1 src1_sel:DWORD
	v_mul_u32_u24_sdwa v36, v41, s13 dst_sel:DWORD dst_unused:UNUSED_PAD src0_sel:WORD_0 src1_sel:DWORD
	v_mul_u32_u24_sdwa v37, v41, s13 dst_sel:DWORD dst_unused:UNUSED_PAD src0_sel:WORD_1 src1_sel:DWORD
	;; [unrolled: 2-line block ×4, first 2 shown]
	v_pk_fma_f16 v42, v34, v32, v9
	v_pk_fma_f16 v43, v34, v33, v10
	;; [unrolled: 1-line block ×4, first 2 shown]
	ds_read2_b64 v[9:12], v79 offset0:64 offset1:96
	v_pk_fma_f16 v20, v34, v38, v20
	v_pk_fma_f16 v21, v34, v39, v21
	;; [unrolled: 1-line block ×12, first 2 shown]
	s_waitcnt lgkmcnt(2)
	v_mul_u32_u24_sdwa v32, v44, s13 dst_sel:DWORD dst_unused:UNUSED_PAD src0_sel:WORD_0 src1_sel:DWORD
	v_mul_u32_u24_sdwa v33, v44, s13 dst_sel:DWORD dst_unused:UNUSED_PAD src0_sel:WORD_1 src1_sel:DWORD
	v_mul_u32_u24_sdwa v34, v45, s13 dst_sel:DWORD dst_unused:UNUSED_PAD src0_sel:WORD_0 src1_sel:DWORD
	v_mul_u32_u24_sdwa v35, v45, s13 dst_sel:DWORD dst_unused:UNUSED_PAD src0_sel:WORD_1 src1_sel:DWORD
	;; [unrolled: 2-line block ×4, first 2 shown]
	s_waitcnt lgkmcnt(0)
	v_pk_fma_f16 v40, v9, v32, v42
	v_pk_fma_f16 v41, v9, v33, v43
	v_pk_fma_f16 v42, v9, v34, v52
	v_pk_fma_f16 v43, v9, v35, v53
	v_pk_fma_f16 v44, v9, v36, v20
	v_pk_fma_f16 v45, v9, v37, v21
	v_pk_fma_f16 v46, v9, v38, v22
	v_pk_fma_f16 v9, v9, v39, v23
	v_pk_fma_f16 v32, v10, v32, v24
	v_pk_fma_f16 v33, v10, v33, v25
	v_pk_fma_f16 v34, v10, v34, v26
	v_pk_fma_f16 v35, v10, v35, v27
	v_pk_fma_f16 v36, v10, v36, v28
	v_pk_fma_f16 v37, v10, v37, v29
	v_pk_fma_f16 v38, v10, v38, v30
	v_pk_fma_f16 v10, v10, v39, v31
	v_mul_u32_u24_sdwa v28, v48, s13 dst_sel:DWORD dst_unused:UNUSED_PAD src0_sel:WORD_0 src1_sel:DWORD
	v_mul_u32_u24_sdwa v29, v48, s13 dst_sel:DWORD dst_unused:UNUSED_PAD src0_sel:WORD_1 src1_sel:DWORD
	v_mul_u32_u24_sdwa v30, v49, s13 dst_sel:DWORD dst_unused:UNUSED_PAD src0_sel:WORD_0 src1_sel:DWORD
	v_mul_u32_u24_sdwa v31, v49, s13 dst_sel:DWORD dst_unused:UNUSED_PAD src0_sel:WORD_1 src1_sel:DWORD
	;; [unrolled: 2-line block ×4, first 2 shown]
	v_pk_fma_f16 v20, v11, v28, v40
	v_pk_fma_f16 v21, v11, v29, v41
	;; [unrolled: 1-line block ×16, first 2 shown]
	ds_read2_b64 v[9:12], v79 offset0:128 offset1:160
	ds_read_b128 v[36:39], v75 offset:576
	s_waitcnt lgkmcnt(0)
	v_mul_u32_u24_sdwa v40, v36, s13 dst_sel:DWORD dst_unused:UNUSED_PAD src0_sel:WORD_0 src1_sel:DWORD
	v_mul_u32_u24_sdwa v36, v36, s13 dst_sel:DWORD dst_unused:UNUSED_PAD src0_sel:WORD_1 src1_sel:DWORD
	v_mul_u32_u24_sdwa v41, v37, s13 dst_sel:DWORD dst_unused:UNUSED_PAD src0_sel:WORD_0 src1_sel:DWORD
	v_mul_u32_u24_sdwa v37, v37, s13 dst_sel:DWORD dst_unused:UNUSED_PAD src0_sel:WORD_1 src1_sel:DWORD
	v_pk_fma_f16 v44, v9, v40, v20
	v_pk_fma_f16 v45, v9, v36, v21
	;; [unrolled: 1-line block ×4, first 2 shown]
	ds_read_b128 v[20:23], v75 offset:592
	v_mul_u32_u24_sdwa v42, v38, s13 dst_sel:DWORD dst_unused:UNUSED_PAD src0_sel:WORD_0 src1_sel:DWORD
	v_mul_u32_u24_sdwa v38, v38, s13 dst_sel:DWORD dst_unused:UNUSED_PAD src0_sel:WORD_1 src1_sel:DWORD
	v_mul_u32_u24_sdwa v43, v39, s13 dst_sel:DWORD dst_unused:UNUSED_PAD src0_sel:WORD_0 src1_sel:DWORD
	v_mul_u32_u24_sdwa v39, v39, s13 dst_sel:DWORD dst_unused:UNUSED_PAD src0_sel:WORD_1 src1_sel:DWORD
	v_pk_fma_f16 v24, v9, v42, v24
	v_pk_fma_f16 v25, v9, v38, v25
	;; [unrolled: 1-line block ×12, first 2 shown]
	s_waitcnt lgkmcnt(0)
	v_mul_u32_u24_sdwa v34, v20, s13 dst_sel:DWORD dst_unused:UNUSED_PAD src0_sel:WORD_0 src1_sel:DWORD
	v_mul_u32_u24_sdwa v20, v20, s13 dst_sel:DWORD dst_unused:UNUSED_PAD src0_sel:WORD_1 src1_sel:DWORD
	v_mul_u32_u24_sdwa v35, v21, s13 dst_sel:DWORD dst_unused:UNUSED_PAD src0_sel:WORD_0 src1_sel:DWORD
	v_mul_u32_u24_sdwa v21, v21, s13 dst_sel:DWORD dst_unused:UNUSED_PAD src0_sel:WORD_1 src1_sel:DWORD
	;; [unrolled: 2-line block ×4, first 2 shown]
	v_pk_fma_f16 v38, v11, v34, v44
	v_pk_fma_f16 v39, v11, v20, v45
	;; [unrolled: 1-line block ×16, first 2 shown]
	ds_read2_b64 v[9:12], v79 offset0:192 offset1:224
	ds_read_b128 v[20:23], v75 offset:608
	s_waitcnt lgkmcnt(0)
	v_mul_u32_u24_sdwa v35, v20, s13 dst_sel:DWORD dst_unused:UNUSED_PAD src0_sel:WORD_0 src1_sel:DWORD
	v_mul_u32_u24_sdwa v20, v20, s13 dst_sel:DWORD dst_unused:UNUSED_PAD src0_sel:WORD_1 src1_sel:DWORD
	v_mul_u32_u24_sdwa v36, v21, s13 dst_sel:DWORD dst_unused:UNUSED_PAD src0_sel:WORD_0 src1_sel:DWORD
	v_mul_u32_u24_sdwa v21, v21, s13 dst_sel:DWORD dst_unused:UNUSED_PAD src0_sel:WORD_1 src1_sel:DWORD
	;; [unrolled: 2-line block ×4, first 2 shown]
	v_pk_fma_f16 v38, v9, v35, v38
	v_pk_fma_f16 v39, v9, v20, v39
	;; [unrolled: 1-line block ×16, first 2 shown]
	ds_read_b128 v[20:23], v75 offset:624
	s_waitcnt lgkmcnt(0)
	v_mul_u32_u24_sdwa v34, v20, s13 dst_sel:DWORD dst_unused:UNUSED_PAD src0_sel:WORD_0 src1_sel:DWORD
	v_mul_u32_u24_sdwa v20, v20, s13 dst_sel:DWORD dst_unused:UNUSED_PAD src0_sel:WORD_1 src1_sel:DWORD
	v_mul_u32_u24_sdwa v35, v21, s13 dst_sel:DWORD dst_unused:UNUSED_PAD src0_sel:WORD_0 src1_sel:DWORD
	v_mul_u32_u24_sdwa v21, v21, s13 dst_sel:DWORD dst_unused:UNUSED_PAD src0_sel:WORD_1 src1_sel:DWORD
	;; [unrolled: 2-line block ×4, first 2 shown]
	v_pk_fma_f16 v38, v11, v34, v38
	v_pk_fma_f16 v39, v11, v20, v39
	;; [unrolled: 1-line block ×16, first 2 shown]
	ds_read2_b64 v[9:12], v0 offset1:32
	ds_read_b128 v[20:23], v75 offset:640
	s_waitcnt lgkmcnt(0)
	v_mul_u32_u24_sdwa v35, v20, s13 dst_sel:DWORD dst_unused:UNUSED_PAD src0_sel:WORD_0 src1_sel:DWORD
	v_mul_u32_u24_sdwa v20, v20, s13 dst_sel:DWORD dst_unused:UNUSED_PAD src0_sel:WORD_1 src1_sel:DWORD
	v_mul_u32_u24_sdwa v36, v21, s13 dst_sel:DWORD dst_unused:UNUSED_PAD src0_sel:WORD_0 src1_sel:DWORD
	v_mul_u32_u24_sdwa v21, v21, s13 dst_sel:DWORD dst_unused:UNUSED_PAD src0_sel:WORD_1 src1_sel:DWORD
	v_mul_u32_u24_sdwa v37, v22, s13 dst_sel:DWORD dst_unused:UNUSED_PAD src0_sel:WORD_0 src1_sel:DWORD
	v_mul_u32_u24_sdwa v22, v22, s13 dst_sel:DWORD dst_unused:UNUSED_PAD src0_sel:WORD_1 src1_sel:DWORD
	v_mul_u32_u24_sdwa v43, v23, s13 dst_sel:DWORD dst_unused:UNUSED_PAD src0_sel:WORD_0 src1_sel:DWORD
	v_mul_u32_u24_sdwa v23, v23, s13 dst_sel:DWORD dst_unused:UNUSED_PAD src0_sel:WORD_1 src1_sel:DWORD
	v_pk_fma_f16 v38, v9, v35, v38
	v_pk_fma_f16 v39, v9, v20, v39
	v_pk_fma_f16 v40, v9, v36, v40
	v_pk_fma_f16 v41, v9, v21, v41
	v_pk_fma_f16 v24, v9, v37, v24
	v_pk_fma_f16 v25, v9, v22, v25
	v_pk_fma_f16 v26, v9, v43, v26
	v_pk_fma_f16 v9, v9, v23, v42
	v_pk_fma_f16 v27, v10, v35, v27
	v_pk_fma_f16 v28, v10, v20, v28
	v_pk_fma_f16 v29, v10, v36, v29
	v_pk_fma_f16 v30, v10, v21, v30
	v_pk_fma_f16 v31, v10, v37, v31
	v_pk_fma_f16 v32, v10, v22, v32
	v_pk_fma_f16 v33, v10, v43, v33
	v_pk_fma_f16 v10, v10, v23, v34
	ds_read_b128 v[20:23], v75 offset:656
	s_waitcnt lgkmcnt(0)
	v_mul_u32_u24_sdwa v34, v20, s13 dst_sel:DWORD dst_unused:UNUSED_PAD src0_sel:WORD_0 src1_sel:DWORD
	v_mul_u32_u24_sdwa v20, v20, s13 dst_sel:DWORD dst_unused:UNUSED_PAD src0_sel:WORD_1 src1_sel:DWORD
	v_mul_u32_u24_sdwa v35, v21, s13 dst_sel:DWORD dst_unused:UNUSED_PAD src0_sel:WORD_0 src1_sel:DWORD
	v_mul_u32_u24_sdwa v21, v21, s13 dst_sel:DWORD dst_unused:UNUSED_PAD src0_sel:WORD_1 src1_sel:DWORD
	v_mul_u32_u24_sdwa v36, v22, s13 dst_sel:DWORD dst_unused:UNUSED_PAD src0_sel:WORD_0 src1_sel:DWORD
	v_mul_u32_u24_sdwa v22, v22, s13 dst_sel:DWORD dst_unused:UNUSED_PAD src0_sel:WORD_1 src1_sel:DWORD
	v_mul_u32_u24_sdwa v37, v23, s13 dst_sel:DWORD dst_unused:UNUSED_PAD src0_sel:WORD_0 src1_sel:DWORD
	v_mul_u32_u24_sdwa v23, v23, s13 dst_sel:DWORD dst_unused:UNUSED_PAD src0_sel:WORD_1 src1_sel:DWORD
	v_pk_fma_f16 v38, v11, v34, v38
	v_pk_fma_f16 v39, v11, v20, v39
	v_pk_fma_f16 v40, v11, v35, v40
	v_pk_fma_f16 v41, v11, v21, v41
	v_pk_fma_f16 v24, v11, v36, v24
	v_pk_fma_f16 v25, v11, v22, v25
	v_pk_fma_f16 v26, v11, v37, v26
	v_pk_fma_f16 v42, v11, v23, v9
	v_pk_fma_f16 v27, v12, v34, v27
	v_pk_fma_f16 v28, v12, v20, v28
	v_pk_fma_f16 v29, v12, v35, v29
	v_pk_fma_f16 v30, v12, v21, v30
	v_pk_fma_f16 v31, v12, v36, v31
	v_pk_fma_f16 v32, v12, v22, v32
	v_pk_fma_f16 v33, v12, v37, v33
	v_pk_fma_f16 v34, v12, v23, v10
	ds_read2_b64 v[9:12], v0 offset0:64 offset1:96
	ds_read_b128 v[20:23], v75 offset:672
	s_waitcnt lgkmcnt(0)
	v_mul_u32_u24_sdwa v35, v20, s13 dst_sel:DWORD dst_unused:UNUSED_PAD src0_sel:WORD_0 src1_sel:DWORD
	v_mul_u32_u24_sdwa v20, v20, s13 dst_sel:DWORD dst_unused:UNUSED_PAD src0_sel:WORD_1 src1_sel:DWORD
	v_mul_u32_u24_sdwa v36, v21, s13 dst_sel:DWORD dst_unused:UNUSED_PAD src0_sel:WORD_0 src1_sel:DWORD
	v_mul_u32_u24_sdwa v21, v21, s13 dst_sel:DWORD dst_unused:UNUSED_PAD src0_sel:WORD_1 src1_sel:DWORD
	v_mul_u32_u24_sdwa v37, v22, s13 dst_sel:DWORD dst_unused:UNUSED_PAD src0_sel:WORD_0 src1_sel:DWORD
	v_mul_u32_u24_sdwa v22, v22, s13 dst_sel:DWORD dst_unused:UNUSED_PAD src0_sel:WORD_1 src1_sel:DWORD
	v_mul_u32_u24_sdwa v43, v23, s13 dst_sel:DWORD dst_unused:UNUSED_PAD src0_sel:WORD_0 src1_sel:DWORD
	v_mul_u32_u24_sdwa v23, v23, s13 dst_sel:DWORD dst_unused:UNUSED_PAD src0_sel:WORD_1 src1_sel:DWORD
	v_pk_fma_f16 v38, v9, v35, v38
	v_pk_fma_f16 v39, v9, v20, v39
	v_pk_fma_f16 v40, v9, v36, v40
	v_pk_fma_f16 v41, v9, v21, v41
	v_pk_fma_f16 v24, v9, v37, v24
	v_pk_fma_f16 v25, v9, v22, v25
	v_pk_fma_f16 v26, v9, v43, v26
	v_pk_fma_f16 v9, v9, v23, v42
	v_pk_fma_f16 v27, v10, v35, v27
	v_pk_fma_f16 v28, v10, v20, v28
	v_pk_fma_f16 v29, v10, v36, v29
	v_pk_fma_f16 v30, v10, v21, v30
	v_pk_fma_f16 v31, v10, v37, v31
	v_pk_fma_f16 v32, v10, v22, v32
	v_pk_fma_f16 v33, v10, v43, v33
	v_pk_fma_f16 v10, v10, v23, v34
	ds_read_b128 v[20:23], v75 offset:688
	s_waitcnt lgkmcnt(0)
	v_mul_u32_u24_sdwa v34, v20, s13 dst_sel:DWORD dst_unused:UNUSED_PAD src0_sel:WORD_0 src1_sel:DWORD
	v_mul_u32_u24_sdwa v20, v20, s13 dst_sel:DWORD dst_unused:UNUSED_PAD src0_sel:WORD_1 src1_sel:DWORD
	v_mul_u32_u24_sdwa v35, v21, s13 dst_sel:DWORD dst_unused:UNUSED_PAD src0_sel:WORD_0 src1_sel:DWORD
	v_mul_u32_u24_sdwa v21, v21, s13 dst_sel:DWORD dst_unused:UNUSED_PAD src0_sel:WORD_1 src1_sel:DWORD
	v_mul_u32_u24_sdwa v36, v22, s13 dst_sel:DWORD dst_unused:UNUSED_PAD src0_sel:WORD_0 src1_sel:DWORD
	v_mul_u32_u24_sdwa v22, v22, s13 dst_sel:DWORD dst_unused:UNUSED_PAD src0_sel:WORD_1 src1_sel:DWORD
	v_mul_u32_u24_sdwa v37, v23, s13 dst_sel:DWORD dst_unused:UNUSED_PAD src0_sel:WORD_0 src1_sel:DWORD
	v_mul_u32_u24_sdwa v23, v23, s13 dst_sel:DWORD dst_unused:UNUSED_PAD src0_sel:WORD_1 src1_sel:DWORD
	v_pk_fma_f16 v38, v11, v34, v38
	v_pk_fma_f16 v39, v11, v20, v39
	v_pk_fma_f16 v40, v11, v35, v40
	v_pk_fma_f16 v41, v11, v21, v41
	v_pk_fma_f16 v24, v11, v36, v24
	v_pk_fma_f16 v25, v11, v22, v25
	v_pk_fma_f16 v26, v11, v37, v26
	v_pk_fma_f16 v42, v11, v23, v9
	v_pk_fma_f16 v27, v12, v34, v27
	v_pk_fma_f16 v28, v12, v20, v28
	v_pk_fma_f16 v29, v12, v35, v29
	v_pk_fma_f16 v30, v12, v21, v30
	v_pk_fma_f16 v31, v12, v36, v31
	v_pk_fma_f16 v32, v12, v22, v32
	v_pk_fma_f16 v33, v12, v37, v33
	v_pk_fma_f16 v34, v12, v23, v10
	ds_read2_b64 v[9:12], v0 offset0:128 offset1:160
	;; [unrolled: 53-line block ×3, first 2 shown]
	ds_read_b128 v[9:12], v75 offset:736
	s_waitcnt lgkmcnt(0)
	v_mul_u32_u24_sdwa v33, v9, s13 dst_sel:DWORD dst_unused:UNUSED_PAD src0_sel:WORD_0 src1_sel:DWORD
	v_mul_u32_u24_sdwa v9, v9, s13 dst_sel:DWORD dst_unused:UNUSED_PAD src0_sel:WORD_1 src1_sel:DWORD
	v_mul_u32_u24_sdwa v36, v10, s13 dst_sel:DWORD dst_unused:UNUSED_PAD src0_sel:WORD_0 src1_sel:DWORD
	v_mul_u32_u24_sdwa v10, v10, s13 dst_sel:DWORD dst_unused:UNUSED_PAD src0_sel:WORD_1 src1_sel:DWORD
	;; [unrolled: 2-line block ×4, first 2 shown]
	v_pk_fma_f16 v38, v28, v33, v38
	v_pk_fma_f16 v39, v28, v9, v39
	;; [unrolled: 1-line block ×15, first 2 shown]
	ds_read_b128 v[9:12], v75 offset:752
	v_pk_fma_f16 v32, v29, v43, v32
	s_waitcnt lgkmcnt(0)
	s_barrier
	v_mul_u32_u24_sdwa v29, v9, s13 dst_sel:DWORD dst_unused:UNUSED_PAD src0_sel:WORD_0 src1_sel:DWORD
	v_mul_u32_u24_sdwa v43, v9, s13 dst_sel:DWORD dst_unused:UNUSED_PAD src0_sel:WORD_1 src1_sel:DWORD
	v_mul_u32_u24_sdwa v44, v10, s13 dst_sel:DWORD dst_unused:UNUSED_PAD src0_sel:WORD_0 src1_sel:DWORD
	v_mul_u32_u24_sdwa v45, v10, s13 dst_sel:DWORD dst_unused:UNUSED_PAD src0_sel:WORD_1 src1_sel:DWORD
	;; [unrolled: 2-line block ×4, first 2 shown]
	v_pk_fma_f16 v9, v30, v29, v38
	v_pk_fma_f16 v10, v30, v43, v39
	;; [unrolled: 1-line block ×10, first 2 shown]
	v_add_co_u32_e32 v32, vcc, s8, v77
	v_mov_b32_e32 v33, s9
	v_addc_co_u32_e32 v33, vcc, v78, v33, vcc
	v_pk_fma_f16 v26, v31, v44, v34
	v_pk_fma_f16 v28, v31, v46, v35
	global_load_dwordx4 v[32:35], v[32:33], off
	v_pk_fma_f16 v24, v31, v29, v27
	v_pk_fma_f16 v27, v31, v45, v36
	;; [unrolled: 1-line block ×4, first 2 shown]
	s_waitcnt vmcnt(0)
	ds_write_b128 v76, v[32:35]
	s_waitcnt lgkmcnt(0)
	s_barrier
	ds_read2_b64 v[32:35], v79 offset1:32
	ds_read_b128 v[36:39], v75 offset:768
	ds_read_b128 v[40:43], v75 offset:784
	;; [unrolled: 1-line block ×4, first 2 shown]
	s_waitcnt lgkmcnt(3)
	v_mul_u32_u24_sdwa v52, v36, s13 dst_sel:DWORD dst_unused:UNUSED_PAD src0_sel:WORD_0 src1_sel:DWORD
	v_mul_u32_u24_sdwa v36, v36, s13 dst_sel:DWORD dst_unused:UNUSED_PAD src0_sel:WORD_1 src1_sel:DWORD
	v_mul_u32_u24_sdwa v53, v37, s13 dst_sel:DWORD dst_unused:UNUSED_PAD src0_sel:WORD_0 src1_sel:DWORD
	v_mul_u32_u24_sdwa v37, v37, s13 dst_sel:DWORD dst_unused:UNUSED_PAD src0_sel:WORD_1 src1_sel:DWORD
	;; [unrolled: 2-line block ×4, first 2 shown]
	v_pk_fma_f16 v9, v32, v52, v9
	v_pk_fma_f16 v10, v32, v36, v10
	;; [unrolled: 1-line block ×16, first 2 shown]
	s_waitcnt lgkmcnt(2)
	v_mul_u32_u24_sdwa v32, v40, s13 dst_sel:DWORD dst_unused:UNUSED_PAD src0_sel:WORD_0 src1_sel:DWORD
	v_mul_u32_u24_sdwa v33, v40, s13 dst_sel:DWORD dst_unused:UNUSED_PAD src0_sel:WORD_1 src1_sel:DWORD
	v_mul_u32_u24_sdwa v36, v41, s13 dst_sel:DWORD dst_unused:UNUSED_PAD src0_sel:WORD_0 src1_sel:DWORD
	v_mul_u32_u24_sdwa v37, v41, s13 dst_sel:DWORD dst_unused:UNUSED_PAD src0_sel:WORD_1 src1_sel:DWORD
	;; [unrolled: 2-line block ×4, first 2 shown]
	v_pk_fma_f16 v42, v34, v32, v9
	v_pk_fma_f16 v43, v34, v33, v10
	;; [unrolled: 1-line block ×4, first 2 shown]
	ds_read2_b64 v[9:12], v79 offset0:64 offset1:96
	v_pk_fma_f16 v20, v34, v38, v20
	v_pk_fma_f16 v21, v34, v39, v21
	;; [unrolled: 1-line block ×12, first 2 shown]
	s_waitcnt lgkmcnt(2)
	v_mul_u32_u24_sdwa v32, v44, s13 dst_sel:DWORD dst_unused:UNUSED_PAD src0_sel:WORD_0 src1_sel:DWORD
	v_mul_u32_u24_sdwa v33, v44, s13 dst_sel:DWORD dst_unused:UNUSED_PAD src0_sel:WORD_1 src1_sel:DWORD
	v_mul_u32_u24_sdwa v34, v45, s13 dst_sel:DWORD dst_unused:UNUSED_PAD src0_sel:WORD_0 src1_sel:DWORD
	v_mul_u32_u24_sdwa v35, v45, s13 dst_sel:DWORD dst_unused:UNUSED_PAD src0_sel:WORD_1 src1_sel:DWORD
	;; [unrolled: 2-line block ×4, first 2 shown]
	s_waitcnt lgkmcnt(0)
	v_pk_fma_f16 v40, v9, v32, v42
	v_pk_fma_f16 v41, v9, v33, v43
	;; [unrolled: 1-line block ×16, first 2 shown]
	v_mul_u32_u24_sdwa v28, v48, s13 dst_sel:DWORD dst_unused:UNUSED_PAD src0_sel:WORD_0 src1_sel:DWORD
	v_mul_u32_u24_sdwa v29, v48, s13 dst_sel:DWORD dst_unused:UNUSED_PAD src0_sel:WORD_1 src1_sel:DWORD
	v_mul_u32_u24_sdwa v30, v49, s13 dst_sel:DWORD dst_unused:UNUSED_PAD src0_sel:WORD_0 src1_sel:DWORD
	v_mul_u32_u24_sdwa v31, v49, s13 dst_sel:DWORD dst_unused:UNUSED_PAD src0_sel:WORD_1 src1_sel:DWORD
	v_mul_u32_u24_sdwa v39, v50, s13 dst_sel:DWORD dst_unused:UNUSED_PAD src0_sel:WORD_0 src1_sel:DWORD
	v_mul_u32_u24_sdwa v47, v50, s13 dst_sel:DWORD dst_unused:UNUSED_PAD src0_sel:WORD_1 src1_sel:DWORD
	v_mul_u32_u24_sdwa v48, v51, s13 dst_sel:DWORD dst_unused:UNUSED_PAD src0_sel:WORD_0 src1_sel:DWORD
	v_mul_u32_u24_sdwa v49, v51, s13 dst_sel:DWORD dst_unused:UNUSED_PAD src0_sel:WORD_1 src1_sel:DWORD
	v_pk_fma_f16 v20, v11, v28, v40
	v_pk_fma_f16 v21, v11, v29, v41
	;; [unrolled: 1-line block ×16, first 2 shown]
	ds_read2_b64 v[9:12], v79 offset0:128 offset1:160
	ds_read_b128 v[36:39], v75 offset:832
	s_waitcnt lgkmcnt(0)
	v_mul_u32_u24_sdwa v40, v36, s13 dst_sel:DWORD dst_unused:UNUSED_PAD src0_sel:WORD_0 src1_sel:DWORD
	v_mul_u32_u24_sdwa v36, v36, s13 dst_sel:DWORD dst_unused:UNUSED_PAD src0_sel:WORD_1 src1_sel:DWORD
	v_mul_u32_u24_sdwa v41, v37, s13 dst_sel:DWORD dst_unused:UNUSED_PAD src0_sel:WORD_0 src1_sel:DWORD
	v_mul_u32_u24_sdwa v37, v37, s13 dst_sel:DWORD dst_unused:UNUSED_PAD src0_sel:WORD_1 src1_sel:DWORD
	v_pk_fma_f16 v44, v9, v40, v20
	v_pk_fma_f16 v45, v9, v36, v21
	;; [unrolled: 1-line block ×4, first 2 shown]
	ds_read_b128 v[20:23], v75 offset:848
	v_mul_u32_u24_sdwa v42, v38, s13 dst_sel:DWORD dst_unused:UNUSED_PAD src0_sel:WORD_0 src1_sel:DWORD
	v_mul_u32_u24_sdwa v38, v38, s13 dst_sel:DWORD dst_unused:UNUSED_PAD src0_sel:WORD_1 src1_sel:DWORD
	v_mul_u32_u24_sdwa v43, v39, s13 dst_sel:DWORD dst_unused:UNUSED_PAD src0_sel:WORD_0 src1_sel:DWORD
	v_mul_u32_u24_sdwa v39, v39, s13 dst_sel:DWORD dst_unused:UNUSED_PAD src0_sel:WORD_1 src1_sel:DWORD
	v_pk_fma_f16 v24, v9, v42, v24
	v_pk_fma_f16 v25, v9, v38, v25
	;; [unrolled: 1-line block ×12, first 2 shown]
	s_waitcnt lgkmcnt(0)
	v_mul_u32_u24_sdwa v34, v20, s13 dst_sel:DWORD dst_unused:UNUSED_PAD src0_sel:WORD_0 src1_sel:DWORD
	v_mul_u32_u24_sdwa v20, v20, s13 dst_sel:DWORD dst_unused:UNUSED_PAD src0_sel:WORD_1 src1_sel:DWORD
	v_mul_u32_u24_sdwa v35, v21, s13 dst_sel:DWORD dst_unused:UNUSED_PAD src0_sel:WORD_0 src1_sel:DWORD
	v_mul_u32_u24_sdwa v21, v21, s13 dst_sel:DWORD dst_unused:UNUSED_PAD src0_sel:WORD_1 src1_sel:DWORD
	;; [unrolled: 2-line block ×4, first 2 shown]
	v_pk_fma_f16 v38, v11, v34, v44
	v_pk_fma_f16 v39, v11, v20, v45
	;; [unrolled: 1-line block ×16, first 2 shown]
	ds_read2_b64 v[9:12], v79 offset0:192 offset1:224
	ds_read_b128 v[20:23], v75 offset:864
	s_waitcnt lgkmcnt(0)
	v_mul_u32_u24_sdwa v35, v20, s13 dst_sel:DWORD dst_unused:UNUSED_PAD src0_sel:WORD_0 src1_sel:DWORD
	v_mul_u32_u24_sdwa v20, v20, s13 dst_sel:DWORD dst_unused:UNUSED_PAD src0_sel:WORD_1 src1_sel:DWORD
	v_mul_u32_u24_sdwa v36, v21, s13 dst_sel:DWORD dst_unused:UNUSED_PAD src0_sel:WORD_0 src1_sel:DWORD
	v_mul_u32_u24_sdwa v21, v21, s13 dst_sel:DWORD dst_unused:UNUSED_PAD src0_sel:WORD_1 src1_sel:DWORD
	;; [unrolled: 2-line block ×4, first 2 shown]
	v_pk_fma_f16 v38, v9, v35, v38
	v_pk_fma_f16 v39, v9, v20, v39
	;; [unrolled: 1-line block ×16, first 2 shown]
	ds_read_b128 v[20:23], v75 offset:880
	s_waitcnt lgkmcnt(0)
	v_mul_u32_u24_sdwa v34, v20, s13 dst_sel:DWORD dst_unused:UNUSED_PAD src0_sel:WORD_0 src1_sel:DWORD
	v_mul_u32_u24_sdwa v20, v20, s13 dst_sel:DWORD dst_unused:UNUSED_PAD src0_sel:WORD_1 src1_sel:DWORD
	v_mul_u32_u24_sdwa v35, v21, s13 dst_sel:DWORD dst_unused:UNUSED_PAD src0_sel:WORD_0 src1_sel:DWORD
	v_mul_u32_u24_sdwa v21, v21, s13 dst_sel:DWORD dst_unused:UNUSED_PAD src0_sel:WORD_1 src1_sel:DWORD
	;; [unrolled: 2-line block ×4, first 2 shown]
	v_pk_fma_f16 v38, v11, v34, v38
	v_pk_fma_f16 v39, v11, v20, v39
	;; [unrolled: 1-line block ×16, first 2 shown]
	ds_read2_b64 v[9:12], v0 offset1:32
	ds_read_b128 v[20:23], v75 offset:896
	s_waitcnt lgkmcnt(0)
	v_mul_u32_u24_sdwa v35, v20, s13 dst_sel:DWORD dst_unused:UNUSED_PAD src0_sel:WORD_0 src1_sel:DWORD
	v_mul_u32_u24_sdwa v20, v20, s13 dst_sel:DWORD dst_unused:UNUSED_PAD src0_sel:WORD_1 src1_sel:DWORD
	v_mul_u32_u24_sdwa v36, v21, s13 dst_sel:DWORD dst_unused:UNUSED_PAD src0_sel:WORD_0 src1_sel:DWORD
	v_mul_u32_u24_sdwa v21, v21, s13 dst_sel:DWORD dst_unused:UNUSED_PAD src0_sel:WORD_1 src1_sel:DWORD
	v_mul_u32_u24_sdwa v37, v22, s13 dst_sel:DWORD dst_unused:UNUSED_PAD src0_sel:WORD_0 src1_sel:DWORD
	v_mul_u32_u24_sdwa v22, v22, s13 dst_sel:DWORD dst_unused:UNUSED_PAD src0_sel:WORD_1 src1_sel:DWORD
	v_mul_u32_u24_sdwa v43, v23, s13 dst_sel:DWORD dst_unused:UNUSED_PAD src0_sel:WORD_0 src1_sel:DWORD
	v_mul_u32_u24_sdwa v23, v23, s13 dst_sel:DWORD dst_unused:UNUSED_PAD src0_sel:WORD_1 src1_sel:DWORD
	v_pk_fma_f16 v38, v9, v35, v38
	v_pk_fma_f16 v39, v9, v20, v39
	v_pk_fma_f16 v40, v9, v36, v40
	v_pk_fma_f16 v41, v9, v21, v41
	v_pk_fma_f16 v24, v9, v37, v24
	v_pk_fma_f16 v25, v9, v22, v25
	v_pk_fma_f16 v26, v9, v43, v26
	v_pk_fma_f16 v9, v9, v23, v42
	v_pk_fma_f16 v27, v10, v35, v27
	v_pk_fma_f16 v28, v10, v20, v28
	v_pk_fma_f16 v29, v10, v36, v29
	v_pk_fma_f16 v30, v10, v21, v30
	v_pk_fma_f16 v31, v10, v37, v31
	v_pk_fma_f16 v32, v10, v22, v32
	v_pk_fma_f16 v33, v10, v43, v33
	v_pk_fma_f16 v10, v10, v23, v34
	ds_read_b128 v[20:23], v75 offset:912
	s_waitcnt lgkmcnt(0)
	v_mul_u32_u24_sdwa v34, v20, s13 dst_sel:DWORD dst_unused:UNUSED_PAD src0_sel:WORD_0 src1_sel:DWORD
	v_mul_u32_u24_sdwa v20, v20, s13 dst_sel:DWORD dst_unused:UNUSED_PAD src0_sel:WORD_1 src1_sel:DWORD
	v_mul_u32_u24_sdwa v35, v21, s13 dst_sel:DWORD dst_unused:UNUSED_PAD src0_sel:WORD_0 src1_sel:DWORD
	v_mul_u32_u24_sdwa v21, v21, s13 dst_sel:DWORD dst_unused:UNUSED_PAD src0_sel:WORD_1 src1_sel:DWORD
	v_mul_u32_u24_sdwa v36, v22, s13 dst_sel:DWORD dst_unused:UNUSED_PAD src0_sel:WORD_0 src1_sel:DWORD
	v_mul_u32_u24_sdwa v22, v22, s13 dst_sel:DWORD dst_unused:UNUSED_PAD src0_sel:WORD_1 src1_sel:DWORD
	v_mul_u32_u24_sdwa v37, v23, s13 dst_sel:DWORD dst_unused:UNUSED_PAD src0_sel:WORD_0 src1_sel:DWORD
	v_mul_u32_u24_sdwa v23, v23, s13 dst_sel:DWORD dst_unused:UNUSED_PAD src0_sel:WORD_1 src1_sel:DWORD
	v_pk_fma_f16 v38, v11, v34, v38
	v_pk_fma_f16 v39, v11, v20, v39
	v_pk_fma_f16 v40, v11, v35, v40
	v_pk_fma_f16 v41, v11, v21, v41
	v_pk_fma_f16 v24, v11, v36, v24
	v_pk_fma_f16 v25, v11, v22, v25
	v_pk_fma_f16 v26, v11, v37, v26
	v_pk_fma_f16 v42, v11, v23, v9
	v_pk_fma_f16 v27, v12, v34, v27
	v_pk_fma_f16 v28, v12, v20, v28
	v_pk_fma_f16 v29, v12, v35, v29
	v_pk_fma_f16 v30, v12, v21, v30
	v_pk_fma_f16 v31, v12, v36, v31
	v_pk_fma_f16 v32, v12, v22, v32
	v_pk_fma_f16 v33, v12, v37, v33
	v_pk_fma_f16 v34, v12, v23, v10
	ds_read2_b64 v[9:12], v0 offset0:64 offset1:96
	ds_read_b128 v[20:23], v75 offset:928
	s_waitcnt lgkmcnt(0)
	v_mul_u32_u24_sdwa v35, v20, s13 dst_sel:DWORD dst_unused:UNUSED_PAD src0_sel:WORD_0 src1_sel:DWORD
	v_mul_u32_u24_sdwa v20, v20, s13 dst_sel:DWORD dst_unused:UNUSED_PAD src0_sel:WORD_1 src1_sel:DWORD
	v_mul_u32_u24_sdwa v36, v21, s13 dst_sel:DWORD dst_unused:UNUSED_PAD src0_sel:WORD_0 src1_sel:DWORD
	v_mul_u32_u24_sdwa v21, v21, s13 dst_sel:DWORD dst_unused:UNUSED_PAD src0_sel:WORD_1 src1_sel:DWORD
	v_mul_u32_u24_sdwa v37, v22, s13 dst_sel:DWORD dst_unused:UNUSED_PAD src0_sel:WORD_0 src1_sel:DWORD
	v_mul_u32_u24_sdwa v22, v22, s13 dst_sel:DWORD dst_unused:UNUSED_PAD src0_sel:WORD_1 src1_sel:DWORD
	v_mul_u32_u24_sdwa v43, v23, s13 dst_sel:DWORD dst_unused:UNUSED_PAD src0_sel:WORD_0 src1_sel:DWORD
	v_mul_u32_u24_sdwa v23, v23, s13 dst_sel:DWORD dst_unused:UNUSED_PAD src0_sel:WORD_1 src1_sel:DWORD
	v_pk_fma_f16 v38, v9, v35, v38
	v_pk_fma_f16 v39, v9, v20, v39
	v_pk_fma_f16 v40, v9, v36, v40
	v_pk_fma_f16 v41, v9, v21, v41
	v_pk_fma_f16 v24, v9, v37, v24
	v_pk_fma_f16 v25, v9, v22, v25
	v_pk_fma_f16 v26, v9, v43, v26
	v_pk_fma_f16 v9, v9, v23, v42
	v_pk_fma_f16 v27, v10, v35, v27
	v_pk_fma_f16 v28, v10, v20, v28
	v_pk_fma_f16 v29, v10, v36, v29
	v_pk_fma_f16 v30, v10, v21, v30
	v_pk_fma_f16 v31, v10, v37, v31
	v_pk_fma_f16 v32, v10, v22, v32
	v_pk_fma_f16 v33, v10, v43, v33
	v_pk_fma_f16 v10, v10, v23, v34
	ds_read_b128 v[20:23], v75 offset:944
	s_waitcnt lgkmcnt(0)
	v_mul_u32_u24_sdwa v34, v20, s13 dst_sel:DWORD dst_unused:UNUSED_PAD src0_sel:WORD_0 src1_sel:DWORD
	v_mul_u32_u24_sdwa v20, v20, s13 dst_sel:DWORD dst_unused:UNUSED_PAD src0_sel:WORD_1 src1_sel:DWORD
	v_mul_u32_u24_sdwa v35, v21, s13 dst_sel:DWORD dst_unused:UNUSED_PAD src0_sel:WORD_0 src1_sel:DWORD
	v_mul_u32_u24_sdwa v21, v21, s13 dst_sel:DWORD dst_unused:UNUSED_PAD src0_sel:WORD_1 src1_sel:DWORD
	v_mul_u32_u24_sdwa v36, v22, s13 dst_sel:DWORD dst_unused:UNUSED_PAD src0_sel:WORD_0 src1_sel:DWORD
	v_mul_u32_u24_sdwa v22, v22, s13 dst_sel:DWORD dst_unused:UNUSED_PAD src0_sel:WORD_1 src1_sel:DWORD
	v_mul_u32_u24_sdwa v37, v23, s13 dst_sel:DWORD dst_unused:UNUSED_PAD src0_sel:WORD_0 src1_sel:DWORD
	v_mul_u32_u24_sdwa v23, v23, s13 dst_sel:DWORD dst_unused:UNUSED_PAD src0_sel:WORD_1 src1_sel:DWORD
	v_pk_fma_f16 v38, v11, v34, v38
	v_pk_fma_f16 v39, v11, v20, v39
	v_pk_fma_f16 v40, v11, v35, v40
	v_pk_fma_f16 v41, v11, v21, v41
	v_pk_fma_f16 v24, v11, v36, v24
	v_pk_fma_f16 v25, v11, v22, v25
	v_pk_fma_f16 v26, v11, v37, v26
	v_pk_fma_f16 v42, v11, v23, v9
	v_pk_fma_f16 v27, v12, v34, v27
	v_pk_fma_f16 v28, v12, v20, v28
	v_pk_fma_f16 v29, v12, v35, v29
	v_pk_fma_f16 v30, v12, v21, v30
	v_pk_fma_f16 v31, v12, v36, v31
	v_pk_fma_f16 v32, v12, v22, v32
	v_pk_fma_f16 v33, v12, v37, v33
	v_pk_fma_f16 v34, v12, v23, v10
	ds_read2_b64 v[9:12], v0 offset0:128 offset1:160
	ds_read_b128 v[20:23], v75 offset:960
	s_waitcnt lgkmcnt(0)
	v_mul_u32_u24_sdwa v35, v20, s13 dst_sel:DWORD dst_unused:UNUSED_PAD src0_sel:WORD_0 src1_sel:DWORD
	v_mul_u32_u24_sdwa v20, v20, s13 dst_sel:DWORD dst_unused:UNUSED_PAD src0_sel:WORD_1 src1_sel:DWORD
	v_mul_u32_u24_sdwa v36, v21, s13 dst_sel:DWORD dst_unused:UNUSED_PAD src0_sel:WORD_0 src1_sel:DWORD
	v_mul_u32_u24_sdwa v21, v21, s13 dst_sel:DWORD dst_unused:UNUSED_PAD src0_sel:WORD_1 src1_sel:DWORD
	v_mul_u32_u24_sdwa v37, v22, s13 dst_sel:DWORD dst_unused:UNUSED_PAD src0_sel:WORD_0 src1_sel:DWORD
	v_mul_u32_u24_sdwa v22, v22, s13 dst_sel:DWORD dst_unused:UNUSED_PAD src0_sel:WORD_1 src1_sel:DWORD
	v_mul_u32_u24_sdwa v43, v23, s13 dst_sel:DWORD dst_unused:UNUSED_PAD src0_sel:WORD_0 src1_sel:DWORD
	v_mul_u32_u24_sdwa v23, v23, s13 dst_sel:DWORD dst_unused:UNUSED_PAD src0_sel:WORD_1 src1_sel:DWORD
	v_pk_fma_f16 v38, v9, v35, v38
	v_pk_fma_f16 v39, v9, v20, v39
	v_pk_fma_f16 v40, v9, v36, v40
	v_pk_fma_f16 v41, v9, v21, v41
	v_pk_fma_f16 v24, v9, v37, v24
	v_pk_fma_f16 v25, v9, v22, v25
	v_pk_fma_f16 v26, v9, v43, v26
	v_pk_fma_f16 v9, v9, v23, v42
	v_pk_fma_f16 v27, v10, v35, v27
	v_pk_fma_f16 v28, v10, v20, v28
	v_pk_fma_f16 v29, v10, v36, v29
	v_pk_fma_f16 v30, v10, v21, v30
	v_pk_fma_f16 v31, v10, v37, v31
	v_pk_fma_f16 v32, v10, v22, v32
	v_pk_fma_f16 v33, v10, v43, v33
	v_pk_fma_f16 v10, v10, v23, v34
	ds_read_b128 v[20:23], v75 offset:976
	s_waitcnt lgkmcnt(0)
	v_mul_u32_u24_sdwa v34, v20, s13 dst_sel:DWORD dst_unused:UNUSED_PAD src0_sel:WORD_0 src1_sel:DWORD
	v_mul_u32_u24_sdwa v20, v20, s13 dst_sel:DWORD dst_unused:UNUSED_PAD src0_sel:WORD_1 src1_sel:DWORD
	v_mul_u32_u24_sdwa v35, v21, s13 dst_sel:DWORD dst_unused:UNUSED_PAD src0_sel:WORD_0 src1_sel:DWORD
	v_mul_u32_u24_sdwa v21, v21, s13 dst_sel:DWORD dst_unused:UNUSED_PAD src0_sel:WORD_1 src1_sel:DWORD
	v_mul_u32_u24_sdwa v36, v22, s13 dst_sel:DWORD dst_unused:UNUSED_PAD src0_sel:WORD_0 src1_sel:DWORD
	v_mul_u32_u24_sdwa v22, v22, s13 dst_sel:DWORD dst_unused:UNUSED_PAD src0_sel:WORD_1 src1_sel:DWORD
	v_mul_u32_u24_sdwa v37, v23, s13 dst_sel:DWORD dst_unused:UNUSED_PAD src0_sel:WORD_0 src1_sel:DWORD
	v_mul_u32_u24_sdwa v23, v23, s13 dst_sel:DWORD dst_unused:UNUSED_PAD src0_sel:WORD_1 src1_sel:DWORD
	v_pk_fma_f16 v38, v11, v34, v38
	v_pk_fma_f16 v39, v11, v20, v39
	v_pk_fma_f16 v40, v11, v35, v40
	v_pk_fma_f16 v41, v11, v21, v41
	v_pk_fma_f16 v24, v11, v36, v24
	v_pk_fma_f16 v25, v11, v22, v25
	v_pk_fma_f16 v26, v11, v37, v26
	v_pk_fma_f16 v42, v11, v23, v9
	v_pk_fma_f16 v27, v12, v34, v27
	v_pk_fma_f16 v28, v12, v20, v28
	v_pk_fma_f16 v29, v12, v35, v29
	v_pk_fma_f16 v30, v12, v21, v30
	v_pk_fma_f16 v31, v12, v36, v31
	v_pk_fma_f16 v32, v12, v22, v32
	v_pk_fma_f16 v33, v12, v37, v33
	v_pk_fma_f16 v34, v12, v23, v10
	ds_read2_b64 v[9:12], v0 offset0:192 offset1:224
	ds_read_b128 v[20:23], v75 offset:992
	s_waitcnt lgkmcnt(0)
	v_mul_u32_u24_sdwa v35, v20, s13 dst_sel:DWORD dst_unused:UNUSED_PAD src0_sel:WORD_0 src1_sel:DWORD
	v_mul_u32_u24_sdwa v20, v20, s13 dst_sel:DWORD dst_unused:UNUSED_PAD src0_sel:WORD_1 src1_sel:DWORD
	v_mul_u32_u24_sdwa v36, v21, s13 dst_sel:DWORD dst_unused:UNUSED_PAD src0_sel:WORD_0 src1_sel:DWORD
	v_mul_u32_u24_sdwa v21, v21, s13 dst_sel:DWORD dst_unused:UNUSED_PAD src0_sel:WORD_1 src1_sel:DWORD
	;; [unrolled: 2-line block ×4, first 2 shown]
	v_pk_fma_f16 v38, v9, v35, v38
	v_pk_fma_f16 v39, v9, v20, v39
	;; [unrolled: 1-line block ×16, first 2 shown]
	ds_read_b128 v[20:23], v75 offset:1008
	s_waitcnt lgkmcnt(0)
	s_barrier
	s_load_dword s8, s[0:1], 0x4
	v_mul_u32_u24_sdwa v34, v20, s13 dst_sel:DWORD dst_unused:UNUSED_PAD src0_sel:WORD_0 src1_sel:DWORD
	v_mul_u32_u24_sdwa v20, v20, s13 dst_sel:DWORD dst_unused:UNUSED_PAD src0_sel:WORD_1 src1_sel:DWORD
	v_mul_u32_u24_sdwa v35, v21, s13 dst_sel:DWORD dst_unused:UNUSED_PAD src0_sel:WORD_0 src1_sel:DWORD
	v_mul_u32_u24_sdwa v21, v21, s13 dst_sel:DWORD dst_unused:UNUSED_PAD src0_sel:WORD_1 src1_sel:DWORD
	s_waitcnt lgkmcnt(0)
	s_lshl_b32 s8, s8, 6
	v_mul_u32_u24_sdwa v36, v22, s13 dst_sel:DWORD dst_unused:UNUSED_PAD src0_sel:WORD_0 src1_sel:DWORD
	v_mul_u32_u24_sdwa v22, v22, s13 dst_sel:DWORD dst_unused:UNUSED_PAD src0_sel:WORD_1 src1_sel:DWORD
	v_mul_u32_u24_sdwa v37, v23, s13 dst_sel:DWORD dst_unused:UNUSED_PAD src0_sel:WORD_0 src1_sel:DWORD
	v_mul_u32_u24_sdwa v23, v23, s13 dst_sel:DWORD dst_unused:UNUSED_PAD src0_sel:WORD_1 src1_sel:DWORD
	s_add_i32 s6, s8, s6
	v_pk_fma_f16 v98, v11, v34, v38
	v_pk_fma_f16 v96, v11, v20, v39
	;; [unrolled: 1-line block ×16, first 2 shown]
	s_cmp_ge_i32 s6, s30
	s_cbranch_scc0 .LBB33_9
; %bb.10:
	buffer_load_dword v45, off, s[44:47], 0 offset:28 ; 4-byte Folded Reload
	buffer_load_dword v46, off, s[44:47], 0 offset:32 ; 4-byte Folded Reload
	;; [unrolled: 1-line block ×15, first 2 shown]
.LBB33_11:
	v_cmp_lt_i32_e32 vcc, v72, v61
	v_cndmask_b32_e32 v0, v60, v72, vcc
	v_cmp_lt_i32_e32 vcc, v56, v61
	v_lshlrev_b32_e32 v0, 2, v0
	v_cndmask_b32_e32 v9, v60, v56, vcc
	v_lshlrev_b32_e32 v12, 2, v9
	ds_bpermute_b32 v9, v0, v13
	v_cmp_lt_i32_e32 vcc, v69, v61
	v_cndmask_b32_e32 v10, v60, v69, vcc
	v_cmp_lt_i32_e32 vcc, v71, v61
	v_lshlrev_b32_e32 v20, 2, v10
	v_cndmask_b32_e32 v10, v60, v71, vcc
	s_waitcnt lgkmcnt(0)
	v_add_f32_e32 v9, v13, v9
	v_lshlrev_b32_e32 v13, 2, v10
	ds_bpermute_b32 v10, v0, v14
	ds_bpermute_b32 v11, v12, v9
	;; [unrolled: 1-line block ×3, first 2 shown]
	v_cmp_lt_i32_e32 vcc, v68, v61
	v_cndmask_b32_e32 v21, v60, v68, vcc
	s_waitcnt lgkmcnt(2)
	v_add_f32_e32 v10, v14, v10
	s_waitcnt lgkmcnt(1)
	v_add_f32_e32 v9, v9, v11
	ds_bpermute_b32 v14, v12, v10
	ds_bpermute_b32 v11, v20, v9
	s_waitcnt lgkmcnt(2)
	v_add_f32_e32 v15, v15, v22
	ds_bpermute_b32 v22, v12, v15
	v_lshlrev_b32_e32 v21, 2, v21
	s_waitcnt lgkmcnt(2)
	v_add_f32_e32 v10, v10, v14
	s_waitcnt lgkmcnt(1)
	v_add_f32_e32 v9, v9, v11
	ds_bpermute_b32 v14, v20, v10
	ds_bpermute_b32 v11, v13, v9
	s_waitcnt lgkmcnt(2)
	v_add_f32_e32 v15, v15, v22
	ds_bpermute_b32 v22, v20, v15
	ds_bpermute_b32 v23, v0, v16
	s_waitcnt lgkmcnt(3)
	v_add_f32_e32 v10, v10, v14
	s_waitcnt lgkmcnt(2)
	v_add_f32_e32 v9, v9, v11
	ds_bpermute_b32 v14, v13, v10
	ds_bpermute_b32 v11, v21, v9
	s_cmp_lg_u64 s[16:17], 0
	s_cselect_b64 s[0:1], -1, 0
	s_cmp_eq_u32 s7, 0
	s_waitcnt lgkmcnt(1)
	v_add_f32_e32 v10, v10, v14
	v_add_f32_e32 v14, v15, v22
	;; [unrolled: 1-line block ×3, first 2 shown]
	s_waitcnt lgkmcnt(0)
	v_add_f32_e32 v9, v9, v11
	ds_bpermute_b32 v11, v0, v17
	ds_bpermute_b32 v16, v12, v15
	ds_bpermute_b32 v22, v13, v14
	ds_bpermute_b32 v23, v21, v10
	s_cselect_b64 s[8:9], -1, 0
	s_waitcnt lgkmcnt(3)
	v_add_f32_e32 v11, v17, v11
	s_waitcnt lgkmcnt(2)
	v_add_f32_e32 v15, v15, v16
	ds_bpermute_b32 v17, v12, v11
	ds_bpermute_b32 v16, v20, v15
	s_waitcnt lgkmcnt(3)
	v_add_f32_e32 v14, v14, v22
	ds_bpermute_b32 v22, v21, v14
	s_waitcnt lgkmcnt(3)
	v_add_f32_e32 v10, v10, v23
	s_waitcnt lgkmcnt(2)
	v_add_f32_e32 v11, v11, v17
	;; [unrolled: 2-line block ×3, first 2 shown]
	ds_bpermute_b32 v17, v20, v11
	ds_bpermute_b32 v16, v13, v15
	s_and_b64 s[0:1], s[8:9], s[0:1]
	s_and_b64 vcc, exec, s[0:1]
	s_waitcnt lgkmcnt(1)
	v_add_f32_e32 v17, v11, v17
	v_add_f32_e32 v11, v14, v22
	s_waitcnt lgkmcnt(0)
	v_add_f32_e32 v14, v15, v16
	ds_bpermute_b32 v16, v0, v18
	ds_bpermute_b32 v22, v0, v19
	;; [unrolled: 1-line block ×5, first 2 shown]
	s_waitcnt lgkmcnt(4)
	v_add_f32_e32 v16, v18, v16
	s_waitcnt lgkmcnt(3)
	v_add_f32_e32 v19, v19, v22
	;; [unrolled: 2-line block ×3, first 2 shown]
	ds_bpermute_b32 v18, v12, v16
	ds_bpermute_b32 v22, v12, v19
	;; [unrolled: 1-line block ×3, first 2 shown]
	s_waitcnt lgkmcnt(4)
	v_add_f32_e32 v17, v17, v23
	ds_bpermute_b32 v23, v21, v17
	s_waitcnt lgkmcnt(3)
	v_add_f32_e32 v16, v16, v18
	s_waitcnt lgkmcnt(2)
	v_add_f32_e32 v19, v19, v22
	;; [unrolled: 2-line block ×3, first 2 shown]
	ds_bpermute_b32 v18, v20, v16
	ds_bpermute_b32 v22, v20, v19
	;; [unrolled: 1-line block ×3, first 2 shown]
	s_waitcnt lgkmcnt(2)
	v_add_f32_e32 v16, v16, v18
	s_waitcnt lgkmcnt(1)
	v_add_f32_e32 v19, v19, v22
	;; [unrolled: 2-line block ×3, first 2 shown]
	ds_bpermute_b32 v18, v13, v16
	ds_bpermute_b32 v20, v13, v19
	;; [unrolled: 1-line block ×3, first 2 shown]
	v_add_f32_e32 v13, v17, v23
	s_waitcnt lgkmcnt(2)
	v_add_f32_e32 v16, v16, v18
	s_waitcnt lgkmcnt(1)
	;; [unrolled: 2-line block ×3, first 2 shown]
	v_add_f32_e32 v0, v0, v12
	ds_bpermute_b32 v18, v21, v16
	ds_bpermute_b32 v20, v21, v19
	;; [unrolled: 1-line block ×3, first 2 shown]
	v_add_f32_e32 v12, v14, v15
	s_waitcnt lgkmcnt(2)
	v_add_f32_e32 v14, v16, v18
	s_waitcnt lgkmcnt(1)
	;; [unrolled: 2-line block ×3, first 2 shown]
	v_add_f32_e32 v16, v0, v21
	s_cbranch_vccz .LBB33_14
; %bb.12:
	s_ashr_i32 s29, s28, 31
	s_lshl_b64 s[0:1], s[28:29], 2
	s_add_u32 s0, s16, s0
	s_addc_u32 s1, s17, s1
	v_mov_b32_e32 v0, 0
	global_load_dwordx2 v[23:24], v0, s[0:1]
	v_max_f32_e32 v0, v1, v1
	v_max_f32_e32 v17, v2, v2
	s_mov_b32 s6, 0x3fb8aa3b
	v_max_f32_e32 v18, v3, v3
	s_mov_b32 s1, 0xc2ce8ed0
	s_mov_b32 s0, 0x42b17218
	v_mov_b32_e32 v33, 0x7f800000
	s_waitcnt vmcnt(0)
	v_max_f32_e32 v31, v23, v23
	v_max_f32_e32 v25, v0, v31
	;; [unrolled: 1-line block ×3, first 2 shown]
	v_sub_f32_e32 v0, v1, v25
	v_max_f32_e32 v26, v17, v32
	v_sub_f32_e32 v1, v23, v25
	v_mul_f32_e32 v17, 0x3fb8aa3b, v0
	v_sub_f32_e32 v2, v2, v26
	v_mul_f32_e32 v20, 0x3fb8aa3b, v1
	v_fma_f32 v30, v0, s6, -v17
	v_rndne_f32_e32 v34, v17
	v_max_f32_e32 v27, v18, v31
	v_sub_f32_e32 v18, v24, v26
	v_mul_f32_e32 v21, 0x3fb8aa3b, v2
	v_fma_f32 v35, v1, s6, -v20
	v_rndne_f32_e32 v36, v20
	v_fmac_f32_e32 v30, 0x32a5705f, v0
	v_sub_f32_e32 v17, v17, v34
	v_mul_f32_e32 v22, 0x3fb8aa3b, v18
	v_fma_f32 v37, v2, s6, -v21
	v_rndne_f32_e32 v38, v21
	v_fmac_f32_e32 v35, 0x32a5705f, v1
	v_sub_f32_e32 v20, v20, v36
	v_add_f32_e32 v17, v17, v30
	v_fma_f32 v39, v18, s6, -v22
	v_rndne_f32_e32 v40, v22
	v_cvt_i32_f32_e32 v34, v34
	v_fmac_f32_e32 v37, 0x32a5705f, v2
	v_sub_f32_e32 v21, v21, v38
	v_add_f32_e32 v20, v20, v35
	v_exp_f32_e32 v17, v17
	v_cvt_i32_f32_e32 v36, v36
	v_fmac_f32_e32 v39, 0x32a5705f, v18
	v_sub_f32_e32 v22, v22, v40
	v_add_f32_e32 v21, v21, v37
	v_exp_f32_e32 v20, v20
	v_cvt_i32_f32_e32 v38, v38
	v_add_f32_e32 v22, v22, v39
	v_exp_f32_e32 v21, v21
	v_cvt_i32_f32_e32 v40, v40
	v_exp_f32_e32 v22, v22
	v_ldexp_f32 v17, v17, v34
	v_cmp_ngt_f32_e32 vcc, s1, v0
	v_ldexp_f32 v20, v20, v36
	v_cndmask_b32_e32 v17, 0, v17, vcc
	v_cmp_ngt_f32_e32 vcc, s1, v1
	v_sub_f32_e32 v3, v3, v27
	v_ldexp_f32 v21, v21, v38
	v_cndmask_b32_e32 v20, 0, v20, vcc
	v_cmp_ngt_f32_e32 vcc, s1, v2
	v_mul_f32_e32 v28, 0x3fb8aa3b, v3
	v_ldexp_f32 v22, v22, v40
	v_cndmask_b32_e32 v21, 0, v21, vcc
	v_cmp_ngt_f32_e32 vcc, s1, v18
	v_sub_f32_e32 v19, v23, v27
	v_fma_f32 v41, v3, s6, -v28
	v_rndne_f32_e32 v42, v28
	v_cndmask_b32_e32 v22, 0, v22, vcc
	v_cmp_nlt_f32_e32 vcc, s0, v0
	v_mul_f32_e32 v29, 0x3fb8aa3b, v19
	v_fmac_f32_e32 v41, 0x32a5705f, v3
	v_sub_f32_e32 v28, v28, v42
	v_cndmask_b32_e32 v0, v33, v17, vcc
	v_cmp_nlt_f32_e32 vcc, s0, v1
	v_fma_f32 v43, v19, s6, -v29
	v_rndne_f32_e32 v44, v29
	v_add_f32_e32 v28, v28, v41
	v_cndmask_b32_e32 v17, v33, v20, vcc
	v_cmp_nlt_f32_e32 vcc, s0, v2
	v_cvt_i32_f32_e32 v42, v42
	v_fmac_f32_e32 v43, 0x32a5705f, v19
	v_sub_f32_e32 v29, v29, v44
	v_exp_f32_e32 v28, v28
	v_cndmask_b32_e32 v1, v33, v21, vcc
	v_cvt_f16_f32_e32 v2, v0
	v_add_f32_e32 v29, v29, v43
	v_cvt_f16_f32_e32 v20, v1
	v_cvt_i32_f32_e32 v44, v44
	v_exp_f32_e32 v29, v29
	v_cmp_nlt_f32_e32 vcc, s0, v18
	v_ldexp_f32 v28, v28, v42
	v_cndmask_b32_e32 v18, v33, v22, vcc
	v_fmac_f32_e32 v17, v9, v0
	v_mul_u32_u24_e32 v0, 0x10001, v2
	v_cmp_ngt_f32_e32 vcc, s1, v3
	v_fmac_f32_e32 v18, v10, v1
	v_mul_u32_u24_e32 v1, 0x10001, v20
	v_pk_mul_f16 v98, v98, v0
	v_pk_mul_f16 v99, v99, v0
	v_cndmask_b32_e32 v0, 0, v28, vcc
	v_cmp_nlt_f32_e32 vcc, s0, v3
	v_pk_mul_f16 v96, v96, v1
	v_pk_mul_f16 v97, v97, v1
	v_cndmask_b32_e32 v0, v33, v0, vcc
	v_ldexp_f32 v1, v29, v44
	v_cmp_ngt_f32_e32 vcc, s1, v19
	v_cndmask_b32_e32 v1, 0, v1, vcc
	v_cmp_nlt_f32_e32 vcc, s0, v19
	v_cndmask_b32_e32 v19, v33, v1, vcc
	v_max_f32_e32 v1, v4, v4
	v_max_f32_e32 v28, v1, v32
	v_sub_f32_e32 v1, v4, v28
	v_mul_f32_e32 v2, 0x3fb8aa3b, v1
	v_fma_f32 v3, v1, s6, -v2
	v_rndne_f32_e32 v4, v2
	v_fmac_f32_e32 v3, 0x32a5705f, v1
	v_sub_f32_e32 v2, v2, v4
	v_fmac_f32_e32 v19, v11, v0
	v_cvt_f16_f32_e32 v0, v0
	v_add_f32_e32 v2, v2, v3
	v_exp_f32_e32 v2, v2
	v_cvt_i32_f32_e32 v3, v4
	v_mul_u32_u24_e32 v0, 0x10001, v0
	v_pk_mul_f16 v94, v94, v0
	v_pk_mul_f16 v95, v95, v0
	v_ldexp_f32 v0, v2, v3
	v_sub_f32_e32 v2, v24, v28
	v_mul_f32_e32 v3, 0x3fb8aa3b, v2
	v_fma_f32 v4, v2, s6, -v3
	v_rndne_f32_e32 v9, v3
	v_fmac_f32_e32 v4, 0x32a5705f, v2
	v_sub_f32_e32 v3, v3, v9
	v_add_f32_e32 v3, v3, v4
	v_exp_f32_e32 v3, v3
	v_cvt_i32_f32_e32 v4, v9
	v_cmp_ngt_f32_e32 vcc, s1, v1
	v_cndmask_b32_e32 v0, 0, v0, vcc
	v_cmp_nlt_f32_e32 vcc, s0, v1
	v_cndmask_b32_e32 v0, v33, v0, vcc
	v_ldexp_f32 v1, v3, v4
	v_cmp_ngt_f32_e32 vcc, s1, v2
	v_cndmask_b32_e32 v1, 0, v1, vcc
	v_cmp_nlt_f32_e32 vcc, s0, v2
	v_cndmask_b32_e32 v20, v33, v1, vcc
	v_max_f32_e32 v1, v5, v5
	v_max_f32_e32 v29, v1, v31
	v_sub_f32_e32 v1, v5, v29
	v_mul_f32_e32 v2, 0x3fb8aa3b, v1
	v_fma_f32 v3, v1, s6, -v2
	v_rndne_f32_e32 v4, v2
	v_fmac_f32_e32 v3, 0x32a5705f, v1
	v_sub_f32_e32 v2, v2, v4
	v_fmac_f32_e32 v20, v12, v0
	v_cvt_f16_f32_e32 v0, v0
	v_add_f32_e32 v2, v2, v3
	v_exp_f32_e32 v2, v2
	v_cvt_i32_f32_e32 v3, v4
	v_mul_u32_u24_e32 v0, 0x10001, v0
	v_pk_mul_f16 v92, v92, v0
	v_pk_mul_f16 v93, v93, v0
	v_ldexp_f32 v0, v2, v3
	v_sub_f32_e32 v2, v23, v29
	v_mul_f32_e32 v3, 0x3fb8aa3b, v2
	v_fma_f32 v4, v2, s6, -v3
	v_rndne_f32_e32 v5, v3
	v_fmac_f32_e32 v4, 0x32a5705f, v2
	v_sub_f32_e32 v3, v3, v5
	v_add_f32_e32 v3, v3, v4
	v_exp_f32_e32 v3, v3
	v_cvt_i32_f32_e32 v4, v5
	v_cmp_ngt_f32_e32 vcc, s1, v1
	v_cndmask_b32_e32 v0, 0, v0, vcc
	v_cmp_nlt_f32_e32 vcc, s0, v1
	;; [unrolled: 35-line block ×5, first 2 shown]
	v_cndmask_b32_e32 v0, v33, v0, vcc
	v_ldexp_f32 v1, v3, v4
	v_cvt_f16_f32_e32 v3, v0
	v_cmp_ngt_f32_e32 vcc, s1, v2
	v_cndmask_b32_e32 v1, 0, v1, vcc
	v_cmp_nlt_f32_e32 vcc, s0, v2
	v_cndmask_b32_e32 v24, v33, v1, vcc
	v_fmac_f32_e32 v24, v16, v0
	v_mul_u32_u24_e32 v0, 0x10001, v3
	v_mov_b32_e32 v1, v25
	v_pk_mul_f16 v55, v55, v0
	v_pk_mul_f16 v57, v57, v0
	v_mov_b32_e32 v2, v26
	v_mov_b32_e32 v3, v27
	;; [unrolled: 1-line block ×15, first 2 shown]
	v_cmp_gt_i32_e32 vcc, s2, v67
	s_and_saveexec_b64 s[0:1], vcc
	s_cbranch_execnz .LBB33_15
.LBB33_13:
	s_endpgm
.LBB33_14:
	v_mov_b32_e32 v24, v16
	v_mov_b32_e32 v23, v15
	v_mov_b32_e32 v22, v14
	v_mov_b32_e32 v21, v13
	v_mov_b32_e32 v20, v12
	v_mov_b32_e32 v19, v11
	v_mov_b32_e32 v18, v10
	v_mov_b32_e32 v17, v9
	s_waitcnt vmcnt(0)
	v_cmp_gt_i32_e32 vcc, s2, v67
	s_and_saveexec_b64 s[0:1], vcc
	s_cbranch_execz .LBB33_13
.LBB33_15:
	s_load_dword s6, s[4:5], 0xd4
	v_mov_b32_e32 v26, 1.0
	s_waitcnt lgkmcnt(0)
	s_cmp_lg_u32 s6, 1
	s_cselect_b64 s[4:5], -1, 0
	s_cmp_eq_u32 s6, 1
	s_cselect_b64 s[8:9], -1, 0
	s_and_b64 vcc, exec, s[4:5]
	s_cbranch_vccnz .LBB33_17
; %bb.16:
	v_div_scale_f32 v0, s[0:1], v9, v9, 1.0
	v_div_scale_f32 v25, vcc, 1.0, v9, 1.0
	v_rcp_f32_e32 v26, v0
	v_fma_f32 v27, -v0, v26, 1.0
	v_fmac_f32_e32 v26, v27, v26
	v_mul_f32_e32 v27, v25, v26
	v_fma_f32 v28, -v0, v27, v25
	v_fmac_f32_e32 v27, v28, v26
	v_fma_f32 v0, -v0, v27, v25
	v_div_fmas_f32 v0, v0, v26, v27
	v_div_fixup_f32 v26, v0, v9, 1.0
.LBB33_17:
	s_mul_i32 s10, s33, s2
	s_add_i32 s10, s10, s14
	v_add_u32_e32 v0, s10, v65
	v_mul_lo_u32 v9, v0, s3
	v_cvt_f32_f16_e32 v0, v98
	v_mov_b32_e32 v32, 0
	v_cvt_f32_f16_sdwa v28, v98 dst_sel:DWORD dst_unused:UNUSED_PAD src0_sel:WORD_1
	v_add_u32_e32 v25, s28, v9
	v_mul_lo_u32 v25, s6, v25
	v_cvt_f32_f16_e32 v29, v99
	v_cvt_f32_f16_sdwa v30, v99 dst_sel:DWORD dst_unused:UNUSED_PAD src0_sel:WORD_1
	v_cmp_eq_u32_e32 vcc, 0, v62
	v_add_u32_e32 v25, s7, v25
	v_lshl_add_u32 v31, v25, 7, v53
	v_lshlrev_b64 v[31:32], 2, v[31:32]
	v_mul_f32_e32 v27, v26, v0
	v_mov_b32_e32 v0, s21
	v_add_co_u32_e64 v31, s[0:1], s20, v31
	v_mul_f32_e32 v28, v26, v28
	v_mul_f32_e32 v29, v26, v29
	;; [unrolled: 1-line block ×3, first 2 shown]
	v_addc_co_u32_e64 v32, s[0:1], v0, v32, s[0:1]
	s_and_b64 s[4:5], vcc, s[4:5]
	global_store_dwordx4 v[31:32], v[27:30], off
	s_and_saveexec_b64 s[0:1], s[4:5]
	s_cbranch_execz .LBB33_19
; %bb.18:
	v_ashrrev_i32_e32 v26, 31, v25
	v_lshlrev_b64 v[25:26], 3, v[25:26]
	v_mov_b32_e32 v0, s23
	v_add_co_u32_e32 v25, vcc, s22, v25
	v_addc_co_u32_e32 v26, vcc, v0, v26, vcc
	v_mov_b32_e32 v0, v1
	v_mov_b32_e32 v1, v17
	global_store_dwordx2 v[25:26], v[0:1], off
.LBB33_19:
	s_or_b64 exec, exec, s[0:1]
	v_cndmask_b32_e64 v0, 0, 1, s[8:9]
	v_cmp_ne_u32_e64 s[0:1], 1, v0
	s_andn2_b64 vcc, exec, s[8:9]
	v_mov_b32_e32 v1, 1.0
	s_cbranch_vccnz .LBB33_21
; %bb.20:
	v_div_scale_f32 v0, s[8:9], v10, v10, 1.0
	v_div_scale_f32 v1, vcc, 1.0, v10, 1.0
	v_rcp_f32_e32 v17, v0
	v_fma_f32 v25, -v0, v17, 1.0
	v_fmac_f32_e32 v17, v25, v17
	v_mul_f32_e32 v25, v1, v17
	v_fma_f32 v26, -v0, v25, v1
	v_fmac_f32_e32 v25, v26, v17
	v_fma_f32 v0, -v0, v25, v1
	v_div_fmas_f32 v0, v0, v17, v25
	v_div_fixup_f32 v1, v0, v10, 1.0
.LBB33_21:
	s_add_i32 s11, s28, 1
	v_add_u32_e32 v0, s11, v9
	v_mul_lo_u32 v0, s6, v0
	v_cvt_f32_f16_e32 v17, v96
	v_cvt_f32_f16_sdwa v26, v96 dst_sel:DWORD dst_unused:UNUSED_PAD src0_sel:WORD_1
	v_cvt_f32_f16_e32 v27, v97
	v_add_u32_e32 v0, s7, v0
	v_cvt_f32_f16_sdwa v28, v97 dst_sel:DWORD dst_unused:UNUSED_PAD src0_sel:WORD_1
	v_mov_b32_e32 v10, 0
	v_lshl_add_u32 v9, v0, 7, v53
	v_lshlrev_b64 v[9:10], 2, v[9:10]
	v_mul_f32_e32 v25, v1, v17
	v_mul_f32_e32 v26, v1, v26
	;; [unrolled: 1-line block ×4, first 2 shown]
	v_mov_b32_e32 v1, s21
	v_add_co_u32_e32 v9, vcc, s20, v9
	v_addc_co_u32_e32 v10, vcc, v1, v10, vcc
	global_store_dwordx4 v[9:10], v[25:28], off
	s_and_saveexec_b64 s[8:9], s[4:5]
	s_cbranch_execz .LBB33_23
; %bb.22:
	v_ashrrev_i32_e32 v1, 31, v0
	v_lshlrev_b64 v[0:1], 3, v[0:1]
	v_mov_b32_e32 v9, s23
	v_add_co_u32_e32 v0, vcc, s22, v0
	v_addc_co_u32_e32 v1, vcc, v9, v1, vcc
	v_mov_b32_e32 v17, v2
	global_store_dwordx2 v[0:1], v[17:18], off
.LBB33_23:
	s_or_b64 exec, exec, s[8:9]
	v_cmp_gt_i32_e32 vcc, s2, v66
	s_and_b64 exec, exec, vcc
	s_cbranch_execz .LBB33_13
; %bb.24:
	s_and_b64 vcc, exec, s[0:1]
	v_mov_b32_e32 v1, 1.0
	s_cbranch_vccnz .LBB33_26
; %bb.25:
	v_div_scale_f32 v0, s[8:9], v11, v11, 1.0
	v_div_scale_f32 v1, vcc, 1.0, v11, 1.0
	v_rcp_f32_e32 v2, v0
	v_fma_f32 v9, -v0, v2, 1.0
	v_fmac_f32_e32 v2, v9, v2
	v_mul_f32_e32 v9, v1, v2
	v_fma_f32 v10, -v0, v9, v1
	v_fmac_f32_e32 v9, v10, v2
	v_fma_f32 v0, -v0, v9, v1
	v_div_fmas_f32 v0, v0, v2, v9
	v_div_fixup_f32 v1, v0, v11, 1.0
.LBB33_26:
	v_add_u32_e32 v0, s10, v64
	v_mul_lo_u32 v0, v0, s3
	v_cvt_f32_f16_e32 v2, v94
	v_cvt_f32_f16_sdwa v11, v94 dst_sel:DWORD dst_unused:UNUSED_PAD src0_sel:WORD_1
	v_cvt_f32_f16_e32 v17, v95
	v_add_u32_e32 v0, s28, v0
	v_mul_lo_u32 v0, s6, v0
	v_cvt_f32_f16_sdwa v18, v95 dst_sel:DWORD dst_unused:UNUSED_PAD src0_sel:WORD_1
	v_mov_b32_e32 v10, 0
	v_mul_f32_e32 v25, v1, v2
	v_add_u32_e32 v0, s7, v0
	v_lshl_add_u32 v9, v0, 7, v53
	v_mul_f32_e32 v26, v1, v11
	v_mul_f32_e32 v27, v1, v17
	v_mul_f32_e32 v28, v1, v18
	v_lshlrev_b64 v[1:2], 2, v[9:10]
	v_mov_b32_e32 v9, s21
	v_add_co_u32_e32 v1, vcc, s20, v1
	v_addc_co_u32_e32 v2, vcc, v9, v2, vcc
	global_store_dwordx4 v[1:2], v[25:28], off
	s_and_saveexec_b64 s[8:9], s[4:5]
	s_cbranch_execz .LBB33_28
; %bb.27:
	v_ashrrev_i32_e32 v1, 31, v0
	v_lshlrev_b64 v[0:1], 3, v[0:1]
	v_mov_b32_e32 v2, s23
	v_add_co_u32_e32 v0, vcc, s22, v0
	v_addc_co_u32_e32 v1, vcc, v2, v1, vcc
	v_mov_b32_e32 v18, v3
	global_store_dwordx2 v[0:1], v[18:19], off
.LBB33_28:
	s_or_b64 exec, exec, s[8:9]
	v_cmp_gt_i32_e32 vcc, s2, v63
	s_and_b64 exec, exec, vcc
	s_cbranch_execz .LBB33_13
; %bb.29:
	s_and_b64 vcc, exec, s[0:1]
	v_mov_b32_e32 v1, 1.0
	s_cbranch_vccnz .LBB33_31
; %bb.30:
	v_div_scale_f32 v0, s[8:9], v12, v12, 1.0
	v_div_scale_f32 v1, vcc, 1.0, v12, 1.0
	v_rcp_f32_e32 v2, v0
	v_fma_f32 v3, -v0, v2, 1.0
	v_fmac_f32_e32 v2, v3, v2
	v_mul_f32_e32 v3, v1, v2
	v_fma_f32 v9, -v0, v3, v1
	v_fmac_f32_e32 v3, v9, v2
	v_fma_f32 v0, -v0, v3, v1
	v_div_fmas_f32 v0, v0, v2, v3
	v_div_fixup_f32 v1, v0, v12, 1.0
.LBB33_31:
	v_add_u32_e32 v0, s10, v54
	v_mul_lo_u32 v0, v0, s3
	v_cvt_f32_f16_e32 v2, v92
	v_cvt_f32_f16_sdwa v10, v92 dst_sel:DWORD dst_unused:UNUSED_PAD src0_sel:WORD_1
	v_cvt_f32_f16_e32 v11, v93
	v_add_u32_e32 v0, s11, v0
	v_mul_lo_u32 v0, s6, v0
	v_cvt_f32_f16_sdwa v12, v93 dst_sel:DWORD dst_unused:UNUSED_PAD src0_sel:WORD_1
	v_mov_b32_e32 v3, 0
	v_mul_f32_e32 v9, v1, v2
	v_add_u32_e32 v0, s7, v0
	v_lshl_add_u32 v2, v0, 7, v53
	v_mul_f32_e32 v10, v1, v10
	v_mul_f32_e32 v11, v1, v11
	v_mul_f32_e32 v12, v1, v12
	v_lshlrev_b64 v[1:2], 2, v[2:3]
	;; [unrolled: 52-line block ×3, first 2 shown]
	v_mov_b32_e32 v3, s21
	v_add_co_u32_e32 v1, vcc, s20, v1
	v_addc_co_u32_e32 v2, vcc, v3, v2, vcc
	global_store_dwordx4 v[1:2], v[9:12], off
	s_and_saveexec_b64 s[8:9], s[4:5]
	s_cbranch_execz .LBB33_38
; %bb.37:
	v_ashrrev_i32_e32 v1, 31, v0
	v_lshlrev_b64 v[0:1], 3, v[0:1]
	v_mov_b32_e32 v2, s23
	v_add_co_u32_e32 v0, vcc, s22, v0
	v_addc_co_u32_e32 v1, vcc, v2, v1, vcc
	v_mov_b32_e32 v20, v5
	global_store_dwordx2 v[0:1], v[20:21], off
.LBB33_38:
	s_or_b64 exec, exec, s[8:9]
	v_cmp_gt_i32_e32 vcc, s2, v51
	s_and_b64 exec, exec, vcc
	s_cbranch_execz .LBB33_13
; %bb.39:
	s_and_b64 vcc, exec, s[0:1]
	v_mov_b32_e32 v1, 1.0
	s_cbranch_vccnz .LBB33_41
; %bb.40:
	v_div_scale_f32 v0, s[8:9], v14, v14, 1.0
	v_div_scale_f32 v1, vcc, 1.0, v14, 1.0
	v_rcp_f32_e32 v2, v0
	v_fma_f32 v3, -v0, v2, 1.0
	v_fmac_f32_e32 v2, v3, v2
	v_mul_f32_e32 v3, v1, v2
	v_fma_f32 v4, -v0, v3, v1
	v_fmac_f32_e32 v3, v4, v2
	v_fma_f32 v0, -v0, v3, v1
	v_div_fmas_f32 v0, v0, v2, v3
	v_div_fixup_f32 v1, v0, v14, 1.0
.LBB33_41:
	v_add_u32_e32 v0, s10, v50
	v_mul_lo_u32 v0, v0, s3
	v_cvt_f32_f16_e32 v2, v88
	v_cvt_f32_f16_sdwa v3, v88 dst_sel:DWORD dst_unused:UNUSED_PAD src0_sel:WORD_1
	v_cvt_f32_f16_e32 v4, v89
	v_add_u32_e32 v0, s11, v0
	v_mul_lo_u32 v0, s6, v0
	v_cvt_f32_f16_sdwa v5, v89 dst_sel:DWORD dst_unused:UNUSED_PAD src0_sel:WORD_1
	v_mov_b32_e32 v10, 0
	v_mul_f32_e32 v2, v1, v2
	v_add_u32_e32 v0, s7, v0
	v_lshl_add_u32 v9, v0, 7, v53
	v_lshlrev_b64 v[9:10], 2, v[9:10]
	v_mul_f32_e32 v3, v1, v3
	v_mul_f32_e32 v4, v1, v4
	v_mul_f32_e32 v5, v1, v5
	v_mov_b32_e32 v1, s21
	v_add_co_u32_e32 v9, vcc, s20, v9
	v_addc_co_u32_e32 v10, vcc, v1, v10, vcc
	global_store_dwordx4 v[9:10], v[2:5], off
	s_and_saveexec_b64 s[8:9], s[4:5]
	s_cbranch_execz .LBB33_43
; %bb.42:
	v_ashrrev_i32_e32 v1, 31, v0
	v_lshlrev_b64 v[0:1], 3, v[0:1]
	v_mov_b32_e32 v2, s23
	v_add_co_u32_e32 v0, vcc, s22, v0
	v_addc_co_u32_e32 v1, vcc, v2, v1, vcc
	v_mov_b32_e32 v21, v6
	global_store_dwordx2 v[0:1], v[21:22], off
.LBB33_43:
	s_or_b64 exec, exec, s[8:9]
	v_cmp_gt_i32_e32 vcc, s2, v48
	s_and_b64 exec, exec, vcc
	s_cbranch_execz .LBB33_13
; %bb.44:
	s_and_b64 vcc, exec, s[0:1]
	v_mov_b32_e32 v1, 1.0
	s_cbranch_vccnz .LBB33_46
; %bb.45:
	v_div_scale_f32 v0, s[8:9], v15, v15, 1.0
	v_div_scale_f32 v1, vcc, 1.0, v15, 1.0
	v_rcp_f32_e32 v2, v0
	v_fma_f32 v3, -v0, v2, 1.0
	v_fmac_f32_e32 v2, v3, v2
	v_mul_f32_e32 v3, v1, v2
	v_fma_f32 v4, -v0, v3, v1
	v_fmac_f32_e32 v3, v4, v2
	v_fma_f32 v0, -v0, v3, v1
	v_div_fmas_f32 v0, v0, v2, v3
	v_div_fixup_f32 v1, v0, v15, 1.0
.LBB33_46:
	v_add_u32_e32 v0, s10, v47
	v_mul_lo_u32 v0, v0, s3
	v_cvt_f32_f16_e32 v2, v86
	v_cvt_f32_f16_sdwa v3, v86 dst_sel:DWORD dst_unused:UNUSED_PAD src0_sel:WORD_1
	v_cvt_f32_f16_e32 v4, v87
	v_add_u32_e32 v0, s28, v0
	v_mul_lo_u32 v0, s6, v0
	v_cvt_f32_f16_sdwa v5, v87 dst_sel:DWORD dst_unused:UNUSED_PAD src0_sel:WORD_1
	v_mov_b32_e32 v10, 0
	v_mul_f32_e32 v2, v1, v2
	v_add_u32_e32 v0, s7, v0
	v_lshl_add_u32 v9, v0, 7, v53
	v_lshlrev_b64 v[9:10], 2, v[9:10]
	v_mul_f32_e32 v3, v1, v3
	v_mul_f32_e32 v4, v1, v4
	v_mul_f32_e32 v5, v1, v5
	;; [unrolled: 52-line block ×3, first 2 shown]
	v_mov_b32_e32 v1, s21
	v_add_co_u32_e32 v6, vcc, s20, v6
	v_addc_co_u32_e32 v7, vcc, v1, v7, vcc
	global_store_dwordx4 v[6:7], v[2:5], off
	s_and_b64 exec, exec, s[4:5]
	s_cbranch_execz .LBB33_13
; %bb.52:
	v_ashrrev_i32_e32 v1, 31, v0
	v_lshlrev_b64 v[0:1], 3, v[0:1]
	v_mov_b32_e32 v2, s23
	v_add_co_u32_e32 v0, vcc, s22, v0
	v_addc_co_u32_e32 v1, vcc, v2, v1, vcc
	v_mov_b32_e32 v23, v8
	global_store_dwordx2 v[0:1], v[23:24], off
	s_endpgm
	.section	.rodata,"a",@progbits
	.p2align	6, 0x0
	.amdhsa_kernel _ZL15flash_attn_tileILi128ELi128ELi32ELi2ELb0EEvPKcS1_S1_S1_S1_PKiPfP15HIP_vector_typeIfLj2EEffffjfiS5_IjLj3EEiiiiiiiiiiiliiliiiiil
		.amdhsa_group_segment_fixed_size 29696
		.amdhsa_private_segment_fixed_size 92
		.amdhsa_kernarg_size 464
		.amdhsa_user_sgpr_count 6
		.amdhsa_user_sgpr_private_segment_buffer 1
		.amdhsa_user_sgpr_dispatch_ptr 0
		.amdhsa_user_sgpr_queue_ptr 0
		.amdhsa_user_sgpr_kernarg_segment_ptr 1
		.amdhsa_user_sgpr_dispatch_id 0
		.amdhsa_user_sgpr_flat_scratch_init 0
		.amdhsa_user_sgpr_private_segment_size 0
		.amdhsa_uses_dynamic_stack 0
		.amdhsa_system_sgpr_private_segment_wavefront_offset 1
		.amdhsa_system_sgpr_workgroup_id_x 1
		.amdhsa_system_sgpr_workgroup_id_y 1
		.amdhsa_system_sgpr_workgroup_id_z 1
		.amdhsa_system_sgpr_workgroup_info 0
		.amdhsa_system_vgpr_workitem_id 1
		.amdhsa_next_free_vgpr 128
		.amdhsa_next_free_sgpr 98
		.amdhsa_reserve_vcc 1
		.amdhsa_reserve_flat_scratch 0
		.amdhsa_float_round_mode_32 0
		.amdhsa_float_round_mode_16_64 0
		.amdhsa_float_denorm_mode_32 3
		.amdhsa_float_denorm_mode_16_64 3
		.amdhsa_dx10_clamp 1
		.amdhsa_ieee_mode 1
		.amdhsa_fp16_overflow 0
		.amdhsa_exception_fp_ieee_invalid_op 0
		.amdhsa_exception_fp_denorm_src 0
		.amdhsa_exception_fp_ieee_div_zero 0
		.amdhsa_exception_fp_ieee_overflow 0
		.amdhsa_exception_fp_ieee_underflow 0
		.amdhsa_exception_fp_ieee_inexact 0
		.amdhsa_exception_int_div_zero 0
	.end_amdhsa_kernel
	.section	.text._ZL15flash_attn_tileILi128ELi128ELi32ELi2ELb0EEvPKcS1_S1_S1_S1_PKiPfP15HIP_vector_typeIfLj2EEffffjfiS5_IjLj3EEiiiiiiiiiiiliiliiiiil,"axG",@progbits,_ZL15flash_attn_tileILi128ELi128ELi32ELi2ELb0EEvPKcS1_S1_S1_S1_PKiPfP15HIP_vector_typeIfLj2EEffffjfiS5_IjLj3EEiiiiiiiiiiiliiliiiiil,comdat
.Lfunc_end33:
	.size	_ZL15flash_attn_tileILi128ELi128ELi32ELi2ELb0EEvPKcS1_S1_S1_S1_PKiPfP15HIP_vector_typeIfLj2EEffffjfiS5_IjLj3EEiiiiiiiiiiiliiliiiiil, .Lfunc_end33-_ZL15flash_attn_tileILi128ELi128ELi32ELi2ELb0EEvPKcS1_S1_S1_S1_PKiPfP15HIP_vector_typeIfLj2EEffffjfiS5_IjLj3EEiiiiiiiiiiiliiliiiiil
                                        ; -- End function
	.set _ZL15flash_attn_tileILi128ELi128ELi32ELi2ELb0EEvPKcS1_S1_S1_S1_PKiPfP15HIP_vector_typeIfLj2EEffffjfiS5_IjLj3EEiiiiiiiiiiiliiliiiiil.num_vgpr, 128
	.set _ZL15flash_attn_tileILi128ELi128ELi32ELi2ELb0EEvPKcS1_S1_S1_S1_PKiPfP15HIP_vector_typeIfLj2EEffffjfiS5_IjLj3EEiiiiiiiiiiiliiliiiiil.num_agpr, 0
	.set _ZL15flash_attn_tileILi128ELi128ELi32ELi2ELb0EEvPKcS1_S1_S1_S1_PKiPfP15HIP_vector_typeIfLj2EEffffjfiS5_IjLj3EEiiiiiiiiiiiliiliiiiil.numbered_sgpr, 48
	.set _ZL15flash_attn_tileILi128ELi128ELi32ELi2ELb0EEvPKcS1_S1_S1_S1_PKiPfP15HIP_vector_typeIfLj2EEffffjfiS5_IjLj3EEiiiiiiiiiiiliiliiiiil.num_named_barrier, 0
	.set _ZL15flash_attn_tileILi128ELi128ELi32ELi2ELb0EEvPKcS1_S1_S1_S1_PKiPfP15HIP_vector_typeIfLj2EEffffjfiS5_IjLj3EEiiiiiiiiiiiliiliiiiil.private_seg_size, 92
	.set _ZL15flash_attn_tileILi128ELi128ELi32ELi2ELb0EEvPKcS1_S1_S1_S1_PKiPfP15HIP_vector_typeIfLj2EEffffjfiS5_IjLj3EEiiiiiiiiiiiliiliiiiil.uses_vcc, 1
	.set _ZL15flash_attn_tileILi128ELi128ELi32ELi2ELb0EEvPKcS1_S1_S1_S1_PKiPfP15HIP_vector_typeIfLj2EEffffjfiS5_IjLj3EEiiiiiiiiiiiliiliiiiil.uses_flat_scratch, 0
	.set _ZL15flash_attn_tileILi128ELi128ELi32ELi2ELb0EEvPKcS1_S1_S1_S1_PKiPfP15HIP_vector_typeIfLj2EEffffjfiS5_IjLj3EEiiiiiiiiiiiliiliiiiil.has_dyn_sized_stack, 0
	.set _ZL15flash_attn_tileILi128ELi128ELi32ELi2ELb0EEvPKcS1_S1_S1_S1_PKiPfP15HIP_vector_typeIfLj2EEffffjfiS5_IjLj3EEiiiiiiiiiiiliiliiiiil.has_recursion, 0
	.set _ZL15flash_attn_tileILi128ELi128ELi32ELi2ELb0EEvPKcS1_S1_S1_S1_PKiPfP15HIP_vector_typeIfLj2EEffffjfiS5_IjLj3EEiiiiiiiiiiiliiliiiiil.has_indirect_call, 0
	.section	.AMDGPU.csdata,"",@progbits
; Kernel info:
; codeLenInByte = 35348
; TotalNumSgprs: 52
; NumVgprs: 128
; ScratchSize: 92
; MemoryBound: 0
; FloatMode: 240
; IeeeMode: 1
; LDSByteSize: 29696 bytes/workgroup (compile time only)
; SGPRBlocks: 12
; VGPRBlocks: 31
; NumSGPRsForWavesPerEU: 102
; NumVGPRsForWavesPerEU: 128
; Occupancy: 2
; WaveLimiterHint : 1
; COMPUTE_PGM_RSRC2:SCRATCH_EN: 1
; COMPUTE_PGM_RSRC2:USER_SGPR: 6
; COMPUTE_PGM_RSRC2:TRAP_HANDLER: 0
; COMPUTE_PGM_RSRC2:TGID_X_EN: 1
; COMPUTE_PGM_RSRC2:TGID_Y_EN: 1
; COMPUTE_PGM_RSRC2:TGID_Z_EN: 1
; COMPUTE_PGM_RSRC2:TIDIG_COMP_CNT: 1
	.section	.text._ZL25flash_attn_mask_to_KV_maxILi32EEvPK7__half2Piiii,"axG",@progbits,_ZL25flash_attn_mask_to_KV_maxILi32EEvPK7__half2Piiii,comdat
	.globl	_ZL25flash_attn_mask_to_KV_maxILi32EEvPK7__half2Piiii ; -- Begin function _ZL25flash_attn_mask_to_KV_maxILi32EEvPK7__half2Piiii
	.p2align	8
	.type	_ZL25flash_attn_mask_to_KV_maxILi32EEvPK7__half2Piiii,@function
_ZL25flash_attn_mask_to_KV_maxILi32EEvPK7__half2Piiii: ; @_ZL25flash_attn_mask_to_KV_maxILi32EEvPK7__half2Piiii
; %bb.0:
	s_load_dwordx4 s[8:11], s[4:5], 0x0
	v_cmp_gt_u32_e32 vcc, 32, v0
	s_and_saveexec_b64 s[0:1], vcc
; %bb.1:
	v_lshlrev_b32_e32 v1, 2, v0
	v_mov_b32_e32 v2, 1
	ds_write_b32 v1, v2
; %bb.2:
	s_or_b64 exec, exec, s[0:1]
	s_load_dwordx4 s[12:15], s[4:5], 0x10
	s_load_dword s33, s[4:5], 0x20
	v_and_b32_e32 v1, 31, v0
	v_lshlrev_b32_e32 v6, 2, v1
	v_lshrrev_b32_e32 v5, 3, v0
	s_waitcnt lgkmcnt(0)
	s_mul_i32 s1, s6, s13
	s_mul_i32 s0, s14, s7
	s_lshl_b32 s1, s1, 5
	s_add_i32 s0, s0, s1
	s_ashr_i32 s1, s0, 31
	s_lshl_b64 s[0:1], s[0:1], 2
	s_add_u32 s94, s8, s0
	s_addc_u32 s95, s9, s1
	v_cmp_eq_u32_e64 s[0:1], 0, v1
	v_mbcnt_lo_u32_b32 v1, -1, 0
	s_lshl_b32 s12, s12, 8
	s_mov_b64 s[4:5], 0
	v_mov_b32_e32 v2, 0
	s_movk_i32 s92, 0x204
	v_mbcnt_hi_u32_b32 v7, -1, v1
	s_barrier
                                        ; implicit-def: $sgpr2_sgpr3
	s_branch .LBB34_5
.LBB34_3:                               ;   in Loop: Header=BB34_5 Depth=1
	s_or_b64 exec, exec, s[8:9]
	s_waitcnt lgkmcnt(0)
	s_barrier
	ds_read_b32 v10, v6
	s_waitcnt lgkmcnt(0)
	s_barrier
	ds_bpermute_b32 v1, v1, v10
	v_cmp_ne_u32_e32 vcc, 0, v10
	s_waitcnt lgkmcnt(0)
	v_cmp_ne_u32_e64 s[2:3], 0, v1
	s_and_b64 s[2:3], vcc, s[2:3]
	v_cndmask_b32_e64 v1, 0, 1, s[2:3]
	ds_bpermute_b32 v1, v3, v1
	s_waitcnt lgkmcnt(0)
	v_cmp_ne_u32_e32 vcc, 0, v1
	s_and_b64 s[2:3], vcc, s[2:3]
	v_cndmask_b32_e64 v1, 0, 1, s[2:3]
	ds_bpermute_b32 v1, v4, v1
	s_waitcnt lgkmcnt(0)
	v_cmp_ne_u32_e32 vcc, 0, v1
	;; [unrolled: 5-line block ×3, first 2 shown]
	s_and_b64 s[2:3], vcc, s[2:3]
	v_cndmask_b32_e64 v1, 0, 1, s[2:3]
	ds_bpermute_b32 v1, v9, v1
	s_xor_b64 s[2:3], s[2:3], -1
	s_waitcnt lgkmcnt(0)
	v_cmp_eq_u32_e32 vcc, 0, v1
	s_or_b64 s[2:3], vcc, s[2:3]
.LBB34_4:                               ;   in Loop: Header=BB34_5 Depth=1
	s_and_b64 s[8:9], exec, s[2:3]
	s_or_b64 s[4:5], s[8:9], s[4:5]
	v_mov_b32_e32 v1, s12
	s_mov_b32 s12, s93
	s_andn2_b64 exec, exec, s[4:5]
	s_cbranch_execz .LBB34_132
.LBB34_5:                               ; =>This Inner Loop Header: Depth=1
	s_add_i32 s93, s12, 0xffffff00
	s_or_b64 s[2:3], s[2:3], exec
	s_cmp_lt_i32 s93, 0
	s_cbranch_scc1 .LBB34_4
; %bb.6:                                ;   in Loop: Header=BB34_5 Depth=1
	s_lshr_b32 s2, s93, 1
	v_add_u32_e32 v1, s2, v0
	v_lshlrev_b64 v[3:4], 2, v[1:2]
	v_mov_b32_e32 v8, s95
	v_add_co_u32_e32 v3, vcc, s94, v3
	v_addc_co_u32_e32 v4, vcc, v8, v4, vcc
	global_load_dword v3, v[3:4], off
	v_mov_b32_e32 v4, 0
	s_waitcnt vmcnt(0)
	v_cmp_class_f16_e64 s[2:3], v3, s92
	v_cmp_class_f16_sdwa s[8:9], v3, s92 src0_sel:WORD_1 src1_sel:DWORD
	s_and_b64 s[8:9], s[2:3], s[8:9]
	s_and_saveexec_b64 s[2:3], s[8:9]
	s_cbranch_execz .LBB34_130
; %bb.7:                                ;   in Loop: Header=BB34_5 Depth=1
	v_add_u32_e32 v3, s13, v1
	v_ashrrev_i32_e32 v4, 31, v3
	v_lshlrev_b64 v[8:9], 2, v[3:4]
	v_mov_b32_e32 v1, s95
	v_add_co_u32_e32 v8, vcc, s94, v8
	v_addc_co_u32_e32 v9, vcc, v1, v9, vcc
	global_load_dword v1, v[8:9], off
	v_mov_b32_e32 v4, 0
	s_waitcnt vmcnt(0)
	v_cmp_class_f16_e64 s[14:15], v1, s92
	s_and_saveexec_b64 s[8:9], s[14:15]
	s_cbranch_execz .LBB34_129
; %bb.8:                                ;   in Loop: Header=BB34_5 Depth=1
	v_cmp_class_f16_sdwa s[16:17], v1, s92 src0_sel:WORD_1 src1_sel:DWORD
	v_mov_b32_e32 v4, 0
	s_and_saveexec_b64 s[14:15], s[16:17]
	s_cbranch_execz .LBB34_128
; %bb.9:                                ;   in Loop: Header=BB34_5 Depth=1
	v_add_u32_e32 v3, s13, v3
	v_ashrrev_i32_e32 v4, 31, v3
	v_lshlrev_b64 v[8:9], 2, v[3:4]
	v_mov_b32_e32 v1, s95
	v_add_co_u32_e32 v8, vcc, s94, v8
	v_addc_co_u32_e32 v9, vcc, v1, v9, vcc
	global_load_dword v1, v[8:9], off
	v_mov_b32_e32 v4, 0
	s_waitcnt vmcnt(0)
	v_cmp_class_f16_e64 s[18:19], v1, s92
	s_and_saveexec_b64 s[16:17], s[18:19]
	s_cbranch_execz .LBB34_127
; %bb.10:                               ;   in Loop: Header=BB34_5 Depth=1
	v_cmp_class_f16_sdwa s[20:21], v1, s92 src0_sel:WORD_1 src1_sel:DWORD
	v_mov_b32_e32 v4, 0
	s_and_saveexec_b64 s[18:19], s[20:21]
	s_cbranch_execz .LBB34_126
; %bb.11:                               ;   in Loop: Header=BB34_5 Depth=1
	v_add_u32_e32 v3, s13, v3
	v_ashrrev_i32_e32 v4, 31, v3
	v_lshlrev_b64 v[8:9], 2, v[3:4]
	v_mov_b32_e32 v1, s95
	v_add_co_u32_e32 v8, vcc, s94, v8
	v_addc_co_u32_e32 v9, vcc, v1, v9, vcc
	global_load_dword v1, v[8:9], off
	v_mov_b32_e32 v4, 0
	s_waitcnt vmcnt(0)
	v_cmp_class_f16_e64 s[22:23], v1, s92
	s_and_saveexec_b64 s[20:21], s[22:23]
	s_cbranch_execz .LBB34_125
; %bb.12:                               ;   in Loop: Header=BB34_5 Depth=1
	v_cmp_class_f16_sdwa s[24:25], v1, s92 src0_sel:WORD_1 src1_sel:DWORD
	v_mov_b32_e32 v4, 0
	s_and_saveexec_b64 s[22:23], s[24:25]
	s_cbranch_execz .LBB34_124
; %bb.13:                               ;   in Loop: Header=BB34_5 Depth=1
	;; [unrolled: 18-line block ×18, first 2 shown]
	v_add_u32_e32 v3, s13, v3
	v_ashrrev_i32_e32 v4, 31, v3
	v_lshlrev_b64 v[8:9], 2, v[3:4]
	v_mov_b32_e32 v1, s95
	v_add_co_u32_e32 v8, vcc, s94, v8
	v_addc_co_u32_e32 v9, vcc, v1, v9, vcc
	global_load_dword v1, v[8:9], off
	v_mov_b32_e32 v4, 0
	s_waitcnt vmcnt(0)
	v_cmp_class_f16_e64 vcc, v1, s92
	s_mov_b64 s[90:91], exec
                                        ; implicit-def: $vgpr12 : SGPR spill to VGPR lane
	v_writelane_b32 v12, s90, 0
	s_and_b64 vcc, s[90:91], vcc
	v_writelane_b32 v12, s91, 1
	s_mov_b64 exec, vcc
	s_cbranch_execz .LBB34_91
; %bb.46:                               ;   in Loop: Header=BB34_5 Depth=1
	v_mov_b32_e32 v4, 0
	v_cmp_class_f16_sdwa s[90:91], v1, s92 src0_sel:WORD_1 src1_sel:DWORD
	s_mov_b64 vcc, exec
	v_writelane_b32 v12, vcc_lo, 2
	s_and_b64 s[90:91], vcc, s[90:91]
	v_writelane_b32 v12, vcc_hi, 3
	s_mov_b64 exec, s[90:91]
	s_cbranch_execz .LBB34_90
; %bb.47:                               ;   in Loop: Header=BB34_5 Depth=1
	v_add_u32_e32 v3, s13, v3
	v_ashrrev_i32_e32 v4, 31, v3
	v_lshlrev_b64 v[8:9], 2, v[3:4]
	v_mov_b32_e32 v1, s95
	v_add_co_u32_e32 v8, vcc, s94, v8
	v_addc_co_u32_e32 v9, vcc, v1, v9, vcc
	global_load_dword v1, v[8:9], off
	v_mov_b32_e32 v4, 0
	s_waitcnt vmcnt(0)
	v_cmp_class_f16_e64 s[90:91], v1, s92
	s_mov_b64 vcc, exec
	v_writelane_b32 v12, vcc_lo, 4
	s_and_b64 s[90:91], vcc, s[90:91]
	v_writelane_b32 v12, vcc_hi, 5
	s_mov_b64 exec, s[90:91]
	s_cbranch_execz .LBB34_89
; %bb.48:                               ;   in Loop: Header=BB34_5 Depth=1
	v_mov_b32_e32 v4, 0
	v_cmp_class_f16_sdwa s[90:91], v1, s92 src0_sel:WORD_1 src1_sel:DWORD
	s_mov_b64 vcc, exec
	v_writelane_b32 v12, vcc_lo, 6
	s_and_b64 s[90:91], vcc, s[90:91]
	v_writelane_b32 v12, vcc_hi, 7
	s_mov_b64 exec, s[90:91]
	s_cbranch_execz .LBB34_88
; %bb.49:                               ;   in Loop: Header=BB34_5 Depth=1
	v_add_u32_e32 v3, s13, v3
	v_ashrrev_i32_e32 v4, 31, v3
	v_lshlrev_b64 v[8:9], 2, v[3:4]
	v_mov_b32_e32 v1, s95
	v_add_co_u32_e32 v8, vcc, s94, v8
	v_addc_co_u32_e32 v9, vcc, v1, v9, vcc
	global_load_dword v1, v[8:9], off
	v_mov_b32_e32 v4, 0
	s_waitcnt vmcnt(0)
	v_cmp_class_f16_e64 s[90:91], v1, s92
	s_mov_b64 vcc, exec
	v_writelane_b32 v12, vcc_lo, 8
	s_and_b64 s[90:91], vcc, s[90:91]
	v_writelane_b32 v12, vcc_hi, 9
	s_mov_b64 exec, s[90:91]
	s_cbranch_execz .LBB34_87
; %bb.50:                               ;   in Loop: Header=BB34_5 Depth=1
	v_mov_b32_e32 v4, 0
	v_cmp_class_f16_sdwa s[90:91], v1, s92 src0_sel:WORD_1 src1_sel:DWORD
	s_mov_b64 vcc, exec
	v_writelane_b32 v12, vcc_lo, 10
	s_and_b64 s[90:91], vcc, s[90:91]
	v_writelane_b32 v12, vcc_hi, 11
	s_mov_b64 exec, s[90:91]
	s_cbranch_execz .LBB34_86
; %bb.51:                               ;   in Loop: Header=BB34_5 Depth=1
	v_add_u32_e32 v3, s13, v3
	v_ashrrev_i32_e32 v4, 31, v3
	v_lshlrev_b64 v[8:9], 2, v[3:4]
	v_mov_b32_e32 v1, s95
	v_add_co_u32_e32 v8, vcc, s94, v8
	v_addc_co_u32_e32 v9, vcc, v1, v9, vcc
	global_load_dword v1, v[8:9], off
	v_mov_b32_e32 v4, 0
	s_waitcnt vmcnt(0)
	v_cmp_class_f16_e64 s[90:91], v1, s92
	s_mov_b64 vcc, exec
	v_writelane_b32 v12, vcc_lo, 12
	s_and_b64 s[90:91], vcc, s[90:91]
	v_writelane_b32 v12, vcc_hi, 13
	s_mov_b64 exec, s[90:91]
	s_cbranch_execz .LBB34_85
; %bb.52:                               ;   in Loop: Header=BB34_5 Depth=1
	v_mov_b32_e32 v4, 0
	v_cmp_class_f16_sdwa s[90:91], v1, s92 src0_sel:WORD_1 src1_sel:DWORD
	s_mov_b64 vcc, exec
	v_writelane_b32 v12, vcc_lo, 14
	s_and_b64 s[90:91], vcc, s[90:91]
	v_writelane_b32 v12, vcc_hi, 15
	s_mov_b64 exec, s[90:91]
	s_cbranch_execz .LBB34_84
; %bb.53:                               ;   in Loop: Header=BB34_5 Depth=1
	v_add_u32_e32 v3, s13, v3
	v_ashrrev_i32_e32 v4, 31, v3
	v_lshlrev_b64 v[8:9], 2, v[3:4]
	v_mov_b32_e32 v1, s95
	v_add_co_u32_e32 v8, vcc, s94, v8
	v_addc_co_u32_e32 v9, vcc, v1, v9, vcc
	global_load_dword v1, v[8:9], off
	v_mov_b32_e32 v4, 0
	s_waitcnt vmcnt(0)
	v_cmp_class_f16_e64 s[90:91], v1, s92
	s_mov_b64 vcc, exec
	v_writelane_b32 v12, vcc_lo, 16
	s_and_b64 s[90:91], vcc, s[90:91]
	v_writelane_b32 v12, vcc_hi, 17
	s_mov_b64 exec, s[90:91]
	s_cbranch_execz .LBB34_83
; %bb.54:                               ;   in Loop: Header=BB34_5 Depth=1
	v_mov_b32_e32 v4, 0
	v_cmp_class_f16_sdwa s[90:91], v1, s92 src0_sel:WORD_1 src1_sel:DWORD
	s_mov_b64 vcc, exec
	v_writelane_b32 v12, vcc_lo, 18
	s_and_b64 s[90:91], vcc, s[90:91]
	v_writelane_b32 v12, vcc_hi, 19
	s_mov_b64 exec, s[90:91]
	s_cbranch_execz .LBB34_82
; %bb.55:                               ;   in Loop: Header=BB34_5 Depth=1
	v_add_u32_e32 v3, s13, v3
	v_ashrrev_i32_e32 v4, 31, v3
	v_lshlrev_b64 v[8:9], 2, v[3:4]
	v_mov_b32_e32 v1, s95
	v_add_co_u32_e32 v8, vcc, s94, v8
	v_addc_co_u32_e32 v9, vcc, v1, v9, vcc
	global_load_dword v1, v[8:9], off
	v_mov_b32_e32 v4, 0
	s_waitcnt vmcnt(0)
	v_cmp_class_f16_e64 s[90:91], v1, s92
	s_mov_b64 vcc, exec
	v_writelane_b32 v12, vcc_lo, 20
	s_and_b64 s[90:91], vcc, s[90:91]
	v_writelane_b32 v12, vcc_hi, 21
	s_mov_b64 exec, s[90:91]
	s_cbranch_execz .LBB34_81
; %bb.56:                               ;   in Loop: Header=BB34_5 Depth=1
	v_mov_b32_e32 v4, 0
	v_cmp_class_f16_sdwa s[90:91], v1, s92 src0_sel:WORD_1 src1_sel:DWORD
	s_mov_b64 vcc, exec
	v_writelane_b32 v12, vcc_lo, 22
	s_and_b64 s[90:91], vcc, s[90:91]
	v_writelane_b32 v12, vcc_hi, 23
	s_mov_b64 exec, s[90:91]
	s_cbranch_execz .LBB34_80
; %bb.57:                               ;   in Loop: Header=BB34_5 Depth=1
	v_add_u32_e32 v3, s13, v3
	v_ashrrev_i32_e32 v4, 31, v3
	v_lshlrev_b64 v[8:9], 2, v[3:4]
	v_mov_b32_e32 v1, s95
	v_add_co_u32_e32 v8, vcc, s94, v8
	v_addc_co_u32_e32 v9, vcc, v1, v9, vcc
	global_load_dword v1, v[8:9], off
	v_mov_b32_e32 v4, 0
	s_waitcnt vmcnt(0)
	v_cmp_class_f16_e64 s[90:91], v1, s92
	s_mov_b64 vcc, exec
	v_writelane_b32 v12, vcc_lo, 24
	s_and_b64 s[90:91], vcc, s[90:91]
	v_writelane_b32 v12, vcc_hi, 25
	s_mov_b64 exec, s[90:91]
	s_cbranch_execz .LBB34_79
; %bb.58:                               ;   in Loop: Header=BB34_5 Depth=1
	v_mov_b32_e32 v4, 0
	v_cmp_class_f16_sdwa s[90:91], v1, s92 src0_sel:WORD_1 src1_sel:DWORD
	s_mov_b64 vcc, exec
	v_writelane_b32 v12, vcc_lo, 26
	s_and_b64 s[90:91], vcc, s[90:91]
	v_writelane_b32 v12, vcc_hi, 27
	s_mov_b64 exec, s[90:91]
	s_cbranch_execz .LBB34_78
; %bb.59:                               ;   in Loop: Header=BB34_5 Depth=1
	v_add_u32_e32 v3, s13, v3
	v_ashrrev_i32_e32 v4, 31, v3
	v_lshlrev_b64 v[8:9], 2, v[3:4]
	v_mov_b32_e32 v1, s95
	v_add_co_u32_e32 v8, vcc, s94, v8
	v_addc_co_u32_e32 v9, vcc, v1, v9, vcc
	global_load_dword v1, v[8:9], off
	v_mov_b32_e32 v4, 0
	s_waitcnt vmcnt(0)
	v_cmp_class_f16_e64 s[90:91], v1, s92
	s_mov_b64 vcc, exec
	v_writelane_b32 v12, vcc_lo, 28
	s_and_b64 s[90:91], vcc, s[90:91]
	v_writelane_b32 v12, vcc_hi, 29
	s_mov_b64 exec, s[90:91]
	s_cbranch_execz .LBB34_77
; %bb.60:                               ;   in Loop: Header=BB34_5 Depth=1
	v_mov_b32_e32 v4, 0
	v_cmp_class_f16_sdwa s[90:91], v1, s92 src0_sel:WORD_1 src1_sel:DWORD
	s_mov_b64 vcc, exec
	v_writelane_b32 v12, vcc_lo, 30
	s_and_b64 s[90:91], vcc, s[90:91]
	v_writelane_b32 v12, vcc_hi, 31
	s_mov_b64 exec, s[90:91]
	s_cbranch_execz .LBB34_76
; %bb.61:                               ;   in Loop: Header=BB34_5 Depth=1
	v_add_u32_e32 v3, s13, v3
	v_ashrrev_i32_e32 v4, 31, v3
	v_lshlrev_b64 v[8:9], 2, v[3:4]
	v_mov_b32_e32 v1, s95
	v_add_co_u32_e32 v8, vcc, s94, v8
	v_addc_co_u32_e32 v9, vcc, v1, v9, vcc
	global_load_dword v1, v[8:9], off
	v_mov_b32_e32 v4, 0
	s_waitcnt vmcnt(0)
	v_cmp_class_f16_e64 s[90:91], v1, s92
	s_mov_b64 vcc, exec
	v_writelane_b32 v12, vcc_lo, 32
	s_and_b64 s[90:91], vcc, s[90:91]
	v_writelane_b32 v12, vcc_hi, 33
	s_mov_b64 exec, s[90:91]
	s_cbranch_execz .LBB34_75
; %bb.62:                               ;   in Loop: Header=BB34_5 Depth=1
	v_mov_b32_e32 v4, 0
	v_cmp_class_f16_sdwa s[90:91], v1, s92 src0_sel:WORD_1 src1_sel:DWORD
	s_mov_b64 vcc, exec
	v_writelane_b32 v12, vcc_lo, 34
	s_and_b64 s[90:91], vcc, s[90:91]
	v_writelane_b32 v12, vcc_hi, 35
	s_mov_b64 exec, s[90:91]
	s_cbranch_execz .LBB34_74
; %bb.63:                               ;   in Loop: Header=BB34_5 Depth=1
	v_add_u32_e32 v3, s13, v3
	v_ashrrev_i32_e32 v4, 31, v3
	v_lshlrev_b64 v[8:9], 2, v[3:4]
	v_mov_b32_e32 v1, s95
	v_add_co_u32_e32 v8, vcc, s94, v8
	v_addc_co_u32_e32 v9, vcc, v1, v9, vcc
	global_load_dword v1, v[8:9], off
	v_mov_b32_e32 v4, 0
	s_waitcnt vmcnt(0)
	v_cmp_class_f16_e64 s[90:91], v1, s92
	s_mov_b64 vcc, exec
	v_writelane_b32 v12, vcc_lo, 36
	s_and_b64 s[90:91], vcc, s[90:91]
	v_writelane_b32 v12, vcc_hi, 37
	s_mov_b64 exec, s[90:91]
	s_cbranch_execz .LBB34_73
; %bb.64:                               ;   in Loop: Header=BB34_5 Depth=1
	v_mov_b32_e32 v4, 0
	v_cmp_class_f16_sdwa s[90:91], v1, s92 src0_sel:WORD_1 src1_sel:DWORD
	s_mov_b64 vcc, exec
	v_writelane_b32 v12, vcc_lo, 38
	s_and_b64 s[90:91], vcc, s[90:91]
	v_writelane_b32 v12, vcc_hi, 39
	s_mov_b64 exec, s[90:91]
	s_cbranch_execz .LBB34_72
; %bb.65:                               ;   in Loop: Header=BB34_5 Depth=1
	v_add_u32_e32 v3, s13, v3
	v_ashrrev_i32_e32 v4, 31, v3
	v_lshlrev_b64 v[8:9], 2, v[3:4]
	v_mov_b32_e32 v1, s95
	v_add_co_u32_e32 v8, vcc, s94, v8
	v_addc_co_u32_e32 v9, vcc, v1, v9, vcc
	global_load_dword v1, v[8:9], off
	v_mov_b32_e32 v4, 0
	s_waitcnt vmcnt(0)
	v_cmp_class_f16_e64 s[90:91], v1, s92
	s_mov_b64 vcc, exec
	v_writelane_b32 v12, vcc_lo, 40
	s_and_b64 s[90:91], vcc, s[90:91]
	v_writelane_b32 v12, vcc_hi, 41
	s_mov_b64 exec, s[90:91]
	s_cbranch_execz .LBB34_71
; %bb.66:                               ;   in Loop: Header=BB34_5 Depth=1
	v_mov_b32_e32 v4, 0
	v_cmp_class_f16_sdwa s[90:91], v1, s92 src0_sel:WORD_1 src1_sel:DWORD
	s_mov_b64 vcc, exec
	v_writelane_b32 v12, vcc_lo, 42
	s_and_b64 s[90:91], vcc, s[90:91]
	v_writelane_b32 v12, vcc_hi, 43
	s_mov_b64 exec, s[90:91]
	s_cbranch_execz .LBB34_70
; %bb.67:                               ;   in Loop: Header=BB34_5 Depth=1
	v_add_u32_e32 v3, s13, v3
	v_ashrrev_i32_e32 v4, 31, v3
	v_lshlrev_b64 v[3:4], 2, v[3:4]
	v_mov_b32_e32 v1, s95
	v_add_co_u32_e32 v3, vcc, s94, v3
	v_addc_co_u32_e32 v4, vcc, v1, v4, vcc
	global_load_dword v1, v[3:4], off
	v_mov_b32_e32 v4, 0
	s_waitcnt vmcnt(0)
	v_cmp_class_f16_e64 s[90:91], v1, s92
	s_mov_b64 vcc, exec
	v_writelane_b32 v12, vcc_lo, 44
	s_and_b64 s[90:91], vcc, s[90:91]
	v_writelane_b32 v12, vcc_hi, 45
	s_mov_b64 exec, s[90:91]
; %bb.68:                               ;   in Loop: Header=BB34_5 Depth=1
	v_cmp_class_f16_sdwa s[90:91], v1, s92 src0_sel:WORD_1 src1_sel:DWORD
	v_cndmask_b32_e64 v4, 0, 1, s[90:91]
; %bb.69:                               ;   in Loop: Header=BB34_5 Depth=1
	v_readlane_b32 s90, v12, 44
	v_readlane_b32 s91, v12, 45
	s_or_b64 exec, exec, s[90:91]
.LBB34_70:                              ;   in Loop: Header=BB34_5 Depth=1
	v_readlane_b32 s90, v12, 42
	v_readlane_b32 s91, v12, 43
	s_or_b64 exec, exec, s[90:91]
.LBB34_71:                              ;   in Loop: Header=BB34_5 Depth=1
	v_readlane_b32 s90, v12, 40
	v_readlane_b32 s91, v12, 41
	s_or_b64 exec, exec, s[90:91]
.LBB34_72:                              ;   in Loop: Header=BB34_5 Depth=1
	v_readlane_b32 s90, v12, 38
	v_readlane_b32 s91, v12, 39
	s_or_b64 exec, exec, s[90:91]
.LBB34_73:                              ;   in Loop: Header=BB34_5 Depth=1
	v_readlane_b32 s90, v12, 36
	v_readlane_b32 s91, v12, 37
	s_or_b64 exec, exec, s[90:91]
.LBB34_74:                              ;   in Loop: Header=BB34_5 Depth=1
	v_readlane_b32 s90, v12, 34
	v_readlane_b32 s91, v12, 35
	s_or_b64 exec, exec, s[90:91]
.LBB34_75:                              ;   in Loop: Header=BB34_5 Depth=1
	v_readlane_b32 s90, v12, 32
	v_readlane_b32 s91, v12, 33
	s_or_b64 exec, exec, s[90:91]
.LBB34_76:                              ;   in Loop: Header=BB34_5 Depth=1
	v_readlane_b32 s90, v12, 30
	v_readlane_b32 s91, v12, 31
	s_or_b64 exec, exec, s[90:91]
.LBB34_77:                              ;   in Loop: Header=BB34_5 Depth=1
	v_readlane_b32 s90, v12, 28
	v_readlane_b32 s91, v12, 29
	s_or_b64 exec, exec, s[90:91]
.LBB34_78:                              ;   in Loop: Header=BB34_5 Depth=1
	v_readlane_b32 s90, v12, 26
	v_readlane_b32 s91, v12, 27
	s_or_b64 exec, exec, s[90:91]
.LBB34_79:                              ;   in Loop: Header=BB34_5 Depth=1
	v_readlane_b32 s90, v12, 24
	v_readlane_b32 s91, v12, 25
	s_or_b64 exec, exec, s[90:91]
.LBB34_80:                              ;   in Loop: Header=BB34_5 Depth=1
	v_readlane_b32 s90, v12, 22
	v_readlane_b32 s91, v12, 23
	s_or_b64 exec, exec, s[90:91]
.LBB34_81:                              ;   in Loop: Header=BB34_5 Depth=1
	v_readlane_b32 s90, v12, 20
	v_readlane_b32 s91, v12, 21
	s_or_b64 exec, exec, s[90:91]
.LBB34_82:                              ;   in Loop: Header=BB34_5 Depth=1
	v_readlane_b32 s90, v12, 18
	v_readlane_b32 s91, v12, 19
	s_or_b64 exec, exec, s[90:91]
.LBB34_83:                              ;   in Loop: Header=BB34_5 Depth=1
	v_readlane_b32 s90, v12, 16
	v_readlane_b32 s91, v12, 17
	s_or_b64 exec, exec, s[90:91]
.LBB34_84:                              ;   in Loop: Header=BB34_5 Depth=1
	v_readlane_b32 s90, v12, 14
	v_readlane_b32 s91, v12, 15
	s_or_b64 exec, exec, s[90:91]
.LBB34_85:                              ;   in Loop: Header=BB34_5 Depth=1
	v_readlane_b32 s90, v12, 12
	v_readlane_b32 s91, v12, 13
	s_or_b64 exec, exec, s[90:91]
.LBB34_86:                              ;   in Loop: Header=BB34_5 Depth=1
	v_readlane_b32 s90, v12, 10
	v_readlane_b32 s91, v12, 11
	s_or_b64 exec, exec, s[90:91]
.LBB34_87:                              ;   in Loop: Header=BB34_5 Depth=1
	v_readlane_b32 s90, v12, 8
	v_readlane_b32 s91, v12, 9
	s_or_b64 exec, exec, s[90:91]
.LBB34_88:                              ;   in Loop: Header=BB34_5 Depth=1
	v_readlane_b32 s90, v12, 6
	v_readlane_b32 s91, v12, 7
	s_or_b64 exec, exec, s[90:91]
.LBB34_89:                              ;   in Loop: Header=BB34_5 Depth=1
	v_readlane_b32 s90, v12, 4
	v_readlane_b32 s91, v12, 5
	s_or_b64 exec, exec, s[90:91]
.LBB34_90:                              ;   in Loop: Header=BB34_5 Depth=1
	v_readlane_b32 s90, v12, 2
	v_readlane_b32 s91, v12, 3
	s_or_b64 exec, exec, s[90:91]
.LBB34_91:                              ;   in Loop: Header=BB34_5 Depth=1
	v_readlane_b32 s90, v12, 0
	v_readlane_b32 s91, v12, 1
	s_or_b64 exec, exec, s[90:91]
.LBB34_92:                              ;   in Loop: Header=BB34_5 Depth=1
	s_or_b64 exec, exec, s[88:89]
.LBB34_93:                              ;   in Loop: Header=BB34_5 Depth=1
	s_or_b64 exec, exec, s[86:87]
.LBB34_94:                              ;   in Loop: Header=BB34_5 Depth=1
	s_or_b64 exec, exec, s[84:85]
.LBB34_95:                              ;   in Loop: Header=BB34_5 Depth=1
	s_or_b64 exec, exec, s[82:83]
.LBB34_96:                              ;   in Loop: Header=BB34_5 Depth=1
	s_or_b64 exec, exec, s[80:81]
.LBB34_97:                              ;   in Loop: Header=BB34_5 Depth=1
	s_or_b64 exec, exec, s[78:79]
.LBB34_98:                              ;   in Loop: Header=BB34_5 Depth=1
	s_or_b64 exec, exec, s[76:77]
.LBB34_99:                              ;   in Loop: Header=BB34_5 Depth=1
	s_or_b64 exec, exec, s[74:75]
.LBB34_100:                             ;   in Loop: Header=BB34_5 Depth=1
	s_or_b64 exec, exec, s[72:73]
.LBB34_101:                             ;   in Loop: Header=BB34_5 Depth=1
	s_or_b64 exec, exec, s[70:71]
.LBB34_102:                             ;   in Loop: Header=BB34_5 Depth=1
	s_or_b64 exec, exec, s[68:69]
.LBB34_103:                             ;   in Loop: Header=BB34_5 Depth=1
	s_or_b64 exec, exec, s[66:67]
.LBB34_104:                             ;   in Loop: Header=BB34_5 Depth=1
	s_or_b64 exec, exec, s[64:65]
.LBB34_105:                             ;   in Loop: Header=BB34_5 Depth=1
	s_or_b64 exec, exec, s[62:63]
.LBB34_106:                             ;   in Loop: Header=BB34_5 Depth=1
	s_or_b64 exec, exec, s[60:61]
.LBB34_107:                             ;   in Loop: Header=BB34_5 Depth=1
	s_or_b64 exec, exec, s[58:59]
.LBB34_108:                             ;   in Loop: Header=BB34_5 Depth=1
	s_or_b64 exec, exec, s[56:57]
.LBB34_109:                             ;   in Loop: Header=BB34_5 Depth=1
	s_or_b64 exec, exec, s[54:55]
.LBB34_110:                             ;   in Loop: Header=BB34_5 Depth=1
	s_or_b64 exec, exec, s[52:53]
.LBB34_111:                             ;   in Loop: Header=BB34_5 Depth=1
	s_or_b64 exec, exec, s[50:51]
.LBB34_112:                             ;   in Loop: Header=BB34_5 Depth=1
	s_or_b64 exec, exec, s[48:49]
.LBB34_113:                             ;   in Loop: Header=BB34_5 Depth=1
	s_or_b64 exec, exec, s[46:47]
.LBB34_114:                             ;   in Loop: Header=BB34_5 Depth=1
	s_or_b64 exec, exec, s[44:45]
.LBB34_115:                             ;   in Loop: Header=BB34_5 Depth=1
	s_or_b64 exec, exec, s[42:43]
.LBB34_116:                             ;   in Loop: Header=BB34_5 Depth=1
	s_or_b64 exec, exec, s[40:41]
.LBB34_117:                             ;   in Loop: Header=BB34_5 Depth=1
	s_or_b64 exec, exec, s[38:39]
.LBB34_118:                             ;   in Loop: Header=BB34_5 Depth=1
	s_or_b64 exec, exec, s[36:37]
.LBB34_119:                             ;   in Loop: Header=BB34_5 Depth=1
	s_or_b64 exec, exec, s[34:35]
.LBB34_120:                             ;   in Loop: Header=BB34_5 Depth=1
	s_or_b64 exec, exec, s[30:31]
.LBB34_121:                             ;   in Loop: Header=BB34_5 Depth=1
	s_or_b64 exec, exec, s[28:29]
.LBB34_122:                             ;   in Loop: Header=BB34_5 Depth=1
	s_or_b64 exec, exec, s[26:27]
.LBB34_123:                             ;   in Loop: Header=BB34_5 Depth=1
	s_or_b64 exec, exec, s[24:25]
.LBB34_124:                             ;   in Loop: Header=BB34_5 Depth=1
	s_or_b64 exec, exec, s[22:23]
.LBB34_125:                             ;   in Loop: Header=BB34_5 Depth=1
	s_or_b64 exec, exec, s[20:21]
.LBB34_126:                             ;   in Loop: Header=BB34_5 Depth=1
	s_or_b64 exec, exec, s[18:19]
.LBB34_127:                             ;   in Loop: Header=BB34_5 Depth=1
	s_or_b64 exec, exec, s[16:17]
.LBB34_128:                             ;   in Loop: Header=BB34_5 Depth=1
	s_or_b64 exec, exec, s[14:15]
.LBB34_129:                             ;   in Loop: Header=BB34_5 Depth=1
	s_or_b64 exec, exec, s[8:9]
.LBB34_130:                             ;   in Loop: Header=BB34_5 Depth=1
	s_or_b64 exec, exec, s[2:3]
	v_and_b32_e32 v1, 0x60, v7
	v_add_u32_e32 v9, 32, v1
	v_xor_b32_e32 v1, 16, v7
	v_cmp_lt_i32_e32 vcc, v1, v9
	v_cndmask_b32_e32 v1, v7, v1, vcc
	v_lshlrev_b32_e32 v1, 2, v1
	ds_bpermute_b32 v3, v1, v4
	v_cmp_ne_u32_e32 vcc, 0, v4
	v_xor_b32_e32 v11, 1, v7
	s_waitcnt lgkmcnt(0)
	v_cmp_ne_u32_e64 s[2:3], 0, v3
	v_xor_b32_e32 v3, 8, v7
	s_and_b64 s[2:3], vcc, s[2:3]
	v_cmp_lt_i32_e32 vcc, v3, v9
	v_cndmask_b32_e32 v3, v7, v3, vcc
	v_cndmask_b32_e64 v4, 0, 1, s[2:3]
	v_lshlrev_b32_e32 v3, 2, v3
	ds_bpermute_b32 v4, v3, v4
	s_waitcnt lgkmcnt(0)
	v_cmp_ne_u32_e32 vcc, 0, v4
	v_xor_b32_e32 v4, 4, v7
	s_and_b64 s[2:3], vcc, s[2:3]
	v_cmp_lt_i32_e32 vcc, v4, v9
	v_cndmask_b32_e32 v4, v7, v4, vcc
	v_cndmask_b32_e64 v8, 0, 1, s[2:3]
	v_lshlrev_b32_e32 v4, 2, v4
	ds_bpermute_b32 v8, v4, v8
	s_waitcnt lgkmcnt(0)
	v_cmp_ne_u32_e32 vcc, 0, v8
	;; [unrolled: 9-line block ×3, first 2 shown]
	s_and_b64 s[2:3], vcc, s[2:3]
	v_cmp_lt_i32_e32 vcc, v11, v9
	v_cndmask_b32_e32 v9, v7, v11, vcc
	v_cndmask_b32_e64 v10, 0, 1, s[2:3]
	v_lshlrev_b32_e32 v9, 2, v9
	ds_bpermute_b32 v10, v9, v10
	s_and_saveexec_b64 s[8:9], s[0:1]
	s_cbranch_execz .LBB34_3
; %bb.131:                              ;   in Loop: Header=BB34_5 Depth=1
	s_waitcnt lgkmcnt(0)
	v_cmp_ne_u32_e32 vcc, 0, v10
	s_and_b64 s[2:3], vcc, s[2:3]
	v_cndmask_b32_e64 v10, 0, 1, s[2:3]
	ds_write_b32 v5, v10
	s_branch .LBB34_3
.LBB34_132:
	s_or_b64 exec, exec, s[4:5]
	v_cmp_eq_u32_e32 vcc, 0, v0
	s_and_saveexec_b64 s[0:1], vcc
	s_cbranch_execz .LBB34_134
; %bb.133:
	s_mul_i32 s0, s33, s7
	s_add_i32 s0, s0, s6
	s_ashr_i32 s1, s0, 31
	s_lshl_b64 s[0:1], s[0:1], 2
	s_add_u32 s0, s10, s0
	s_addc_u32 s1, s11, s1
	v_mov_b32_e32 v0, 0
	global_store_dword v0, v1, s[0:1]
.LBB34_134:
	s_endpgm
	.section	.rodata,"a",@progbits
	.p2align	6, 0x0
	.amdhsa_kernel _ZL25flash_attn_mask_to_KV_maxILi32EEvPK7__half2Piiii
		.amdhsa_group_segment_fixed_size 128
		.amdhsa_private_segment_fixed_size 0
		.amdhsa_kernarg_size 288
		.amdhsa_user_sgpr_count 6
		.amdhsa_user_sgpr_private_segment_buffer 1
		.amdhsa_user_sgpr_dispatch_ptr 0
		.amdhsa_user_sgpr_queue_ptr 0
		.amdhsa_user_sgpr_kernarg_segment_ptr 1
		.amdhsa_user_sgpr_dispatch_id 0
		.amdhsa_user_sgpr_flat_scratch_init 0
		.amdhsa_user_sgpr_private_segment_size 0
		.amdhsa_uses_dynamic_stack 0
		.amdhsa_system_sgpr_private_segment_wavefront_offset 0
		.amdhsa_system_sgpr_workgroup_id_x 1
		.amdhsa_system_sgpr_workgroup_id_y 1
		.amdhsa_system_sgpr_workgroup_id_z 0
		.amdhsa_system_sgpr_workgroup_info 0
		.amdhsa_system_vgpr_workitem_id 0
		.amdhsa_next_free_vgpr 13
		.amdhsa_next_free_sgpr 96
		.amdhsa_reserve_vcc 1
		.amdhsa_reserve_flat_scratch 0
		.amdhsa_float_round_mode_32 0
		.amdhsa_float_round_mode_16_64 0
		.amdhsa_float_denorm_mode_32 3
		.amdhsa_float_denorm_mode_16_64 3
		.amdhsa_dx10_clamp 1
		.amdhsa_ieee_mode 1
		.amdhsa_fp16_overflow 0
		.amdhsa_exception_fp_ieee_invalid_op 0
		.amdhsa_exception_fp_denorm_src 0
		.amdhsa_exception_fp_ieee_div_zero 0
		.amdhsa_exception_fp_ieee_overflow 0
		.amdhsa_exception_fp_ieee_underflow 0
		.amdhsa_exception_fp_ieee_inexact 0
		.amdhsa_exception_int_div_zero 0
	.end_amdhsa_kernel
	.section	.text._ZL25flash_attn_mask_to_KV_maxILi32EEvPK7__half2Piiii,"axG",@progbits,_ZL25flash_attn_mask_to_KV_maxILi32EEvPK7__half2Piiii,comdat
.Lfunc_end34:
	.size	_ZL25flash_attn_mask_to_KV_maxILi32EEvPK7__half2Piiii, .Lfunc_end34-_ZL25flash_attn_mask_to_KV_maxILi32EEvPK7__half2Piiii
                                        ; -- End function
	.set _ZL25flash_attn_mask_to_KV_maxILi32EEvPK7__half2Piiii.num_vgpr, 13
	.set _ZL25flash_attn_mask_to_KV_maxILi32EEvPK7__half2Piiii.num_agpr, 0
	.set _ZL25flash_attn_mask_to_KV_maxILi32EEvPK7__half2Piiii.numbered_sgpr, 96
	.set _ZL25flash_attn_mask_to_KV_maxILi32EEvPK7__half2Piiii.num_named_barrier, 0
	.set _ZL25flash_attn_mask_to_KV_maxILi32EEvPK7__half2Piiii.private_seg_size, 0
	.set _ZL25flash_attn_mask_to_KV_maxILi32EEvPK7__half2Piiii.uses_vcc, 1
	.set _ZL25flash_attn_mask_to_KV_maxILi32EEvPK7__half2Piiii.uses_flat_scratch, 0
	.set _ZL25flash_attn_mask_to_KV_maxILi32EEvPK7__half2Piiii.has_dyn_sized_stack, 0
	.set _ZL25flash_attn_mask_to_KV_maxILi32EEvPK7__half2Piiii.has_recursion, 0
	.set _ZL25flash_attn_mask_to_KV_maxILi32EEvPK7__half2Piiii.has_indirect_call, 0
	.section	.AMDGPU.csdata,"",@progbits
; Kernel info:
; codeLenInByte = 4392
; TotalNumSgprs: 100
; NumVgprs: 13
; ScratchSize: 0
; MemoryBound: 0
; FloatMode: 240
; IeeeMode: 1
; LDSByteSize: 128 bytes/workgroup (compile time only)
; SGPRBlocks: 12
; VGPRBlocks: 3
; NumSGPRsForWavesPerEU: 100
; NumVGPRsForWavesPerEU: 13
; Occupancy: 8
; WaveLimiterHint : 0
; COMPUTE_PGM_RSRC2:SCRATCH_EN: 0
; COMPUTE_PGM_RSRC2:USER_SGPR: 6
; COMPUTE_PGM_RSRC2:TRAP_HANDLER: 0
; COMPUTE_PGM_RSRC2:TGID_X_EN: 1
; COMPUTE_PGM_RSRC2:TGID_Y_EN: 1
; COMPUTE_PGM_RSRC2:TGID_Z_EN: 0
; COMPUTE_PGM_RSRC2:TIDIG_COMP_CNT: 0
	.section	.text._ZL33flash_attn_stream_k_fixup_uniformILi128ELi32ELi2EEvPfPK15HIP_vector_typeIfLj2EEiiiiiiS1_IjLj3EES5_S5_,"axG",@progbits,_ZL33flash_attn_stream_k_fixup_uniformILi128ELi32ELi2EEvPfPK15HIP_vector_typeIfLj2EEiiiiiiS1_IjLj3EES5_S5_,comdat
	.globl	_ZL33flash_attn_stream_k_fixup_uniformILi128ELi32ELi2EEvPfPK15HIP_vector_typeIfLj2EEiiiiiiS1_IjLj3EES5_S5_ ; -- Begin function _ZL33flash_attn_stream_k_fixup_uniformILi128ELi32ELi2EEvPfPK15HIP_vector_typeIfLj2EEiiiiiiS1_IjLj3EES5_S5_
	.p2align	8
	.type	_ZL33flash_attn_stream_k_fixup_uniformILi128ELi32ELi2EEvPfPK15HIP_vector_typeIfLj2EEiiiiiiS1_IjLj3EES5_S5_,@function
_ZL33flash_attn_stream_k_fixup_uniformILi128ELi32ELi2EEvPfPK15HIP_vector_typeIfLj2EEiiiiiiS1_IjLj3EES5_S5_: ; @_ZL33flash_attn_stream_k_fixup_uniformILi128ELi32ELi2EEvPfPK15HIP_vector_typeIfLj2EEiiiiiiS1_IjLj3EES5_S5_
; %bb.0:
	s_load_dwordx8 s[12:19], s[4:5], 0x1c
	s_load_dwordx2 s[10:11], s[4:5], 0x10
	s_load_dwordx4 s[0:3], s[4:5], 0x3c
	s_waitcnt lgkmcnt(0)
	s_mul_hi_u32 s9, s15, s6
	s_add_i32 s9, s6, s9
	s_lshr_b32 s9, s9, s16
	s_mul_i32 s15, s9, s17
	s_sub_i32 s15, s6, s15
	s_mul_hi_u32 s16, s15, s18
	s_add_i32 s16, s15, s16
	s_lshr_b32 s16, s16, s19
	s_mul_i32 s0, s16, s0
	s_sub_i32 s0, s15, s0
	;; [unrolled: 5-line block ×3, first 2 shown]
	s_lshl_b32 s0, s17, 5
	s_lshl_b32 s15, s1, 1
	s_add_i32 s0, s0, s7
	s_cmp_lt_i32 s0, s10
	s_cselect_b64 s[0:1], -1, 0
	s_add_i32 s2, s15, s8
	s_cmp_lt_i32 s2, s13
	s_cselect_b64 s[2:3], -1, 0
	s_and_b64 s[0:1], s[0:1], s[2:3]
	s_andn2_b64 vcc, exec, s[0:1]
	s_cbranch_vccnz .LBB35_6
; %bb.1:
	s_load_dwordx4 s[0:3], s[4:5], 0x0
	s_mul_i32 s4, s9, s10
	s_add_i32 s4, s4, s7
	s_mul_i32 s4, s4, s11
	s_mul_i32 s16, s16, s13
	s_add_i32 s4, s4, s8
	s_add_i32 s4, s4, s16
	s_mul_i32 s5, s11, s17
	s_add_i32 s4, s4, s15
	s_lshl_b32 s5, s5, 12
	s_lshl_b32 s4, s4, 7
	s_add_i32 s5, s5, s4
	v_or_b32_e32 v1, s5, v0
	v_ashrrev_i32_e32 v2, 31, v1
	v_lshlrev_b64 v[1:2], 2, v[1:2]
	s_waitcnt lgkmcnt(0)
	v_mov_b32_e32 v3, s1
	v_add_co_u32_e32 v1, vcc, s0, v1
	v_addc_co_u32_e32 v2, vcc, v3, v2, vcc
	global_load_dword v8, v[1:2], off
	s_mul_i32 s9, s14, s6
	s_lshl_b32 s4, s7, 1
	s_add_i32 s11, s9, s14
	s_add_i32 s0, s4, s8
	s_lshl_b32 s1, s11, 6
	s_add_i32 s0, s0, s1
	s_sub_i32 s0, s0, 64
	s_ashr_i32 s1, s0, 31
	s_lshl_b64 s[0:1], s[0:1], 3
	s_add_u32 s0, s2, s0
	s_addc_u32 s1, s3, s1
	s_load_dword s5, s[0:1], 0x4
	s_add_i32 s10, s11, -2
	s_cmp_lt_i32 s10, s9
	s_cbranch_scc1 .LBB35_4
; %bb.2:
	s_lshl_b32 s16, s12, 8
	s_ashr_i32 s17, s16, 31
	s_lshl_b64 s[16:17], s[16:17], 2
	s_add_u32 s10, s2, s16
	s_addc_u32 s13, s3, s17
	s_add_i32 s6, s6, 1
	s_load_dword s0, s[0:1], 0x0
	s_mul_i32 s1, s14, s6
	s_lshl_b32 s7, s7, 8
	s_lshl_b32 s14, s8, 7
	;; [unrolled: 1-line block ×3, first 2 shown]
	s_add_i32 s7, s14, s7
	s_lshl_b32 s1, s1, 6
	s_add_i32 s7, s7, s6
	s_add_i32 s1, s8, s1
	s_lshl_b32 s6, s12, 6
	s_add_i32 s1, s1, s6
	v_or_b32_e32 v0, s7, v0
	s_add_i32 s1, s1, s4
	s_add_i32 s11, s11, -1
	v_add_u32_e32 v3, 0xffffc000, v0
	s_add_i32 s4, s1, 0xffffff80
	s_waitcnt lgkmcnt(0)
	v_mov_b32_e32 v7, s5
	v_mov_b32_e32 v6, s0
	;; [unrolled: 1-line block ×3, first 2 shown]
	s_mov_b32 s6, 0x3fb8aa3b
	s_mov_b32 s7, 0xc2ce8ed0
	;; [unrolled: 1-line block ×3, first 2 shown]
	v_mov_b32_e32 v5, 0x7f800000
	s_mov_b32 s12, 0xc1a00000
.LBB35_3:                               ; =>This Inner Loop Header: Depth=1
	v_ashrrev_i32_e32 v4, 31, v3
	v_lshlrev_b64 v[9:10], 2, v[3:4]
	s_ashr_i32 s5, s4, 31
	v_add_co_u32_e32 v9, vcc, s10, v9
	v_addc_co_u32_e32 v10, vcc, v0, v10, vcc
	global_load_dword v4, v[9:10], off
	s_lshl_b64 s[0:1], s[4:5], 3
	s_add_u32 s0, s2, s0
	s_addc_u32 s1, s3, s1
	s_load_dwordx2 s[14:15], s[0:1], 0x0
	s_waitcnt vmcnt(1)
	v_mov_b32_e32 v9, v8
	v_max_f32_e32 v8, v6, v6
	v_mov_b32_e32 v10, v7
	s_add_i32 s11, s11, -1
	s_waitcnt lgkmcnt(0)
	v_max_f32_e64 v7, s14, s14
	v_max_f32_e32 v7, v8, v7
	v_sub_f32_e32 v11, s14, v7
	v_sub_f32_e32 v8, v6, v7
	v_mul_f32_e32 v12, 0x3fb8aa3b, v11
	v_mov_b32_e32 v6, v7
	v_mul_f32_e32 v7, 0x3fb8aa3b, v8
	v_fma_f32 v15, v11, s6, -v12
	v_rndne_f32_e32 v16, v12
	v_fma_f32 v13, v8, s6, -v7
	v_rndne_f32_e32 v14, v7
	v_fmac_f32_e32 v15, 0x32a5705f, v11
	v_sub_f32_e32 v12, v12, v16
	v_fmac_f32_e32 v13, 0x32a5705f, v8
	v_sub_f32_e32 v7, v7, v14
	v_add_f32_e32 v12, v12, v15
	v_cvt_i32_f32_e32 v16, v16
	v_add_f32_e32 v7, v7, v13
	v_exp_f32_e32 v12, v12
	v_cvt_i32_f32_e32 v14, v14
	v_exp_f32_e32 v7, v7
	v_cmp_ngt_f32_e32 vcc, s7, v11
	v_ldexp_f32 v12, v12, v16
	v_cmp_ngt_f32_e64 s[0:1], s7, v8
	v_ldexp_f32 v7, v7, v14
	v_cndmask_b32_e32 v12, 0, v12, vcc
	v_cmp_nlt_f32_e32 vcc, s8, v11
	v_cndmask_b32_e64 v7, 0, v7, s[0:1]
	v_cmp_nlt_f32_e64 s[0:1], s8, v8
	v_cndmask_b32_e32 v12, v5, v12, vcc
	v_cmp_le_f32_e32 vcc, s12, v11
	v_cndmask_b32_e64 v7, v5, v7, s[0:1]
	v_cmp_le_f32_e64 s[0:1], s12, v8
	v_cndmask_b32_e32 v8, 0, v12, vcc
	s_sub_i32 s4, s4, 64
	v_cndmask_b32_e64 v11, 0, v7, s[0:1]
	v_mul_f32_e32 v7, s15, v8
	v_add_u32_e32 v3, 0xffffe000, v3
	s_cmp_le_i32 s11, s9
	v_fmac_f32_e32 v7, v10, v11
	s_waitcnt vmcnt(0)
	v_mul_f32_e32 v8, v4, v8
	v_fmac_f32_e32 v8, v9, v11
	s_cbranch_scc0 .LBB35_3
	s_branch .LBB35_5
.LBB35_4:
	s_waitcnt lgkmcnt(0)
	v_mov_b32_e32 v7, s5
.LBB35_5:
	s_waitcnt vmcnt(0)
	v_div_scale_f32 v0, s[0:1], v7, v7, v8
	v_div_scale_f32 v3, vcc, v8, v7, v8
	v_rcp_f32_e32 v4, v0
	v_fma_f32 v5, -v0, v4, 1.0
	v_fmac_f32_e32 v4, v5, v4
	v_mul_f32_e32 v5, v3, v4
	v_fma_f32 v6, -v0, v5, v3
	v_fmac_f32_e32 v5, v6, v4
	v_fma_f32 v0, -v0, v5, v3
	v_div_fmas_f32 v0, v0, v4, v5
	v_div_fixup_f32 v0, v0, v7, v8
	global_store_dword v[1:2], v0, off
.LBB35_6:
	s_endpgm
	.section	.rodata,"a",@progbits
	.p2align	6, 0x0
	.amdhsa_kernel _ZL33flash_attn_stream_k_fixup_uniformILi128ELi32ELi2EEvPfPK15HIP_vector_typeIfLj2EEiiiiiiS1_IjLj3EES5_S5_
		.amdhsa_group_segment_fixed_size 0
		.amdhsa_private_segment_fixed_size 0
		.amdhsa_kernarg_size 76
		.amdhsa_user_sgpr_count 6
		.amdhsa_user_sgpr_private_segment_buffer 1
		.amdhsa_user_sgpr_dispatch_ptr 0
		.amdhsa_user_sgpr_queue_ptr 0
		.amdhsa_user_sgpr_kernarg_segment_ptr 1
		.amdhsa_user_sgpr_dispatch_id 0
		.amdhsa_user_sgpr_flat_scratch_init 0
		.amdhsa_user_sgpr_private_segment_size 0
		.amdhsa_uses_dynamic_stack 0
		.amdhsa_system_sgpr_private_segment_wavefront_offset 0
		.amdhsa_system_sgpr_workgroup_id_x 1
		.amdhsa_system_sgpr_workgroup_id_y 1
		.amdhsa_system_sgpr_workgroup_id_z 1
		.amdhsa_system_sgpr_workgroup_info 0
		.amdhsa_system_vgpr_workitem_id 0
		.amdhsa_next_free_vgpr 17
		.amdhsa_next_free_sgpr 20
		.amdhsa_reserve_vcc 1
		.amdhsa_reserve_flat_scratch 0
		.amdhsa_float_round_mode_32 0
		.amdhsa_float_round_mode_16_64 0
		.amdhsa_float_denorm_mode_32 3
		.amdhsa_float_denorm_mode_16_64 3
		.amdhsa_dx10_clamp 1
		.amdhsa_ieee_mode 1
		.amdhsa_fp16_overflow 0
		.amdhsa_exception_fp_ieee_invalid_op 0
		.amdhsa_exception_fp_denorm_src 0
		.amdhsa_exception_fp_ieee_div_zero 0
		.amdhsa_exception_fp_ieee_overflow 0
		.amdhsa_exception_fp_ieee_underflow 0
		.amdhsa_exception_fp_ieee_inexact 0
		.amdhsa_exception_int_div_zero 0
	.end_amdhsa_kernel
	.section	.text._ZL33flash_attn_stream_k_fixup_uniformILi128ELi32ELi2EEvPfPK15HIP_vector_typeIfLj2EEiiiiiiS1_IjLj3EES5_S5_,"axG",@progbits,_ZL33flash_attn_stream_k_fixup_uniformILi128ELi32ELi2EEvPfPK15HIP_vector_typeIfLj2EEiiiiiiS1_IjLj3EES5_S5_,comdat
.Lfunc_end35:
	.size	_ZL33flash_attn_stream_k_fixup_uniformILi128ELi32ELi2EEvPfPK15HIP_vector_typeIfLj2EEiiiiiiS1_IjLj3EES5_S5_, .Lfunc_end35-_ZL33flash_attn_stream_k_fixup_uniformILi128ELi32ELi2EEvPfPK15HIP_vector_typeIfLj2EEiiiiiiS1_IjLj3EES5_S5_
                                        ; -- End function
	.set _ZL33flash_attn_stream_k_fixup_uniformILi128ELi32ELi2EEvPfPK15HIP_vector_typeIfLj2EEiiiiiiS1_IjLj3EES5_S5_.num_vgpr, 17
	.set _ZL33flash_attn_stream_k_fixup_uniformILi128ELi32ELi2EEvPfPK15HIP_vector_typeIfLj2EEiiiiiiS1_IjLj3EES5_S5_.num_agpr, 0
	.set _ZL33flash_attn_stream_k_fixup_uniformILi128ELi32ELi2EEvPfPK15HIP_vector_typeIfLj2EEiiiiiiS1_IjLj3EES5_S5_.numbered_sgpr, 20
	.set _ZL33flash_attn_stream_k_fixup_uniformILi128ELi32ELi2EEvPfPK15HIP_vector_typeIfLj2EEiiiiiiS1_IjLj3EES5_S5_.num_named_barrier, 0
	.set _ZL33flash_attn_stream_k_fixup_uniformILi128ELi32ELi2EEvPfPK15HIP_vector_typeIfLj2EEiiiiiiS1_IjLj3EES5_S5_.private_seg_size, 0
	.set _ZL33flash_attn_stream_k_fixup_uniformILi128ELi32ELi2EEvPfPK15HIP_vector_typeIfLj2EEiiiiiiS1_IjLj3EES5_S5_.uses_vcc, 1
	.set _ZL33flash_attn_stream_k_fixup_uniformILi128ELi32ELi2EEvPfPK15HIP_vector_typeIfLj2EEiiiiiiS1_IjLj3EES5_S5_.uses_flat_scratch, 0
	.set _ZL33flash_attn_stream_k_fixup_uniformILi128ELi32ELi2EEvPfPK15HIP_vector_typeIfLj2EEiiiiiiS1_IjLj3EES5_S5_.has_dyn_sized_stack, 0
	.set _ZL33flash_attn_stream_k_fixup_uniformILi128ELi32ELi2EEvPfPK15HIP_vector_typeIfLj2EEiiiiiiS1_IjLj3EES5_S5_.has_recursion, 0
	.set _ZL33flash_attn_stream_k_fixup_uniformILi128ELi32ELi2EEvPfPK15HIP_vector_typeIfLj2EEiiiiiiS1_IjLj3EES5_S5_.has_indirect_call, 0
	.section	.AMDGPU.csdata,"",@progbits
; Kernel info:
; codeLenInByte = 860
; TotalNumSgprs: 24
; NumVgprs: 17
; ScratchSize: 0
; MemoryBound: 0
; FloatMode: 240
; IeeeMode: 1
; LDSByteSize: 0 bytes/workgroup (compile time only)
; SGPRBlocks: 2
; VGPRBlocks: 4
; NumSGPRsForWavesPerEU: 24
; NumVGPRsForWavesPerEU: 17
; Occupancy: 10
; WaveLimiterHint : 0
; COMPUTE_PGM_RSRC2:SCRATCH_EN: 0
; COMPUTE_PGM_RSRC2:USER_SGPR: 6
; COMPUTE_PGM_RSRC2:TRAP_HANDLER: 0
; COMPUTE_PGM_RSRC2:TGID_X_EN: 1
; COMPUTE_PGM_RSRC2:TGID_Y_EN: 1
; COMPUTE_PGM_RSRC2:TGID_Z_EN: 1
; COMPUTE_PGM_RSRC2:TIDIG_COMP_CNT: 0
	.section	.text._ZL33flash_attn_stream_k_fixup_generalILi128ELi32ELi2EEvPfPK15HIP_vector_typeIfLj2EEiiiiS1_IjLj3EES5_S5_S5_,"axG",@progbits,_ZL33flash_attn_stream_k_fixup_generalILi128ELi32ELi2EEvPfPK15HIP_vector_typeIfLj2EEiiiiS1_IjLj3EES5_S5_S5_,comdat
	.globl	_ZL33flash_attn_stream_k_fixup_generalILi128ELi32ELi2EEvPfPK15HIP_vector_typeIfLj2EEiiiiS1_IjLj3EES5_S5_S5_ ; -- Begin function _ZL33flash_attn_stream_k_fixup_generalILi128ELi32ELi2EEvPfPK15HIP_vector_typeIfLj2EEiiiiS1_IjLj3EES5_S5_S5_
	.p2align	8
	.type	_ZL33flash_attn_stream_k_fixup_generalILi128ELi32ELi2EEvPfPK15HIP_vector_typeIfLj2EEiiiiS1_IjLj3EES5_S5_S5_,@function
_ZL33flash_attn_stream_k_fixup_generalILi128ELi32ELi2EEvPfPK15HIP_vector_typeIfLj2EEiiiiS1_IjLj3EES5_S5_S5_: ; @_ZL33flash_attn_stream_k_fixup_generalILi128ELi32ELi2EEvPfPK15HIP_vector_typeIfLj2EEiiiiS1_IjLj3EES5_S5_S5_
; %bb.0:
	s_load_dwordx4 s[0:3], s[4:5], 0x10
	s_load_dword s22, s[4:5], 0x50
	s_mov_b32 s12, 0
	s_waitcnt lgkmcnt(0)
	s_mul_hi_i32 s13, s3, s6
	s_cmp_lg_u64 s[12:13], 0
	s_mul_i32 s9, s3, s6
	s_cbranch_scc0 .LBB36_20
; %bb.1:
	s_add_u32 s10, s22, 0
	s_addc_u32 s11, 0, 0
	s_xor_b64 s[10:11], s[10:11], 0
	v_cvt_f32_u32_e32 v1, s10
	v_cvt_f32_u32_e32 v2, s11
	s_sub_u32 s12, 0, s10
	s_subb_u32 s18, 0, s11
	v_madmk_f32 v1, v2, 0x4f800000, v1
	v_rcp_f32_e32 v1, v1
	v_mul_f32_e32 v1, 0x5f7ffffc, v1
	v_mul_f32_e32 v2, 0x2f800000, v1
	v_trunc_f32_e32 v2, v2
	v_madmk_f32 v1, v2, 0xcf800000, v1
	v_cvt_u32_f32_e32 v2, v2
	v_cvt_u32_f32_e32 v1, v1
	v_readfirstlane_b32 s19, v2
	v_readfirstlane_b32 s14, v1
	s_mul_i32 s15, s12, s19
	s_mul_hi_u32 s21, s12, s14
	s_mul_i32 s20, s18, s14
	s_add_i32 s15, s21, s15
	s_add_i32 s15, s15, s20
	s_mul_i32 s23, s12, s14
	s_mul_i32 s21, s14, s15
	s_mul_hi_u32 s24, s14, s23
	s_mul_hi_u32 s20, s14, s15
	s_add_u32 s21, s24, s21
	s_addc_u32 s20, 0, s20
	s_mul_hi_u32 s25, s19, s23
	s_mul_i32 s23, s19, s23
	s_add_u32 s21, s21, s23
	s_mul_hi_u32 s24, s19, s15
	s_addc_u32 s20, s20, s25
	s_addc_u32 s21, s24, 0
	s_mul_i32 s15, s19, s15
	s_add_u32 s15, s20, s15
	s_addc_u32 s20, 0, s21
	s_add_u32 s21, s14, s15
	s_cselect_b64 s[14:15], -1, 0
	s_cmp_lg_u64 s[14:15], 0
	s_addc_u32 s19, s19, s20
	s_mul_i32 s14, s12, s19
	s_mul_hi_u32 s15, s12, s21
	s_add_i32 s14, s15, s14
	s_mul_i32 s18, s18, s21
	s_add_i32 s14, s14, s18
	s_mul_i32 s12, s12, s21
	s_mul_hi_u32 s18, s19, s12
	s_mul_i32 s20, s19, s12
	s_mul_i32 s24, s21, s14
	s_mul_hi_u32 s12, s21, s12
	s_mul_hi_u32 s23, s21, s14
	s_add_u32 s12, s12, s24
	s_addc_u32 s23, 0, s23
	s_add_u32 s12, s12, s20
	s_mul_hi_u32 s15, s19, s14
	s_addc_u32 s12, s23, s18
	s_addc_u32 s15, s15, 0
	s_mul_i32 s14, s19, s14
	s_add_u32 s12, s12, s14
	s_addc_u32 s18, 0, s15
	s_add_u32 s20, s21, s12
	s_cselect_b64 s[14:15], -1, 0
	s_cmp_lg_u64 s[14:15], 0
	s_addc_u32 s18, s19, s18
	s_ashr_i32 s14, s13, 31
	s_add_u32 s12, s9, s14
	s_mov_b32 s15, s14
	s_addc_u32 s13, s13, s14
	s_xor_b64 s[12:13], s[12:13], s[14:15]
	s_mul_i32 s21, s12, s18
	s_mul_hi_u32 s23, s12, s20
	s_mul_hi_u32 s19, s12, s18
	s_add_u32 s21, s23, s21
	s_addc_u32 s19, 0, s19
	s_mul_hi_u32 s24, s13, s20
	s_mul_i32 s20, s13, s20
	s_add_u32 s20, s21, s20
	s_mul_hi_u32 s23, s13, s18
	s_addc_u32 s19, s19, s24
	s_addc_u32 s20, s23, 0
	s_mul_i32 s18, s13, s18
	s_add_u32 s23, s19, s18
	s_addc_u32 s24, 0, s20
	s_mul_i32 s18, s10, s24
	s_mul_hi_u32 s19, s10, s23
	s_add_i32 s18, s19, s18
	s_mul_i32 s19, s11, s23
	s_add_i32 s25, s18, s19
	s_sub_i32 s20, s13, s25
	s_mul_i32 s18, s10, s23
	s_sub_u32 s12, s12, s18
	s_cselect_b64 s[18:19], -1, 0
	s_cmp_lg_u64 s[18:19], 0
	s_subb_u32 s26, s20, s11
	s_sub_u32 s27, s12, s10
	s_cselect_b64 s[20:21], -1, 0
	s_cmp_lg_u64 s[20:21], 0
	s_subb_u32 s20, s26, 0
	s_cmp_ge_u32 s20, s11
	s_cselect_b32 s21, -1, 0
	s_cmp_ge_u32 s27, s10
	s_cselect_b32 s26, -1, 0
	s_cmp_eq_u32 s20, s11
	s_cselect_b32 s20, s26, s21
	s_add_u32 s21, s23, 1
	s_addc_u32 s26, s24, 0
	s_add_u32 s27, s23, 2
	s_addc_u32 s28, s24, 0
	s_cmp_lg_u32 s20, 0
	s_cselect_b32 s20, s27, s21
	s_cselect_b32 s21, s28, s26
	s_cmp_lg_u64 s[18:19], 0
	s_subb_u32 s13, s13, s25
	s_cmp_ge_u32 s13, s11
	s_cselect_b32 s18, -1, 0
	s_cmp_ge_u32 s12, s10
	s_cselect_b32 s10, -1, 0
	s_cmp_eq_u32 s13, s11
	s_cselect_b32 s10, s10, s18
	s_cmp_lg_u32 s10, 0
	s_cselect_b32 s11, s21, s24
	s_cselect_b32 s10, s20, s23
	s_xor_b64 s[12:13], s[14:15], 0
	s_xor_b64 s[10:11], s[10:11], s[12:13]
	s_sub_u32 s10, s10, s12
	s_load_dwordx4 s[12:15], s[4:5], 0x44
	s_cbranch_execnz .LBB36_3
.LBB36_2:
	v_cvt_f32_u32_e32 v1, s22
	s_sub_i32 s10, 0, s22
	v_rcp_iflag_f32_e32 v1, v1
	v_mul_f32_e32 v1, 0x4f7ffffe, v1
	v_cvt_u32_f32_e32 v1, v1
	v_readfirstlane_b32 s11, v1
	s_mul_i32 s10, s10, s11
	s_mul_hi_u32 s10, s11, s10
	s_add_i32 s11, s11, s10
	s_mul_hi_u32 s10, s9, s11
	s_waitcnt lgkmcnt(0)
	s_mul_i32 s15, s10, s22
	s_sub_i32 s9, s9, s15
	s_add_i32 s11, s10, 1
	s_sub_i32 s15, s9, s22
	s_cmp_ge_u32 s9, s22
	s_cselect_b32 s10, s11, s10
	s_cselect_b32 s9, s15, s9
	s_add_i32 s11, s10, 1
	s_cmp_ge_u32 s9, s22
	s_cselect_b32 s10, s11, s10
.LBB36_3:
	s_add_i32 s9, s6, 1
	s_mul_hi_i32 s21, s3, s9
	s_mov_b32 s20, 0
	s_cmp_lg_u64 s[20:21], 0
	s_mul_i32 s9, s3, s9
	s_cbranch_scc0 .LBB36_21
; %bb.4:
	s_add_u32 s16, s22, 0
	s_addc_u32 s17, 0, 0
	s_xor_b64 s[18:19], s[16:17], 0
	v_cvt_f32_u32_e32 v1, s18
	v_cvt_f32_u32_e32 v2, s19
	s_sub_u32 s11, 0, s18
	s_waitcnt lgkmcnt(0)
	s_subb_u32 s15, 0, s19
	v_madmk_f32 v1, v2, 0x4f800000, v1
	v_rcp_f32_e32 v1, v1
	v_mul_f32_e32 v1, 0x5f7ffffc, v1
	v_mul_f32_e32 v2, 0x2f800000, v1
	v_trunc_f32_e32 v2, v2
	v_madmk_f32 v1, v2, 0xcf800000, v1
	v_cvt_u32_f32_e32 v2, v2
	v_cvt_u32_f32_e32 v1, v1
	v_readfirstlane_b32 s20, v2
	v_readfirstlane_b32 s23, v1
	s_mul_i32 s24, s11, s20
	s_mul_hi_u32 s26, s11, s23
	s_mul_i32 s25, s15, s23
	s_add_i32 s24, s26, s24
	s_add_i32 s24, s24, s25
	s_mul_i32 s27, s11, s23
	s_mul_i32 s26, s23, s24
	s_mul_hi_u32 s28, s23, s27
	s_mul_hi_u32 s25, s23, s24
	s_add_u32 s26, s28, s26
	s_addc_u32 s25, 0, s25
	s_mul_hi_u32 s29, s20, s27
	s_mul_i32 s27, s20, s27
	s_add_u32 s26, s26, s27
	s_mul_hi_u32 s28, s20, s24
	s_addc_u32 s25, s25, s29
	s_addc_u32 s26, s28, 0
	s_mul_i32 s24, s20, s24
	s_add_u32 s24, s25, s24
	s_addc_u32 s26, 0, s26
	s_add_u32 s23, s23, s24
	s_cselect_b64 s[24:25], -1, 0
	s_cmp_lg_u64 s[24:25], 0
	s_addc_u32 s20, s20, s26
	s_mul_i32 s24, s11, s20
	s_mul_hi_u32 s25, s11, s23
	s_add_i32 s24, s25, s24
	s_mul_i32 s15, s15, s23
	s_add_i32 s24, s24, s15
	s_mul_i32 s11, s11, s23
	s_mul_hi_u32 s25, s20, s11
	s_mul_i32 s26, s20, s11
	s_mul_i32 s28, s23, s24
	s_mul_hi_u32 s11, s23, s11
	s_mul_hi_u32 s27, s23, s24
	s_add_u32 s11, s11, s28
	s_addc_u32 s27, 0, s27
	s_add_u32 s11, s11, s26
	s_mul_hi_u32 s15, s20, s24
	s_addc_u32 s11, s27, s25
	s_addc_u32 s15, s15, 0
	s_mul_i32 s24, s20, s24
	s_add_u32 s11, s11, s24
	s_addc_u32 s15, 0, s15
	s_add_u32 s11, s23, s11
	s_cselect_b64 s[24:25], -1, 0
	s_cmp_lg_u64 s[24:25], 0
	s_addc_u32 s15, s20, s15
	s_ashr_i32 s24, s21, 31
	s_add_u32 s20, s9, s24
	s_mov_b32 s25, s24
	s_addc_u32 s21, s21, s24
	s_xor_b64 s[20:21], s[20:21], s[24:25]
	s_mul_i32 s26, s20, s15
	s_mul_hi_u32 s27, s20, s11
	s_mul_hi_u32 s23, s20, s15
	s_add_u32 s26, s27, s26
	s_addc_u32 s23, 0, s23
	s_mul_hi_u32 s28, s21, s11
	s_mul_i32 s11, s21, s11
	s_add_u32 s11, s26, s11
	s_mul_hi_u32 s27, s21, s15
	s_addc_u32 s11, s23, s28
	s_addc_u32 s23, s27, 0
	s_mul_i32 s15, s21, s15
	s_add_u32 s11, s11, s15
	s_addc_u32 s15, 0, s23
	s_mul_i32 s23, s18, s15
	s_mul_hi_u32 s26, s18, s11
	s_add_i32 s23, s26, s23
	s_mul_i32 s26, s19, s11
	s_add_i32 s23, s23, s26
	s_sub_i32 s28, s21, s23
	s_mul_i32 s26, s18, s11
	s_sub_u32 s20, s20, s26
	s_cselect_b64 s[26:27], -1, 0
	s_cmp_lg_u64 s[26:27], 0
	s_subb_u32 s30, s28, s19
	s_sub_u32 s31, s20, s18
	s_cselect_b64 s[28:29], -1, 0
	s_cmp_lg_u64 s[28:29], 0
	s_subb_u32 s28, s30, 0
	s_cmp_ge_u32 s28, s19
	s_cselect_b32 s29, -1, 0
	s_cmp_ge_u32 s31, s18
	s_cselect_b32 s30, -1, 0
	s_cmp_eq_u32 s28, s19
	s_cselect_b32 s28, s30, s29
	s_add_u32 s29, s11, 1
	s_addc_u32 s30, s15, 0
	s_add_u32 s31, s11, 2
	s_addc_u32 s33, s15, 0
	s_cmp_lg_u32 s28, 0
	s_cselect_b32 s28, s31, s29
	s_cselect_b32 s29, s33, s30
	s_cmp_lg_u64 s[26:27], 0
	s_subb_u32 s21, s21, s23
	s_cmp_ge_u32 s21, s19
	s_cselect_b32 s23, -1, 0
	s_cmp_ge_u32 s20, s18
	s_cselect_b32 s18, -1, 0
	s_cmp_eq_u32 s21, s19
	s_cselect_b32 s18, s18, s23
	s_cmp_lg_u32 s18, 0
	s_cselect_b32 s19, s29, s15
	s_cselect_b32 s18, s28, s11
	s_xor_b64 s[20:21], s[24:25], 0
	s_xor_b64 s[18:19], s[18:19], s[20:21]
	s_sub_u32 s18, s18, s20
	s_cbranch_execnz .LBB36_6
.LBB36_5:
	v_cvt_f32_u32_e32 v1, s22
	s_sub_i32 s11, 0, s22
	v_rcp_iflag_f32_e32 v1, v1
	v_mul_f32_e32 v1, 0x4f7ffffe, v1
	v_cvt_u32_f32_e32 v1, v1
	s_waitcnt lgkmcnt(0)
	v_readfirstlane_b32 s15, v1
	s_mul_i32 s11, s11, s15
	s_mul_hi_u32 s11, s15, s11
	s_add_i32 s15, s15, s11
	s_mul_hi_u32 s11, s9, s15
	s_mul_i32 s16, s11, s22
	s_sub_i32 s9, s9, s16
	s_add_i32 s15, s11, 1
	s_sub_i32 s16, s9, s22
	s_cmp_ge_u32 s9, s22
	s_cselect_b32 s11, s15, s11
	s_cselect_b32 s9, s16, s9
	s_add_i32 s15, s11, 1
	s_cmp_ge_u32 s9, s22
	s_cselect_b32 s18, s15, s11
.LBB36_6:
	s_cmp_eq_u32 s10, s18
	s_waitcnt lgkmcnt(0)
	s_mul_hi_u32 s9, s10, s12
	s_cselect_b64 s[16:17], -1, 0
	s_add_i32 s9, s9, s10
	s_lshr_b32 s11, s9, s13
	s_mul_i32 s9, s11, s14
	s_cmp_eq_u32 s9, s10
	s_mul_hi_u32 s9, s18, s12
	s_cselect_b64 s[20:21], -1, 0
	s_add_i32 s9, s9, s18
	s_lshr_b32 s9, s9, s13
	s_cmp_eq_u32 s11, s9
	s_mul_i32 s9, s9, s14
	s_cselect_b64 s[24:25], -1, 0
	s_cmp_lg_u32 s9, s18
	s_cselect_b64 s[18:19], -1, 0
	s_and_b64 s[18:19], s[24:25], s[18:19]
	s_or_b64 s[16:17], s[16:17], s[20:21]
	s_or_b64 s[16:17], s[16:17], s[18:19]
	s_and_b64 vcc, exec, s[16:17]
	s_cbranch_vccnz .LBB36_23
; %bb.7:
	s_load_dwordx8 s[24:31], s[4:5], 0x20
	s_load_dword s15, s[4:5], 0x40
	s_waitcnt lgkmcnt(0)
	s_mul_hi_u32 s9, s10, s24
	s_add_i32 s9, s9, s10
	s_lshr_b32 s9, s9, s25
	s_mul_i32 s16, s9, s26
	s_sub_i32 s16, s10, s16
	s_mul_hi_u32 s17, s16, s27
	s_add_i32 s17, s16, s17
	s_lshr_b32 s23, s17, s28
	s_mul_i32 s17, s23, s29
	s_sub_i32 s16, s16, s17
	;; [unrolled: 5-line block ×3, first 2 shown]
	s_mul_hi_u32 s16, s15, s12
	s_add_i32 s15, s15, s16
	s_lshr_b32 s25, s15, s13
	s_lshl_b32 s15, s25, 5
	s_lshl_b32 s24, s17, 1
	s_add_i32 s15, s15, s7
	s_cmp_lt_i32 s15, s0
	s_cselect_b64 s[16:17], -1, 0
	s_add_i32 s15, s24, s8
	s_cmp_lt_i32 s15, s2
	s_cselect_b64 s[18:19], -1, 0
	s_and_b64 s[16:17], s[16:17], s[18:19]
	s_andn2_b64 vcc, exec, s[16:17]
	s_cbranch_vccnz .LBB36_23
; %bb.8:
	s_load_dwordx4 s[16:19], s[4:5], 0x0
	s_mov_b32 s4, 0
	s_lshl_b32 s15, s7, 1
	s_lshl_b32 s20, s22, 8
	s_mov_b32 s21, s4
	s_add_i32 s15, s15, s8
	s_lshl_b64 s[20:21], s[20:21], 2
	s_waitcnt lgkmcnt(0)
	s_add_u32 s20, s18, s20
	s_mul_i32 s0, s9, s0
	s_addc_u32 s21, s19, s21
	s_add_i32 s0, s0, s7
	s_mul_i32 s0, s0, s1
	s_mul_i32 s23, s23, s2
	s_add_i32 s0, s0, s8
	s_add_i32 s0, s0, s23
	s_mul_i32 s2, s1, s25
	s_add_i32 s0, s0, s24
	s_lshl_b32 s2, s2, 12
	s_lshl_b32 s0, s0, 7
	s_add_i32 s2, s2, s0
	v_or_b32_e32 v1, s2, v0
	v_ashrrev_i32_e32 v2, 31, v1
	v_lshlrev_b64 v[1:2], 2, v[1:2]
	v_mov_b32_e32 v3, s17
	v_add_co_u32_e32 v1, vcc, s16, v1
	v_addc_co_u32_e32 v2, vcc, v3, v2, vcc
	global_load_dword v3, v[1:2], off
	v_cvt_f32_u32_e32 v4, s22
	s_lshl_b32 s0, s6, 6
	s_add_i32 s0, s15, s0
	s_ashr_i32 s1, s0, 31
	s_lshl_b64 s[0:1], s[0:1], 3
	v_rcp_iflag_f32_e32 v4, v4
	s_add_u32 s0, s18, s0
	s_addc_u32 s1, s19, s1
	s_load_dwordx2 s[0:1], s[0:1], 0x0
	v_mul_f32_e32 v4, 0x4f7ffffe, v4
	v_cvt_u32_f32_e32 v4, v4
	s_add_i32 s24, s6, -1
	v_lshl_or_b32 v0, s15, 7, v0
	s_waitcnt lgkmcnt(0)
	v_mov_b32_e32 v6, s1
	v_mov_b32_e32 v7, s0
	s_mov_b32 s2, 0x3fb8aa3b
	s_mov_b32 s16, 0xc2ce8ed0
	;; [unrolled: 1-line block ×4, first 2 shown]
	v_mov_b32_e32 v5, 0x7f800000
	s_mul_hi_i32 s5, s24, s3
	s_cmp_lg_u64 s[4:5], 0
	s_mul_i32 s8, s24, s3
	s_cbranch_scc0 .LBB36_19
.LBB36_9:
	s_add_u32 s0, s22, 0
	s_addc_u32 s1, 0, 0
	s_xor_b64 s[0:1], s[0:1], 0
	v_cvt_f32_u32_e32 v8, s0
	v_cvt_f32_u32_e32 v9, s1
	s_sub_u32 s9, 0, s0
	s_subb_u32 s25, 0, s1
	v_mac_f32_e32 v8, 0x4f800000, v9
	v_rcp_f32_e32 v8, v8
	v_mul_f32_e32 v8, 0x5f7ffffc, v8
	v_mul_f32_e32 v9, 0x2f800000, v8
	v_trunc_f32_e32 v9, v9
	v_mac_f32_e32 v8, 0xcf800000, v9
	v_cvt_u32_f32_e32 v9, v9
	v_cvt_u32_f32_e32 v8, v8
	v_readfirstlane_b32 s26, v9
	v_readfirstlane_b32 s6, v8
	s_mul_i32 s7, s9, s26
	s_mul_hi_u32 s28, s9, s6
	s_mul_i32 s27, s25, s6
	s_add_i32 s7, s28, s7
	s_mul_i32 s29, s9, s6
	s_add_i32 s7, s7, s27
	s_mul_i32 s28, s6, s7
	s_mul_hi_u32 s30, s6, s29
	s_mul_hi_u32 s27, s6, s7
	s_add_u32 s28, s30, s28
	s_addc_u32 s27, 0, s27
	s_mul_hi_u32 s31, s26, s29
	s_mul_i32 s29, s26, s29
	s_add_u32 s28, s28, s29
	s_mul_hi_u32 s30, s26, s7
	s_addc_u32 s27, s27, s31
	s_addc_u32 s28, s30, 0
	s_mul_i32 s7, s26, s7
	s_add_u32 s7, s27, s7
	s_addc_u32 s27, 0, s28
	s_add_u32 s28, s6, s7
	s_cselect_b64 s[6:7], -1, 0
	s_cmp_lg_u64 s[6:7], 0
	s_addc_u32 s26, s26, s27
	s_mul_i32 s6, s9, s26
	s_mul_hi_u32 s7, s9, s28
	s_add_i32 s6, s7, s6
	s_mul_i32 s25, s25, s28
	s_add_i32 s6, s6, s25
	s_mul_i32 s9, s9, s28
	s_mul_hi_u32 s25, s26, s9
	s_mul_i32 s27, s26, s9
	s_mul_i32 s30, s28, s6
	s_mul_hi_u32 s9, s28, s9
	s_mul_hi_u32 s29, s28, s6
	s_add_u32 s9, s9, s30
	s_addc_u32 s29, 0, s29
	s_add_u32 s9, s9, s27
	s_mul_hi_u32 s7, s26, s6
	s_addc_u32 s9, s29, s25
	s_addc_u32 s7, s7, 0
	s_mul_i32 s6, s26, s6
	s_add_u32 s6, s9, s6
	s_addc_u32 s9, 0, s7
	s_add_u32 s25, s28, s6
	s_cselect_b64 s[6:7], -1, 0
	s_cmp_lg_u64 s[6:7], 0
	s_addc_u32 s9, s26, s9
	s_ashr_i32 s6, s5, 31
	s_add_u32 s26, s8, s6
	s_mov_b32 s7, s6
	s_addc_u32 s27, s5, s6
	s_xor_b64 s[26:27], s[26:27], s[6:7]
	s_mul_i32 s28, s26, s9
	s_mul_hi_u32 s29, s26, s25
	s_mul_hi_u32 s5, s26, s9
	s_add_u32 s28, s29, s28
	s_addc_u32 s5, 0, s5
	s_mul_hi_u32 s30, s27, s25
	s_mul_i32 s25, s27, s25
	s_add_u32 s25, s28, s25
	s_mul_hi_u32 s29, s27, s9
	s_addc_u32 s5, s5, s30
	s_addc_u32 s25, s29, 0
	s_mul_i32 s9, s27, s9
	s_add_u32 s5, s5, s9
	s_addc_u32 s9, 0, s25
	s_mul_i32 s25, s0, s9
	s_mul_hi_u32 s28, s0, s5
	s_add_i32 s25, s28, s25
	s_mul_i32 s28, s1, s5
	s_add_i32 s25, s25, s28
	s_sub_i32 s30, s27, s25
	s_mul_i32 s28, s0, s5
	s_sub_u32 s26, s26, s28
	s_cselect_b64 s[28:29], -1, 0
	s_cmp_lg_u64 s[28:29], 0
	s_subb_u32 s33, s30, s1
	s_sub_u32 s34, s26, s0
	s_cselect_b64 s[30:31], -1, 0
	s_cmp_lg_u64 s[30:31], 0
	s_subb_u32 s30, s33, 0
	s_cmp_ge_u32 s30, s1
	s_cselect_b32 s31, -1, 0
	s_cmp_ge_u32 s34, s0
	s_cselect_b32 s33, -1, 0
	s_cmp_eq_u32 s30, s1
	s_cselect_b32 s30, s33, s31
	s_add_u32 s31, s5, 1
	s_addc_u32 s33, s9, 0
	s_add_u32 s34, s5, 2
	s_addc_u32 s35, s9, 0
	s_cmp_lg_u32 s30, 0
	s_cselect_b32 s30, s34, s31
	s_cselect_b32 s31, s35, s33
	s_cmp_lg_u64 s[28:29], 0
	s_subb_u32 s25, s27, s25
	s_cmp_ge_u32 s25, s1
	s_cselect_b32 s27, -1, 0
	s_cmp_ge_u32 s26, s0
	s_cselect_b32 s0, -1, 0
	s_cmp_eq_u32 s25, s1
	s_cselect_b32 s0, s0, s27
	s_cmp_lg_u32 s0, 0
	s_cselect_b32 s1, s31, s9
	s_cselect_b32 s0, s30, s5
	s_xor_b64 s[6:7], s[6:7], 0
	s_xor_b64 s[0:1], s[0:1], s[6:7]
	s_sub_u32 s6, s0, s6
	s_cbranch_execnz .LBB36_11
.LBB36_10:
	s_sub_i32 s0, 0, s22
	v_readfirstlane_b32 s1, v4
	s_mul_i32 s0, s0, s1
	s_mul_hi_u32 s0, s1, s0
	s_add_i32 s1, s1, s0
	s_mul_hi_u32 s0, s8, s1
	s_mul_i32 s5, s0, s22
	s_sub_i32 s5, s8, s5
	s_add_i32 s1, s0, 1
	s_sub_i32 s6, s5, s22
	s_cmp_ge_u32 s5, s22
	s_cselect_b32 s0, s1, s0
	s_cselect_b32 s5, s6, s5
	s_add_i32 s1, s0, 1
	s_cmp_ge_u32 s5, s22
	s_cselect_b32 s6, s1, s0
.LBB36_11:
	s_cmp_lg_u32 s10, s6
	s_mov_b64 s[8:9], -1
                                        ; implicit-def: $sgpr0_sgpr1
                                        ; implicit-def: $vgpr10
                                        ; implicit-def: $vgpr8
                                        ; implicit-def: $vgpr9
                                        ; implicit-def: $sgpr5
                                        ; implicit-def: $sgpr7
	s_cbranch_scc1 .LBB36_14
; %bb.12:
	s_andn2_b64 vcc, exec, s[8:9]
	s_cbranch_vccz .LBB36_17
.LBB36_13:
	s_andn2_b64 vcc, exec, s[0:1]
	s_cbranch_vccnz .LBB36_18
	s_branch .LBB36_22
.LBB36_14:
	s_add_i32 s0, s24, s22
	s_lshl_b32 s0, s0, 6
	s_add_i32 s0, s0, s15
	s_mov_b32 s1, s4
	s_lshl_b64 s[0:1], s[0:1], 3
	s_add_u32 s8, s18, s0
	s_mul_hi_u32 s0, s6, s12
	s_addc_u32 s9, s19, s1
	s_add_i32 s0, s0, s6
	s_lshr_b32 s5, s0, s13
	s_mul_i32 s0, s5, s14
	s_cmp_eq_u32 s0, s6
	s_cselect_b64 s[0:1], -1, 0
	s_cmp_lt_u32 s5, s11
	s_cselect_b64 s[26:27], -1, 0
	s_or_b64 s[26:27], s[26:27], s[0:1]
	s_mov_b64 s[0:1], -1
	s_and_b64 vcc, exec, s[26:27]
	s_mov_b32 s5, s24
	s_mov_b32 s7, s10
	s_cbranch_vccnz .LBB36_16
; %bb.15:
	s_add_i32 s5, s24, -1
	s_mov_b64 s[0:1], 0
	s_mov_b32 s7, s6
.LBB36_16:
	v_lshl_add_u32 v8, s24, 13, v0
	v_ashrrev_i32_e32 v9, 31, v8
	v_lshlrev_b64 v[8:9], 2, v[8:9]
	v_mov_b32_e32 v10, s21
	v_add_co_u32_e32 v8, vcc, s20, v8
	v_addc_co_u32_e32 v9, vcc, v10, v9, vcc
	global_load_dword v10, v[8:9], off
	s_load_dwordx2 s[8:9], s[8:9], 0x0
	v_max_f32_e32 v8, v7, v7
	s_waitcnt lgkmcnt(0)
	v_max_f32_e64 v9, s8, s8
	v_max_f32_e32 v8, v8, v9
	v_sub_f32_e32 v9, v7, v8
	v_sub_f32_e32 v11, s8, v8
	v_mul_f32_e32 v12, 0x3fb8aa3b, v9
	v_mul_f32_e32 v13, 0x3fb8aa3b, v11
	v_fma_f32 v14, v9, s2, -v12
	v_rndne_f32_e32 v15, v12
	v_fma_f32 v16, v11, s2, -v13
	v_rndne_f32_e32 v17, v13
	v_fmac_f32_e32 v14, 0x32a5705f, v9
	v_sub_f32_e32 v12, v12, v15
	v_fmac_f32_e32 v16, 0x32a5705f, v11
	v_sub_f32_e32 v13, v13, v17
	v_add_f32_e32 v12, v12, v14
	v_cvt_i32_f32_e32 v15, v15
	v_add_f32_e32 v13, v13, v16
	v_exp_f32_e32 v12, v12
	v_cvt_i32_f32_e32 v17, v17
	v_exp_f32_e32 v13, v13
	v_cmp_ngt_f32_e32 vcc, s16, v9
	v_ldexp_f32 v12, v12, v15
	v_cndmask_b32_e32 v12, 0, v12, vcc
	v_ldexp_f32 v13, v13, v17
	v_cmp_ngt_f32_e32 vcc, s16, v11
	v_cndmask_b32_e32 v13, 0, v13, vcc
	v_cmp_nlt_f32_e32 vcc, s17, v9
	v_cndmask_b32_e32 v12, v5, v12, vcc
	v_cmp_nlt_f32_e32 vcc, s17, v11
	v_cndmask_b32_e32 v13, v5, v13, vcc
	v_cmp_le_f32_e32 vcc, s23, v9
	v_cndmask_b32_e32 v12, 0, v12, vcc
	v_cmp_le_f32_e32 vcc, s23, v11
	v_cndmask_b32_e32 v11, 0, v13, vcc
	v_mul_f32_e32 v9, s9, v11
	v_fmac_f32_e32 v9, v6, v12
	s_waitcnt vmcnt(0)
	v_mul_f32_e32 v10, v10, v11
	v_fmac_f32_e32 v10, v3, v12
	s_cbranch_execnz .LBB36_13
.LBB36_17:
	s_add_i32 s5, s24, -1
	s_mov_b32 s7, s10
	v_mov_b32_e32 v9, v6
	v_mov_b32_e32 v8, v7
	s_waitcnt vmcnt(0)
	v_mov_b32_e32 v10, v3
	s_cbranch_execz .LBB36_22
.LBB36_18:
	s_mov_b32 s10, s7
	s_mov_b32 s24, s5
	v_mov_b32_e32 v6, v9
	v_mov_b32_e32 v7, v8
	s_waitcnt vmcnt(0)
	v_mov_b32_e32 v3, v10
	s_mul_hi_i32 s5, s24, s3
	s_cmp_lg_u64 s[4:5], 0
	s_mul_i32 s8, s24, s3
	s_cbranch_scc1 .LBB36_9
.LBB36_19:
                                        ; implicit-def: $sgpr6_sgpr7
	s_branch .LBB36_10
.LBB36_20:
                                        ; implicit-def: $sgpr10_sgpr11
	s_load_dwordx4 s[12:15], s[4:5], 0x44
	s_branch .LBB36_2
.LBB36_21:
                                        ; implicit-def: $sgpr18_sgpr19
	s_branch .LBB36_5
.LBB36_22:
	v_div_scale_f32 v0, s[0:1], v9, v9, v10
	s_waitcnt vmcnt(0)
	v_div_scale_f32 v3, vcc, v10, v9, v10
	v_rcp_f32_e32 v4, v0
	v_fma_f32 v5, -v0, v4, 1.0
	v_fmac_f32_e32 v4, v5, v4
	v_mul_f32_e32 v5, v3, v4
	v_fma_f32 v6, -v0, v5, v3
	v_fmac_f32_e32 v5, v6, v4
	v_fma_f32 v0, -v0, v5, v3
	v_div_fmas_f32 v0, v0, v4, v5
	v_div_fixup_f32 v0, v0, v9, v10
	global_store_dword v[1:2], v0, off
.LBB36_23:
	s_endpgm
	.section	.rodata,"a",@progbits
	.p2align	6, 0x0
	.amdhsa_kernel _ZL33flash_attn_stream_k_fixup_generalILi128ELi32ELi2EEvPfPK15HIP_vector_typeIfLj2EEiiiiS1_IjLj3EES5_S5_S5_
		.amdhsa_group_segment_fixed_size 0
		.amdhsa_private_segment_fixed_size 0
		.amdhsa_kernarg_size 336
		.amdhsa_user_sgpr_count 6
		.amdhsa_user_sgpr_private_segment_buffer 1
		.amdhsa_user_sgpr_dispatch_ptr 0
		.amdhsa_user_sgpr_queue_ptr 0
		.amdhsa_user_sgpr_kernarg_segment_ptr 1
		.amdhsa_user_sgpr_dispatch_id 0
		.amdhsa_user_sgpr_flat_scratch_init 0
		.amdhsa_user_sgpr_private_segment_size 0
		.amdhsa_uses_dynamic_stack 0
		.amdhsa_system_sgpr_private_segment_wavefront_offset 0
		.amdhsa_system_sgpr_workgroup_id_x 1
		.amdhsa_system_sgpr_workgroup_id_y 1
		.amdhsa_system_sgpr_workgroup_id_z 1
		.amdhsa_system_sgpr_workgroup_info 0
		.amdhsa_system_vgpr_workitem_id 0
		.amdhsa_next_free_vgpr 18
		.amdhsa_next_free_sgpr 36
		.amdhsa_reserve_vcc 1
		.amdhsa_reserve_flat_scratch 0
		.amdhsa_float_round_mode_32 0
		.amdhsa_float_round_mode_16_64 0
		.amdhsa_float_denorm_mode_32 3
		.amdhsa_float_denorm_mode_16_64 3
		.amdhsa_dx10_clamp 1
		.amdhsa_ieee_mode 1
		.amdhsa_fp16_overflow 0
		.amdhsa_exception_fp_ieee_invalid_op 0
		.amdhsa_exception_fp_denorm_src 0
		.amdhsa_exception_fp_ieee_div_zero 0
		.amdhsa_exception_fp_ieee_overflow 0
		.amdhsa_exception_fp_ieee_underflow 0
		.amdhsa_exception_fp_ieee_inexact 0
		.amdhsa_exception_int_div_zero 0
	.end_amdhsa_kernel
	.section	.text._ZL33flash_attn_stream_k_fixup_generalILi128ELi32ELi2EEvPfPK15HIP_vector_typeIfLj2EEiiiiS1_IjLj3EES5_S5_S5_,"axG",@progbits,_ZL33flash_attn_stream_k_fixup_generalILi128ELi32ELi2EEvPfPK15HIP_vector_typeIfLj2EEiiiiS1_IjLj3EES5_S5_S5_,comdat
.Lfunc_end36:
	.size	_ZL33flash_attn_stream_k_fixup_generalILi128ELi32ELi2EEvPfPK15HIP_vector_typeIfLj2EEiiiiS1_IjLj3EES5_S5_S5_, .Lfunc_end36-_ZL33flash_attn_stream_k_fixup_generalILi128ELi32ELi2EEvPfPK15HIP_vector_typeIfLj2EEiiiiS1_IjLj3EES5_S5_S5_
                                        ; -- End function
	.set _ZL33flash_attn_stream_k_fixup_generalILi128ELi32ELi2EEvPfPK15HIP_vector_typeIfLj2EEiiiiS1_IjLj3EES5_S5_S5_.num_vgpr, 18
	.set _ZL33flash_attn_stream_k_fixup_generalILi128ELi32ELi2EEvPfPK15HIP_vector_typeIfLj2EEiiiiS1_IjLj3EES5_S5_S5_.num_agpr, 0
	.set _ZL33flash_attn_stream_k_fixup_generalILi128ELi32ELi2EEvPfPK15HIP_vector_typeIfLj2EEiiiiS1_IjLj3EES5_S5_S5_.numbered_sgpr, 36
	.set _ZL33flash_attn_stream_k_fixup_generalILi128ELi32ELi2EEvPfPK15HIP_vector_typeIfLj2EEiiiiS1_IjLj3EES5_S5_S5_.num_named_barrier, 0
	.set _ZL33flash_attn_stream_k_fixup_generalILi128ELi32ELi2EEvPfPK15HIP_vector_typeIfLj2EEiiiiS1_IjLj3EES5_S5_S5_.private_seg_size, 0
	.set _ZL33flash_attn_stream_k_fixup_generalILi128ELi32ELi2EEvPfPK15HIP_vector_typeIfLj2EEiiiiS1_IjLj3EES5_S5_S5_.uses_vcc, 1
	.set _ZL33flash_attn_stream_k_fixup_generalILi128ELi32ELi2EEvPfPK15HIP_vector_typeIfLj2EEiiiiS1_IjLj3EES5_S5_S5_.uses_flat_scratch, 0
	.set _ZL33flash_attn_stream_k_fixup_generalILi128ELi32ELi2EEvPfPK15HIP_vector_typeIfLj2EEiiiiS1_IjLj3EES5_S5_S5_.has_dyn_sized_stack, 0
	.set _ZL33flash_attn_stream_k_fixup_generalILi128ELi32ELi2EEvPfPK15HIP_vector_typeIfLj2EEiiiiS1_IjLj3EES5_S5_S5_.has_recursion, 0
	.set _ZL33flash_attn_stream_k_fixup_generalILi128ELi32ELi2EEvPfPK15HIP_vector_typeIfLj2EEiiiiS1_IjLj3EES5_S5_S5_.has_indirect_call, 0
	.section	.AMDGPU.csdata,"",@progbits
; Kernel info:
; codeLenInByte = 2940
; TotalNumSgprs: 40
; NumVgprs: 18
; ScratchSize: 0
; MemoryBound: 0
; FloatMode: 240
; IeeeMode: 1
; LDSByteSize: 0 bytes/workgroup (compile time only)
; SGPRBlocks: 4
; VGPRBlocks: 4
; NumSGPRsForWavesPerEU: 40
; NumVGPRsForWavesPerEU: 18
; Occupancy: 10
; WaveLimiterHint : 0
; COMPUTE_PGM_RSRC2:SCRATCH_EN: 0
; COMPUTE_PGM_RSRC2:USER_SGPR: 6
; COMPUTE_PGM_RSRC2:TRAP_HANDLER: 0
; COMPUTE_PGM_RSRC2:TGID_X_EN: 1
; COMPUTE_PGM_RSRC2:TGID_Y_EN: 1
; COMPUTE_PGM_RSRC2:TGID_Z_EN: 1
; COMPUTE_PGM_RSRC2:TIDIG_COMP_CNT: 0
	.section	.text._ZL15flash_attn_tileILi128ELi128ELi16ELi2ELb0EEvPKcS1_S1_S1_S1_PKiPfP15HIP_vector_typeIfLj2EEffffjfiS5_IjLj3EEiiiiiiiiiiiliiliiiiil,"axG",@progbits,_ZL15flash_attn_tileILi128ELi128ELi16ELi2ELb0EEvPKcS1_S1_S1_S1_PKiPfP15HIP_vector_typeIfLj2EEffffjfiS5_IjLj3EEiiiiiiiiiiiliiliiiiil,comdat
	.globl	_ZL15flash_attn_tileILi128ELi128ELi16ELi2ELb0EEvPKcS1_S1_S1_S1_PKiPfP15HIP_vector_typeIfLj2EEffffjfiS5_IjLj3EEiiiiiiiiiiiliiliiiiil ; -- Begin function _ZL15flash_attn_tileILi128ELi128ELi16ELi2ELb0EEvPKcS1_S1_S1_S1_PKiPfP15HIP_vector_typeIfLj2EEffffjfiS5_IjLj3EEiiiiiiiiiiiliiliiiiil
	.p2align	8
	.type	_ZL15flash_attn_tileILi128ELi128ELi16ELi2ELb0EEvPKcS1_S1_S1_S1_PKiPfP15HIP_vector_typeIfLj2EEffffjfiS5_IjLj3EEiiiiiiiiiiiliiliiiiil,@function
_ZL15flash_attn_tileILi128ELi128ELi16ELi2ELb0EEvPKcS1_S1_S1_S1_PKiPfP15HIP_vector_typeIfLj2EEffffjfiS5_IjLj3EEiiiiiiiiiiiliiliiiiil: ; @_ZL15flash_attn_tileILi128ELi128ELi16ELi2ELb0EEvPKcS1_S1_S1_S1_PKiPfP15HIP_vector_typeIfLj2EEffffjfiS5_IjLj3EEiiiiiiiiiiiliiliiiiil
; %bb.0:
	s_load_dwordx4 s[60:63], s[4:5], 0x5c
	s_load_dwordx2 s[66:67], s[4:5], 0x80
	s_load_dwordx16 s[44:59], s[4:5], 0x0
	s_mov_b64 s[68:69], 0
	s_waitcnt lgkmcnt(0)
	s_lshr_b32 s0, s63, 31
	s_add_i32 s0, s63, s0
	s_ashr_i32 s0, s0, 1
	v_cvt_f32_u32_e32 v2, s0
	s_sub_i32 s1, 0, s0
	v_rcp_iflag_f32_e32 v2, v2
	v_mul_f32_e32 v2, 0x4f7ffffe, v2
	v_cvt_u32_f32_e32 v2, v2
	v_readfirstlane_b32 s2, v2
	s_mul_i32 s1, s1, s2
	s_mul_hi_u32 s1, s2, s1
	s_add_i32 s2, s2, s1
	s_mul_hi_u32 s1, s8, s2
	s_mul_i32 s2, s1, s0
	s_sub_i32 s2, s8, s2
	s_add_i32 s3, s1, 1
	s_sub_i32 s9, s2, s0
	s_cmp_ge_u32 s2, s0
	s_cselect_b32 s1, s3, s1
	s_cselect_b32 s2, s9, s2
	s_add_i32 s3, s1, 1
	s_cmp_ge_u32 s2, s0
	s_cselect_b32 s33, s3, s1
	s_abs_i32 s0, s67
	v_cvt_f32_u32_e32 v2, s0
	s_lshl_b32 s1, s8, 1
	s_mul_i32 s8, s33, s63
	s_sub_i32 s9, 0, s0
	v_rcp_iflag_f32_e32 v2, v2
	s_sub_i32 s64, s1, s8
	s_abs_i32 s3, s63
	s_xor_b32 s2, s63, s67
	v_mul_f32_e32 v2, 0x4f7ffffe, v2
	v_cvt_u32_f32_e32 v2, v2
	s_ashr_i32 s2, s2, 31
	v_readfirstlane_b32 s1, v2
	s_mul_i32 s9, s9, s1
	s_mul_hi_u32 s8, s1, s9
	s_add_i32 s1, s1, s8
	s_mul_hi_u32 s1, s3, s1
	s_mul_i32 s8, s1, s0
	s_sub_i32 s3, s3, s8
	s_add_i32 s9, s1, 1
	s_sub_i32 s8, s3, s0
	s_cmp_ge_u32 s3, s0
	s_cselect_b32 s1, s9, s1
	s_cselect_b32 s3, s8, s3
	s_add_i32 s8, s1, 1
	s_cmp_ge_u32 s3, s0
	s_cselect_b32 s0, s8, s1
	s_xor_b32 s0, s0, s2
	s_sub_i32 s11, s0, s2
	s_abs_i32 s10, s11
	v_cvt_f32_u32_e32 v2, s10
	s_load_dwordx2 s[8:9], s[4:5], 0xb8
	s_cmp_eq_u64 s[50:51], 0
	v_rcp_iflag_f32_e32 v2, v2
	v_mul_f32_e32 v2, 0x4f7ffffe, v2
	v_cvt_u32_f32_e32 v2, v2
	v_readfirstlane_b32 s12, v2
	s_cbranch_scc1 .LBB37_2
; %bb.1:
	s_waitcnt lgkmcnt(0)
	s_abs_i32 s2, s8
	v_cvt_f32_u32_e32 v2, s2
	s_sub_i32 s13, 0, s2
	s_abs_i32 s8, s33
	s_ashr_i32 s3, s33, 31
	v_rcp_iflag_f32_e32 v2, v2
	s_load_dwordx2 s[0:1], s[4:5], 0xc8
	v_mul_f32_e32 v2, 0x4f7ffffe, v2
	v_cvt_u32_f32_e32 v2, v2
	v_readfirstlane_b32 s14, v2
	s_mul_i32 s13, s13, s14
	s_mul_hi_u32 s13, s14, s13
	s_add_i32 s14, s14, s13
	s_mul_hi_u32 s13, s8, s14
	s_mul_i32 s13, s13, s2
	s_sub_i32 s8, s8, s13
	s_sub_i32 s13, s8, s2
	s_cmp_ge_u32 s8, s2
	s_cselect_b32 s8, s13, s8
	s_sub_i32 s13, s8, s2
	s_cmp_ge_u32 s8, s2
	s_cselect_b32 s2, s13, s8
	s_xor_b32 s2, s2, s3
	s_sub_i32 s2, s2, s3
	s_ashr_i32 s3, s2, 31
	s_waitcnt lgkmcnt(0)
	s_mul_hi_u32 s8, s0, s2
	s_mul_i32 s3, s0, s3
	s_mul_i32 s1, s1, s2
	s_add_i32 s3, s8, s3
	s_add_i32 s3, s3, s1
	s_mul_i32 s0, s0, s2
	s_add_u32 s68, s50, s0
	s_addc_u32 s69, s51, s3
.LBB37_2:
	s_lshl_b32 s67, s6, 4
	v_lshlrev_b32_e32 v30, 1, v1
	s_load_dwordx4 s[0:3], s[4:5], 0x70
	v_add_u32_e32 v31, s67, v30
	v_mul_hi_u32 v2, v31, s60
	v_lshlrev_b32_e32 v20, 4, v0
	v_lshlrev_b32_e32 v32, 3, v0
	s_waitcnt lgkmcnt(0)
	s_mul_i32 s2, s33, s2
	v_add_u32_e32 v2, v31, v2
	s_ashr_i32 s8, s2, 31
	v_lshrrev_b32_e32 v2, s61, v2
	s_mul_i32 s3, s64, s1
	s_add_u32 s2, s44, s2
	v_mul_lo_u32 v2, v2, s62
	s_addc_u32 s8, s45, s8
	s_ashr_i32 s13, s3, 31
	s_add_u32 s18, s2, s3
	s_addc_u32 s8, s8, s13
	s_ashr_i32 s15, s0, 31
	s_mov_b32 s14, s0
	s_lshr_b64 s[2:3], s[14:15], 2
	v_sub_u32_e32 v2, v31, v2
	v_mad_u64_u32 v[4:5], s[16:17], s2, v2, 0
	s_lshr_b32 s3, s15, 2
	s_ashr_i32 s0, s1, 31
	v_mov_b32_e32 v3, v5
	v_mad_u64_u32 v[5:6], s[14:15], s3, v2, v[3:4]
	v_lshlrev_b32_e32 v3, 2, v1
	v_or_b32_e32 v21, 2, v3
	v_lshlrev_b64 v[4:5], 2, v[4:5]
	v_mov_b32_e32 v6, s8
	v_add_co_u32_e32 v7, vcc, s18, v4
	v_lshrrev_b32_e32 v27, 1, v21
	v_addc_co_u32_e32 v6, vcc, v6, v5, vcc
	v_add_u32_e32 v28, s67, v27
	v_add_co_u32_e32 v13, vcc, v7, v20
	s_and_b32 s1, s1, -4
	v_mul_hi_u32 v7, v28, s60
	s_add_u32 s13, s18, s1
	v_addc_co_u32_e32 v14, vcc, 0, v6, vcc
	s_addc_u32 s14, s8, s0
	v_mov_b32_e32 v6, s14
	v_add_co_u32_e32 v4, vcc, s13, v4
	v_addc_co_u32_e32 v5, vcc, v6, v5, vcc
	v_add_u32_e32 v6, v28, v7
	v_lshrrev_b32_e32 v6, s61, v6
	v_add_co_u32_e32 v15, vcc, v4, v20
	v_mul_lo_u32 v17, v6, s62
	v_addc_co_u32_e32 v16, vcc, 0, v5, vcc
	global_load_dwordx4 v[5:8], v[13:14], off
	global_load_dwordx4 v[9:12], v[15:16], off
	v_or_b32_e32 v22, 3, v3
	v_sub_u32_e32 v15, v28, v17
	v_lshrrev_b32_e32 v25, 1, v22
	v_mad_u64_u32 v[13:14], s[0:1], s2, v15, 0
	v_add_u32_e32 v26, s67, v25
	v_mul_hi_u32 v16, v26, s60
	v_mov_b32_e32 v4, v14
	v_add_u32_e32 v23, 0x2400, v32
	s_cmp_eq_u64 s[54:55], 0
	s_waitcnt vmcnt(1)
	v_mad_u64_u32 v[14:15], s[0:1], s3, v15, v[4:5]
	v_add_u32_e32 v4, v26, v16
	v_lshrrev_b32_e32 v4, s61, v4
	v_mul_lo_u32 v4, v4, s62
	v_lshlrev_b64 v[13:14], 2, v[13:14]
	v_mov_b32_e32 v15, s8
	v_add_co_u32_e32 v13, vcc, s18, v13
	v_sub_u32_e32 v16, v26, v4
	v_mad_u64_u32 v[17:18], s[0:1], s2, v16, 0
	v_addc_co_u32_e32 v14, vcc, v15, v14, vcc
	v_mov_b32_e32 v4, v18
	v_mad_u64_u32 v[18:19], s[0:1], s3, v16, v[4:5]
	v_add_co_u32_e32 v13, vcc, v13, v20
	v_addc_co_u32_e32 v14, vcc, 0, v14, vcc
	v_lshlrev_b64 v[17:18], 2, v[17:18]
	global_load_dwordx4 v[13:16], v[13:14], off
	v_mov_b32_e32 v4, s14
	v_add_co_u32_e32 v17, vcc, s13, v17
	v_addc_co_u32_e32 v4, vcc, v4, v18, vcc
	v_add_co_u32_e32 v17, vcc, v17, v20
	v_addc_co_u32_e32 v18, vcc, 0, v4, vcc
	global_load_dwordx4 v[17:20], v[17:18], off
	s_load_dword s0, s[4:5], 0x40
	v_lshlrev_b32_e32 v4, 10, v1
	v_add_u32_e32 v24, v23, v4
	s_waitcnt lgkmcnt(0)
	v_fma_mixlo_f16 v5, s0, v5, 0
	v_fma_mixlo_f16 v6, s0, v6, 0
	v_lshlrev_b32_e32 v6, 16, v6
	v_and_b32_e32 v5, 0xffff, v5
	v_or_b32_e32 v5, v6, v5
	v_fma_mixlo_f16 v6, s0, v7, 0
	v_fma_mixlo_f16 v7, s0, v8, 0
	v_lshlrev_b32_e32 v7, 16, v7
	v_and_b32_e32 v6, 0xffff, v6
	v_or3_b32 v6, v7, v6, 0
	s_waitcnt vmcnt(2)
	v_fma_mixlo_f16 v7, s0, v9, 0
	v_fma_mixlo_f16 v8, s0, v10, 0
	v_lshlrev_b32_e32 v8, 16, v8
	v_and_b32_e32 v7, 0xffff, v7
	v_or_b32_e32 v7, v8, v7
	v_fma_mixlo_f16 v8, s0, v11, 0
	v_fma_mixlo_f16 v9, s0, v12, 0
	v_lshlrev_b32_e32 v9, 16, v9
	v_and_b32_e32 v8, 0xffff, v8
	v_or3_b32 v5, 0, 0, v5
	v_or3_b32 v8, v9, v8, 0
	;; [unrolled: 1-line block ×3, first 2 shown]
	ds_write2_b64 v24, v[5:6], v[7:8] offset1:32
	v_lshl_add_u32 v8, v21, 8, v23
	s_waitcnt vmcnt(1)
	v_fma_mixlo_f16 v5, s0, v13, 0
	v_fma_mixlo_f16 v6, s0, v14, 0
	v_lshlrev_b32_e32 v6, 16, v6
	v_and_b32_e32 v5, 0xffff, v5
	v_or_b32_e32 v5, v6, v5
	v_fma_mixlo_f16 v6, s0, v15, 0
	v_fma_mixlo_f16 v7, s0, v16, 0
	v_lshlrev_b32_e32 v7, 16, v7
	v_and_b32_e32 v6, 0xffff, v6
	v_or3_b32 v6, v7, v6, 0
	v_or3_b32 v5, 0, 0, v5
	ds_write_b64 v8, v[5:6]
	s_waitcnt vmcnt(0)
	v_fma_mixlo_f16 v5, s0, v17, 0
	v_fma_mixlo_f16 v6, s0, v18, 0
	v_lshlrev_b32_e32 v6, 16, v6
	v_and_b32_e32 v5, 0xffff, v5
	v_or_b32_e32 v5, v6, v5
	v_fma_mixlo_f16 v6, s0, v19, 0
	v_fma_mixlo_f16 v7, s0, v20, 0
	v_lshlrev_b32_e32 v7, 16, v7
	v_and_b32_e32 v6, 0xffff, v6
	v_lshl_add_u32 v8, v22, 8, v23
	v_or3_b32 v6, v7, v6, 0
	v_or3_b32 v5, 0, 0, v5
	ds_write_b64 v8, v[5:6]
	s_waitcnt lgkmcnt(0)
	s_barrier
	s_cbranch_scc1 .LBB37_4
; %bb.3:
	s_load_dword s0, s[4:5], 0xd0
	s_mov_b32 s1, 0
	s_waitcnt lgkmcnt(0)
	s_mul_i32 s0, s0, s33
	s_add_i32 s0, s0, s6
	s_lshl_b64 s[0:1], s[0:1], 2
	s_add_u32 s0, s54, s0
	s_addc_u32 s1, s55, s1
	s_load_dword s66, s[0:1], 0x0
.LBB37_4:
	s_lshl_b32 s6, s7, 6
	s_waitcnt lgkmcnt(0)
	s_cmp_lt_i32 s6, s66
	v_mbcnt_lo_u32_b32 v5, -1, 0
	s_cbranch_scc1 .LBB37_7
; %bb.5:
	v_mbcnt_hi_u32_b32 v33, -1, v5
	v_and_b32_e32 v6, 0x60, v33
	v_add_u32_e32 v34, 32, v6
	v_xor_b32_e32 v39, 16, v33
	v_xor_b32_e32 v38, 8, v33
	;; [unrolled: 1-line block ×5, first 2 shown]
	v_lshlrev_b32_e32 v29, 2, v0
	s_cbranch_execz .LBB37_8
; %bb.6:
	v_mov_b32_e32 v66, 0
	v_mov_b32_e32 v59, 0
	;; [unrolled: 1-line block ×16, first 2 shown]
	s_branch .LBB37_10
.LBB37_7:
                                        ; implicit-def: $vgpr33
                                        ; implicit-def: $vgpr34
                                        ; implicit-def: $vgpr39
                                        ; implicit-def: $vgpr38
                                        ; implicit-def: $vgpr37
                                        ; implicit-def: $vgpr35
                                        ; implicit-def: $vgpr36
	v_lshlrev_b32_e32 v29, 2, v0
.LBB37_8:
	s_sub_i32 s0, 0, s10
	s_mul_i32 s0, s0, s12
	s_mul_hi_u32 s0, s12, s0
	s_add_i32 s14, s12, s0
	s_load_dwordx2 s[12:13], s[4:5], 0x8c
	s_load_dwordx4 s[0:3], s[4:5], 0x98
	s_abs_i32 s8, s64
	s_ashr_i32 s17, s64, 31
	s_ashr_i32 s11, s11, 31
	s_waitcnt lgkmcnt(0)
	s_ashr_i32 s70, s12, 2
	s_ashr_i32 s65, s2, 2
	;; [unrolled: 1-line block ×4, first 2 shown]
	s_mul_hi_u32 s12, s0, s33
	s_mul_i32 s18, s0, s9
	s_add_i32 s12, s12, s18
	s_mul_i32 s1, s1, s33
	s_add_i32 s12, s12, s1
	s_mul_i32 s0, s0, s33
	s_mul_hi_u32 s16, s8, s14
	s_add_u32 s0, s46, s0
	s_addc_u32 s1, s47, s12
	s_mul_i32 s12, s16, s10
	s_sub_i32 s8, s8, s12
	s_xor_b32 s11, s17, s11
	s_add_i32 s12, s16, 1
	s_sub_i32 s17, s8, s10
	s_cmp_ge_u32 s8, s10
	s_cselect_b32 s12, s12, s16
	s_cselect_b32 s8, s17, s8
	s_add_i32 s16, s12, 1
	s_cmp_ge_u32 s8, s10
	s_cselect_b32 s8, s16, s12
	s_load_dwordx2 s[14:15], s[4:5], 0xa8
	s_xor_b32 s8, s8, s11
	s_sub_i32 s8, s8, s11
	s_mul_i32 s10, s8, s13
	s_ashr_i32 s11, s10, 31
	s_add_u32 s71, s0, s10
	s_addc_u32 s72, s1, s11
	s_waitcnt lgkmcnt(0)
	s_mul_hi_u32 s0, s14, s33
	s_mul_i32 s1, s14, s9
	s_add_i32 s0, s0, s1
	s_mul_i32 s1, s15, s33
	s_add_i32 s0, s0, s1
	s_mul_i32 s1, s14, s33
	s_add_u32 s1, s48, s1
	s_mul_i32 s8, s8, s3
	s_addc_u32 s0, s49, s0
	s_ashr_i32 s3, s8, 31
	s_add_u32 s73, s1, s8
	v_lshrrev_b32_e32 v6, 3, v0
	v_and_b32_e32 v12, 28, v29
	s_addc_u32 s74, s0, s3
	v_add_u32_e32 v3, v6, v3
	v_lshlrev_b32_e32 v7, 2, v12
	s_movk_i32 s0, 0x90
	v_mul_lo_u32 v6, s70, v3
	v_mad_u32_u24 v40, v3, s0, v7
	v_add3_u32 v3, s67, v30, 1
	v_mul_hi_u32 v10, s60, v3
	v_mul_lo_u32 v44, v2, s2
	v_add_u32_e32 v42, 0x2400, v4
	v_and_b32_e32 v4, 60, v29
	v_add_u32_e32 v10, v3, v10
	v_lshrrev_b32_e32 v10, s61, v10
	v_mul_lo_u32 v10, v10, s62
	v_lshl_add_u32 v8, s70, 5, v6
	v_ashrrev_i32_e32 v7, 31, v6
	v_ashrrev_i32_e32 v9, 31, v8
	v_sub_u32_e32 v2, v3, v10
	v_mul_lo_u32 v45, v2, s2
	v_mov_b32_e32 v2, 0x4400
	v_lshl_add_u32 v46, v1, 9, v2
	v_lshrrev_b32_e32 v1, 4, v0
	v_add_u32_e32 v1, v1, v30
	v_mul_lo_u32 v2, s65, v1
	v_lshlrev_b32_e32 v3, 2, v4
	v_lshl_or_b32 v47, v1, 8, v3
	v_mbcnt_hi_u32_b32 v33, -1, v5
	v_lshl_add_u32 v10, s65, 4, v2
	v_ashrrev_i32_e32 v3, 31, v2
	v_ashrrev_i32_e32 v11, 31, v10
	s_add_u32 s54, s4, 0xd0
	v_lshlrev_b64 v[17:18], 2, v[6:7]
	v_lshlrev_b64 v[19:20], 2, v[8:9]
	v_and_b32_e32 v5, 0x60, v33
	v_lshlrev_b64 v[21:22], 2, v[2:3]
	v_lshlrev_b64 v[23:24], 2, v[10:11]
	v_mov_b32_e32 v57, 0
	v_add_u32_e32 v41, 0x1200, v40
	v_mul_u32_u24_e32 v43, 0x90, v0
	v_add_u32_e32 v48, 0x1000, v47
	s_addc_u32 s55, s5, 0
	v_mov_b32_e32 v1, 0xfeffffff
	v_lshlrev_b32_e32 v49, 2, v12
	v_add_u32_e32 v34, 32, v5
	v_xor_b32_e32 v39, 16, v33
	v_xor_b32_e32 v38, 8, v33
	;; [unrolled: 1-line block ×5, first 2 shown]
	v_mov_b32_e32 v50, s69
	s_mov_b32 s60, 0x3fb8aa3b
	s_mov_b32 s61, 0xc2ce8ed0
	;; [unrolled: 1-line block ×3, first 2 shown]
	v_mov_b32_e32 v51, 0x7f800000
	s_mov_b32 s75, 0x10001
	v_add_u32_e32 v52, v46, v32
	v_lshlrev_b32_e32 v53, 2, v4
	v_add_u32_e32 v54, 0x800, v32
	v_add_u32_e32 v55, 0x1000, v32
	;; [unrolled: 1-line block ×3, first 2 shown]
	v_mov_b32_e32 v58, 0
	v_mov_b32_e32 v62, 0
	;; [unrolled: 1-line block ×14, first 2 shown]
.LBB37_9:                               ; =>This Inner Loop Header: Depth=1
	s_mul_hi_i32 s1, s6, s70
	s_mul_i32 s0, s6, s70
	s_lshl_b64 s[0:1], s[0:1], 2
	s_add_u32 s0, s71, s0
	s_addc_u32 s2, s72, s1
	v_add_co_u32_e32 v5, vcc, s0, v19
	v_add_co_u32_e64 v6, s[0:1], s0, v17
	v_mov_b32_e32 v8, s2
	v_mov_b32_e32 v9, s2
	v_add_co_u32_e64 v7, s[8:9], v6, v49
	v_addc_co_u32_e64 v6, s[0:1], v8, v18, s[0:1]
	v_add_co_u32_e64 v5, s[2:3], v5, v49
	v_addc_co_u32_e32 v9, vcc, v9, v20, vcc
	v_addc_co_u32_e64 v8, vcc, 0, v6, s[8:9]
	v_addc_co_u32_e64 v6, vcc, 0, v9, s[2:3]
	global_load_dwordx4 v[9:12], v[7:8], off
	global_load_dwordx4 v[13:16], v[5:6], off
	v_mov_b32_e32 v69, 0
	v_mov_b32_e32 v71, 0
	;; [unrolled: 1-line block ×8, first 2 shown]
	v_cmp_lt_i32_e32 vcc, v39, v34
	v_cmp_lt_i32_e64 s[0:1], v38, v34
	v_cmp_lt_i32_e64 s[2:3], v37, v34
	;; [unrolled: 1-line block ×4, first 2 shown]
	s_mul_hi_i32 s13, s6, s65
	s_mul_i32 s12, s6, s65
	s_waitcnt vmcnt(1)
	ds_write_b128 v40, v[9:12]
	s_waitcnt vmcnt(0)
	ds_write_b128 v41, v[13:16]
	s_waitcnt lgkmcnt(0)
	s_barrier
	ds_read_b128 v[9:12], v42
	ds_read_b128 v[13:16], v43
	ds_read_b128 v[77:80], v43 offset:4608
	ds_read_b128 v[81:84], v42 offset:256
	;; [unrolled: 1-line block ×4, first 2 shown]
	s_waitcnt lgkmcnt(4)
	;;#ASMSTART
	v_dot2_f32_f16 v69, v13, v9, v69
	;;#ASMEND
	;;#ASMSTART
	v_dot2_f32_f16 v69, v14, v10, v69
	;;#ASMEND
	;;#ASMSTART
	v_dot2_f32_f16 v69, v15, v11, v69
	;;#ASMEND
	;;#ASMSTART
	v_dot2_f32_f16 v69, v16, v12, v69
	;;#ASMEND
	s_waitcnt lgkmcnt(2)
	;;#ASMSTART
	v_dot2_f32_f16 v71, v13, v81, v71
	;;#ASMEND
	;;#ASMSTART
	v_dot2_f32_f16 v71, v14, v82, v71
	;;#ASMEND
	;;#ASMSTART
	v_dot2_f32_f16 v71, v15, v83, v71
	;;#ASMEND
	;;#ASMSTART
	v_dot2_f32_f16 v71, v16, v84, v71
	;;#ASMEND
	;; [unrolled: 13-line block ×4, first 2 shown]
	;;#ASMSTART
	v_dot2_f32_f16 v74, v77, v9, v74
	;;#ASMEND
	;;#ASMSTART
	v_dot2_f32_f16 v74, v78, v10, v74
	;;#ASMEND
	;; [unrolled: 3-line block ×16, first 2 shown]
	ds_read_b128 v[9:12], v42 offset:16
	ds_read_b128 v[13:16], v43 offset:16
	;; [unrolled: 1-line block ×6, first 2 shown]
	s_waitcnt lgkmcnt(4)
	;;#ASMSTART
	v_dot2_f32_f16 v69, v13, v9, v69
	;;#ASMEND
	;;#ASMSTART
	v_dot2_f32_f16 v69, v14, v10, v69
	;;#ASMEND
	;;#ASMSTART
	v_dot2_f32_f16 v69, v15, v11, v69
	;;#ASMEND
	;;#ASMSTART
	v_dot2_f32_f16 v69, v16, v12, v69
	;;#ASMEND
	s_waitcnt lgkmcnt(2)
	;;#ASMSTART
	v_dot2_f32_f16 v71, v13, v81, v71
	;;#ASMEND
	;;#ASMSTART
	v_dot2_f32_f16 v71, v14, v82, v71
	;;#ASMEND
	;;#ASMSTART
	v_dot2_f32_f16 v71, v15, v83, v71
	;;#ASMEND
	;;#ASMSTART
	v_dot2_f32_f16 v71, v16, v84, v71
	;;#ASMEND
	;; [unrolled: 13-line block ×4, first 2 shown]
	;;#ASMSTART
	v_dot2_f32_f16 v74, v77, v9, v74
	;;#ASMEND
	;;#ASMSTART
	v_dot2_f32_f16 v74, v78, v10, v74
	;;#ASMEND
	;; [unrolled: 3-line block ×16, first 2 shown]
	ds_read_b128 v[9:12], v42 offset:32
	ds_read_b128 v[13:16], v43 offset:32
	;; [unrolled: 1-line block ×6, first 2 shown]
	s_waitcnt lgkmcnt(4)
	;;#ASMSTART
	v_dot2_f32_f16 v69, v13, v9, v69
	;;#ASMEND
	;;#ASMSTART
	v_dot2_f32_f16 v69, v14, v10, v69
	;;#ASMEND
	;;#ASMSTART
	v_dot2_f32_f16 v69, v15, v11, v69
	;;#ASMEND
	;;#ASMSTART
	v_dot2_f32_f16 v69, v16, v12, v69
	;;#ASMEND
	s_waitcnt lgkmcnt(2)
	;;#ASMSTART
	v_dot2_f32_f16 v71, v13, v81, v71
	;;#ASMEND
	;;#ASMSTART
	v_dot2_f32_f16 v71, v14, v82, v71
	;;#ASMEND
	;;#ASMSTART
	v_dot2_f32_f16 v71, v15, v83, v71
	;;#ASMEND
	;;#ASMSTART
	v_dot2_f32_f16 v71, v16, v84, v71
	;;#ASMEND
	;; [unrolled: 13-line block ×4, first 2 shown]
	;;#ASMSTART
	v_dot2_f32_f16 v74, v77, v9, v74
	;;#ASMEND
	;;#ASMSTART
	v_dot2_f32_f16 v74, v78, v10, v74
	;;#ASMEND
	;; [unrolled: 3-line block ×16, first 2 shown]
	ds_read_b128 v[9:12], v42 offset:48
	ds_read_b128 v[13:16], v43 offset:48
	;; [unrolled: 1-line block ×6, first 2 shown]
	s_waitcnt lgkmcnt(4)
	;;#ASMSTART
	v_dot2_f32_f16 v69, v13, v9, v69
	;;#ASMEND
	;;#ASMSTART
	v_dot2_f32_f16 v69, v14, v10, v69
	;;#ASMEND
	;;#ASMSTART
	v_dot2_f32_f16 v69, v15, v11, v69
	;;#ASMEND
	;;#ASMSTART
	v_dot2_f32_f16 v69, v16, v12, v69
	;;#ASMEND
	s_waitcnt lgkmcnt(2)
	;;#ASMSTART
	v_dot2_f32_f16 v71, v13, v81, v71
	;;#ASMEND
	;;#ASMSTART
	v_dot2_f32_f16 v71, v14, v82, v71
	;;#ASMEND
	;;#ASMSTART
	v_dot2_f32_f16 v71, v15, v83, v71
	;;#ASMEND
	;;#ASMSTART
	v_dot2_f32_f16 v71, v16, v84, v71
	;;#ASMEND
	;; [unrolled: 13-line block ×4, first 2 shown]
	;;#ASMSTART
	v_dot2_f32_f16 v74, v77, v9, v74
	;;#ASMEND
	;;#ASMSTART
	v_dot2_f32_f16 v74, v78, v10, v74
	;;#ASMEND
	;; [unrolled: 3-line block ×16, first 2 shown]
	ds_read_b128 v[9:12], v42 offset:64
	ds_read_b128 v[13:16], v43 offset:64
	;; [unrolled: 1-line block ×6, first 2 shown]
	s_waitcnt lgkmcnt(4)
	;;#ASMSTART
	v_dot2_f32_f16 v69, v13, v9, v69
	;;#ASMEND
	;;#ASMSTART
	v_dot2_f32_f16 v69, v14, v10, v69
	;;#ASMEND
	;;#ASMSTART
	v_dot2_f32_f16 v69, v15, v11, v69
	;;#ASMEND
	;;#ASMSTART
	v_dot2_f32_f16 v69, v16, v12, v69
	;;#ASMEND
	s_waitcnt lgkmcnt(2)
	;;#ASMSTART
	v_dot2_f32_f16 v71, v13, v81, v71
	;;#ASMEND
	;;#ASMSTART
	v_dot2_f32_f16 v71, v14, v82, v71
	;;#ASMEND
	;;#ASMSTART
	v_dot2_f32_f16 v71, v15, v83, v71
	;;#ASMEND
	;;#ASMSTART
	v_dot2_f32_f16 v71, v16, v84, v71
	;;#ASMEND
	;; [unrolled: 13-line block ×4, first 2 shown]
	;;#ASMSTART
	v_dot2_f32_f16 v74, v77, v9, v74
	;;#ASMEND
	;;#ASMSTART
	v_dot2_f32_f16 v74, v78, v10, v74
	;;#ASMEND
	;; [unrolled: 3-line block ×16, first 2 shown]
	ds_read_b128 v[9:12], v42 offset:80
	ds_read_b128 v[13:16], v43 offset:80
	;; [unrolled: 1-line block ×6, first 2 shown]
	s_waitcnt lgkmcnt(4)
	;;#ASMSTART
	v_dot2_f32_f16 v69, v13, v9, v69
	;;#ASMEND
	;;#ASMSTART
	v_dot2_f32_f16 v69, v14, v10, v69
	;;#ASMEND
	;;#ASMSTART
	v_dot2_f32_f16 v69, v15, v11, v69
	;;#ASMEND
	;;#ASMSTART
	v_dot2_f32_f16 v69, v16, v12, v69
	;;#ASMEND
	s_waitcnt lgkmcnt(2)
	;;#ASMSTART
	v_dot2_f32_f16 v71, v13, v81, v71
	;;#ASMEND
	;;#ASMSTART
	v_dot2_f32_f16 v71, v14, v82, v71
	;;#ASMEND
	;;#ASMSTART
	v_dot2_f32_f16 v71, v15, v83, v71
	;;#ASMEND
	;;#ASMSTART
	v_dot2_f32_f16 v71, v16, v84, v71
	;;#ASMEND
	;; [unrolled: 13-line block ×4, first 2 shown]
	;;#ASMSTART
	v_dot2_f32_f16 v74, v77, v9, v74
	;;#ASMEND
	;;#ASMSTART
	v_dot2_f32_f16 v74, v78, v10, v74
	;;#ASMEND
	;; [unrolled: 3-line block ×16, first 2 shown]
	ds_read_b128 v[9:12], v42 offset:96
	ds_read_b128 v[13:16], v43 offset:96
	;; [unrolled: 1-line block ×6, first 2 shown]
	s_waitcnt lgkmcnt(4)
	;;#ASMSTART
	v_dot2_f32_f16 v69, v13, v9, v69
	;;#ASMEND
	;;#ASMSTART
	v_dot2_f32_f16 v69, v14, v10, v69
	;;#ASMEND
	;;#ASMSTART
	v_dot2_f32_f16 v69, v15, v11, v69
	;;#ASMEND
	;;#ASMSTART
	v_dot2_f32_f16 v69, v16, v12, v69
	;;#ASMEND
	s_waitcnt lgkmcnt(2)
	;;#ASMSTART
	v_dot2_f32_f16 v71, v13, v81, v71
	;;#ASMEND
	;;#ASMSTART
	v_dot2_f32_f16 v71, v14, v82, v71
	;;#ASMEND
	;;#ASMSTART
	v_dot2_f32_f16 v71, v15, v83, v71
	;;#ASMEND
	;;#ASMSTART
	v_dot2_f32_f16 v71, v16, v84, v71
	;;#ASMEND
	;; [unrolled: 13-line block ×4, first 2 shown]
	;;#ASMSTART
	v_dot2_f32_f16 v74, v77, v9, v74
	;;#ASMEND
	;;#ASMSTART
	v_dot2_f32_f16 v74, v78, v10, v74
	;;#ASMEND
	;;#ASMSTART
	v_dot2_f32_f16 v74, v79, v11, v74
	;;#ASMEND
	;;#ASMSTART
	v_dot2_f32_f16 v74, v80, v12, v74
	;;#ASMEND
	;;#ASMSTART
	v_dot2_f32_f16 v75, v77, v81, v75
	;;#ASMEND
	;;#ASMSTART
	v_dot2_f32_f16 v75, v78, v82, v75
	;;#ASMEND
	;;#ASMSTART
	v_dot2_f32_f16 v75, v79, v83, v75
	;;#ASMEND
	;;#ASMSTART
	v_dot2_f32_f16 v75, v80, v84, v75
	;;#ASMEND
	;;#ASMSTART
	v_dot2_f32_f16 v76, v77, v85, v76
	;;#ASMEND
	;;#ASMSTART
	v_dot2_f32_f16 v76, v78, v86, v76
	;;#ASMEND
	;;#ASMSTART
	v_dot2_f32_f16 v76, v79, v87, v76
	;;#ASMEND
	;;#ASMSTART
	v_dot2_f32_f16 v76, v80, v88, v76
	;;#ASMEND
	;;#ASMSTART
	v_dot2_f32_f16 v73, v77, v89, v73
	;;#ASMEND
	;;#ASMSTART
	v_dot2_f32_f16 v73, v78, v90, v73
	;;#ASMEND
	;;#ASMSTART
	v_dot2_f32_f16 v73, v79, v91, v73
	;;#ASMEND
	;;#ASMSTART
	v_dot2_f32_f16 v73, v80, v92, v73
	;;#ASMEND
	ds_read_b128 v[9:12], v42 offset:112
	ds_read_b128 v[13:16], v43 offset:112
	;; [unrolled: 1-line block ×6, first 2 shown]
	s_waitcnt lgkmcnt(4)
	;;#ASMSTART
	v_dot2_f32_f16 v69, v13, v9, v69
	;;#ASMEND
	;;#ASMSTART
	v_dot2_f32_f16 v69, v14, v10, v69
	;;#ASMEND
	;;#ASMSTART
	v_dot2_f32_f16 v69, v15, v11, v69
	;;#ASMEND
	;;#ASMSTART
	v_dot2_f32_f16 v69, v16, v12, v69
	;;#ASMEND
	s_waitcnt lgkmcnt(2)
	;;#ASMSTART
	v_dot2_f32_f16 v71, v13, v81, v71
	;;#ASMEND
	;;#ASMSTART
	v_dot2_f32_f16 v71, v14, v82, v71
	;;#ASMEND
	;;#ASMSTART
	v_dot2_f32_f16 v71, v15, v83, v71
	;;#ASMEND
	;;#ASMSTART
	v_dot2_f32_f16 v71, v16, v84, v71
	;;#ASMEND
	;; [unrolled: 13-line block ×4, first 2 shown]
	;;#ASMSTART
	v_dot2_f32_f16 v74, v77, v9, v74
	;;#ASMEND
	;;#ASMSTART
	v_dot2_f32_f16 v74, v78, v10, v74
	;;#ASMEND
	;; [unrolled: 3-line block ×16, first 2 shown]
	s_barrier
	global_load_dwordx4 v[7:10], v[7:8], off offset:128
	s_nop 0
	global_load_dwordx4 v[11:14], v[5:6], off offset:128
	s_waitcnt vmcnt(1)
	ds_write_b128 v40, v[7:10]
	s_waitcnt vmcnt(0)
	ds_write_b128 v41, v[11:14]
	s_waitcnt lgkmcnt(0)
	s_barrier
	ds_read_b128 v[5:8], v42 offset:128
	ds_read_b128 v[9:12], v43
	ds_read_b128 v[13:16], v43 offset:4608
	ds_read_b128 v[77:80], v42 offset:384
	;; [unrolled: 1-line block ×4, first 2 shown]
	s_waitcnt lgkmcnt(4)
	;;#ASMSTART
	v_dot2_f32_f16 v69, v9, v5, v69
	;;#ASMEND
	;;#ASMSTART
	v_dot2_f32_f16 v69, v10, v6, v69
	;;#ASMEND
	;;#ASMSTART
	v_dot2_f32_f16 v69, v11, v7, v69
	;;#ASMEND
	;;#ASMSTART
	v_dot2_f32_f16 v69, v12, v8, v69
	;;#ASMEND
	s_waitcnt lgkmcnt(2)
	;;#ASMSTART
	v_dot2_f32_f16 v71, v9, v77, v71
	;;#ASMEND
	;;#ASMSTART
	v_dot2_f32_f16 v71, v10, v78, v71
	;;#ASMEND
	;;#ASMSTART
	v_dot2_f32_f16 v71, v11, v79, v71
	;;#ASMEND
	;;#ASMSTART
	v_dot2_f32_f16 v71, v12, v80, v71
	;;#ASMEND
	;; [unrolled: 13-line block ×4, first 2 shown]
	;;#ASMSTART
	v_dot2_f32_f16 v74, v13, v5, v74
	;;#ASMEND
	;;#ASMSTART
	v_dot2_f32_f16 v74, v14, v6, v74
	;;#ASMEND
	;; [unrolled: 3-line block ×16, first 2 shown]
	ds_read_b128 v[5:8], v42 offset:144
	ds_read_b128 v[9:12], v43 offset:16
	;; [unrolled: 1-line block ×6, first 2 shown]
	s_waitcnt lgkmcnt(4)
	;;#ASMSTART
	v_dot2_f32_f16 v69, v9, v5, v69
	;;#ASMEND
	;;#ASMSTART
	v_dot2_f32_f16 v69, v10, v6, v69
	;;#ASMEND
	;;#ASMSTART
	v_dot2_f32_f16 v69, v11, v7, v69
	;;#ASMEND
	;;#ASMSTART
	v_dot2_f32_f16 v69, v12, v8, v69
	;;#ASMEND
	s_waitcnt lgkmcnt(2)
	;;#ASMSTART
	v_dot2_f32_f16 v71, v9, v77, v71
	;;#ASMEND
	;;#ASMSTART
	v_dot2_f32_f16 v71, v10, v78, v71
	;;#ASMEND
	;;#ASMSTART
	v_dot2_f32_f16 v71, v11, v79, v71
	;;#ASMEND
	;;#ASMSTART
	v_dot2_f32_f16 v71, v12, v80, v71
	;;#ASMEND
	;; [unrolled: 13-line block ×4, first 2 shown]
	;;#ASMSTART
	v_dot2_f32_f16 v74, v13, v5, v74
	;;#ASMEND
	;;#ASMSTART
	v_dot2_f32_f16 v74, v14, v6, v74
	;;#ASMEND
	;; [unrolled: 3-line block ×16, first 2 shown]
	ds_read_b128 v[5:8], v42 offset:160
	ds_read_b128 v[9:12], v43 offset:32
	;; [unrolled: 1-line block ×6, first 2 shown]
	s_waitcnt lgkmcnt(4)
	;;#ASMSTART
	v_dot2_f32_f16 v69, v9, v5, v69
	;;#ASMEND
	;;#ASMSTART
	v_dot2_f32_f16 v69, v10, v6, v69
	;;#ASMEND
	;;#ASMSTART
	v_dot2_f32_f16 v69, v11, v7, v69
	;;#ASMEND
	;;#ASMSTART
	v_dot2_f32_f16 v69, v12, v8, v69
	;;#ASMEND
	s_waitcnt lgkmcnt(2)
	;;#ASMSTART
	v_dot2_f32_f16 v71, v9, v77, v71
	;;#ASMEND
	;;#ASMSTART
	v_dot2_f32_f16 v71, v10, v78, v71
	;;#ASMEND
	;;#ASMSTART
	v_dot2_f32_f16 v71, v11, v79, v71
	;;#ASMEND
	;;#ASMSTART
	v_dot2_f32_f16 v71, v12, v80, v71
	;;#ASMEND
	;; [unrolled: 13-line block ×4, first 2 shown]
	;;#ASMSTART
	v_dot2_f32_f16 v74, v13, v5, v74
	;;#ASMEND
	;;#ASMSTART
	v_dot2_f32_f16 v74, v14, v6, v74
	;;#ASMEND
	;; [unrolled: 3-line block ×16, first 2 shown]
	ds_read_b128 v[5:8], v42 offset:176
	ds_read_b128 v[9:12], v43 offset:48
	;; [unrolled: 1-line block ×6, first 2 shown]
	s_waitcnt lgkmcnt(4)
	;;#ASMSTART
	v_dot2_f32_f16 v69, v9, v5, v69
	;;#ASMEND
	;;#ASMSTART
	v_dot2_f32_f16 v69, v10, v6, v69
	;;#ASMEND
	;;#ASMSTART
	v_dot2_f32_f16 v69, v11, v7, v69
	;;#ASMEND
	;;#ASMSTART
	v_dot2_f32_f16 v69, v12, v8, v69
	;;#ASMEND
	s_waitcnt lgkmcnt(2)
	;;#ASMSTART
	v_dot2_f32_f16 v71, v9, v77, v71
	;;#ASMEND
	;;#ASMSTART
	v_dot2_f32_f16 v71, v10, v78, v71
	;;#ASMEND
	;;#ASMSTART
	v_dot2_f32_f16 v71, v11, v79, v71
	;;#ASMEND
	;;#ASMSTART
	v_dot2_f32_f16 v71, v12, v80, v71
	;;#ASMEND
	;; [unrolled: 13-line block ×4, first 2 shown]
	;;#ASMSTART
	v_dot2_f32_f16 v74, v13, v5, v74
	;;#ASMEND
	;;#ASMSTART
	v_dot2_f32_f16 v74, v14, v6, v74
	;;#ASMEND
	;;#ASMSTART
	v_dot2_f32_f16 v74, v15, v7, v74
	;;#ASMEND
	;;#ASMSTART
	v_dot2_f32_f16 v74, v16, v8, v74
	;;#ASMEND
	;;#ASMSTART
	v_dot2_f32_f16 v75, v13, v77, v75
	;;#ASMEND
	;;#ASMSTART
	v_dot2_f32_f16 v75, v14, v78, v75
	;;#ASMEND
	;;#ASMSTART
	v_dot2_f32_f16 v75, v15, v79, v75
	;;#ASMEND
	;;#ASMSTART
	v_dot2_f32_f16 v75, v16, v80, v75
	;;#ASMEND
	;;#ASMSTART
	v_dot2_f32_f16 v76, v13, v81, v76
	;;#ASMEND
	;;#ASMSTART
	v_dot2_f32_f16 v76, v14, v82, v76
	;;#ASMEND
	;;#ASMSTART
	v_dot2_f32_f16 v76, v15, v83, v76
	;;#ASMEND
	;;#ASMSTART
	v_dot2_f32_f16 v76, v16, v84, v76
	;;#ASMEND
	;;#ASMSTART
	v_dot2_f32_f16 v73, v13, v85, v73
	;;#ASMEND
	;;#ASMSTART
	v_dot2_f32_f16 v73, v14, v86, v73
	;;#ASMEND
	;;#ASMSTART
	v_dot2_f32_f16 v73, v15, v87, v73
	;;#ASMEND
	;;#ASMSTART
	v_dot2_f32_f16 v73, v16, v88, v73
	;;#ASMEND
	ds_read_b128 v[5:8], v42 offset:192
	ds_read_b128 v[9:12], v43 offset:64
	;; [unrolled: 1-line block ×6, first 2 shown]
	s_waitcnt lgkmcnt(4)
	;;#ASMSTART
	v_dot2_f32_f16 v69, v9, v5, v69
	;;#ASMEND
	;;#ASMSTART
	v_dot2_f32_f16 v69, v10, v6, v69
	;;#ASMEND
	;;#ASMSTART
	v_dot2_f32_f16 v69, v11, v7, v69
	;;#ASMEND
	;;#ASMSTART
	v_dot2_f32_f16 v69, v12, v8, v69
	;;#ASMEND
	s_waitcnt lgkmcnt(2)
	;;#ASMSTART
	v_dot2_f32_f16 v71, v9, v77, v71
	;;#ASMEND
	;;#ASMSTART
	v_dot2_f32_f16 v71, v10, v78, v71
	;;#ASMEND
	;;#ASMSTART
	v_dot2_f32_f16 v71, v11, v79, v71
	;;#ASMEND
	;;#ASMSTART
	v_dot2_f32_f16 v71, v12, v80, v71
	;;#ASMEND
	;; [unrolled: 13-line block ×4, first 2 shown]
	;;#ASMSTART
	v_dot2_f32_f16 v74, v13, v5, v74
	;;#ASMEND
	;;#ASMSTART
	v_dot2_f32_f16 v74, v14, v6, v74
	;;#ASMEND
	;; [unrolled: 3-line block ×16, first 2 shown]
	ds_read_b128 v[5:8], v42 offset:208
	ds_read_b128 v[9:12], v43 offset:80
	;; [unrolled: 1-line block ×6, first 2 shown]
	s_waitcnt lgkmcnt(4)
	;;#ASMSTART
	v_dot2_f32_f16 v69, v9, v5, v69
	;;#ASMEND
	;;#ASMSTART
	v_dot2_f32_f16 v69, v10, v6, v69
	;;#ASMEND
	;;#ASMSTART
	v_dot2_f32_f16 v69, v11, v7, v69
	;;#ASMEND
	;;#ASMSTART
	v_dot2_f32_f16 v69, v12, v8, v69
	;;#ASMEND
	s_waitcnt lgkmcnt(2)
	;;#ASMSTART
	v_dot2_f32_f16 v71, v9, v77, v71
	;;#ASMEND
	;;#ASMSTART
	v_dot2_f32_f16 v71, v10, v78, v71
	;;#ASMEND
	;;#ASMSTART
	v_dot2_f32_f16 v71, v11, v79, v71
	;;#ASMEND
	;;#ASMSTART
	v_dot2_f32_f16 v71, v12, v80, v71
	;;#ASMEND
	;; [unrolled: 13-line block ×4, first 2 shown]
	;;#ASMSTART
	v_dot2_f32_f16 v74, v13, v5, v74
	;;#ASMEND
	;;#ASMSTART
	v_dot2_f32_f16 v74, v14, v6, v74
	;;#ASMEND
	;; [unrolled: 3-line block ×16, first 2 shown]
	ds_read_b128 v[5:8], v42 offset:224
	ds_read_b128 v[9:12], v43 offset:96
	;; [unrolled: 1-line block ×6, first 2 shown]
	s_waitcnt lgkmcnt(4)
	;;#ASMSTART
	v_dot2_f32_f16 v69, v9, v5, v69
	;;#ASMEND
	;;#ASMSTART
	v_dot2_f32_f16 v69, v10, v6, v69
	;;#ASMEND
	;;#ASMSTART
	v_dot2_f32_f16 v69, v11, v7, v69
	;;#ASMEND
	;;#ASMSTART
	v_dot2_f32_f16 v69, v12, v8, v69
	;;#ASMEND
	s_waitcnt lgkmcnt(2)
	;;#ASMSTART
	v_dot2_f32_f16 v71, v9, v77, v71
	;;#ASMEND
	;;#ASMSTART
	v_dot2_f32_f16 v71, v10, v78, v71
	;;#ASMEND
	;;#ASMSTART
	v_dot2_f32_f16 v71, v11, v79, v71
	;;#ASMEND
	;;#ASMSTART
	v_dot2_f32_f16 v71, v12, v80, v71
	;;#ASMEND
	;; [unrolled: 13-line block ×4, first 2 shown]
	;;#ASMSTART
	v_dot2_f32_f16 v74, v13, v5, v74
	;;#ASMEND
	;;#ASMSTART
	v_dot2_f32_f16 v74, v14, v6, v74
	;;#ASMEND
	;; [unrolled: 3-line block ×16, first 2 shown]
	ds_read_b128 v[77:80], v42 offset:240
	ds_read_b128 v[81:84], v43 offset:112
	;; [unrolled: 1-line block ×6, first 2 shown]
	s_waitcnt lgkmcnt(4)
	;;#ASMSTART
	v_dot2_f32_f16 v69, v81, v77, v69
	;;#ASMEND
	;;#ASMSTART
	v_dot2_f32_f16 v69, v82, v78, v69
	;;#ASMEND
	;;#ASMSTART
	v_dot2_f32_f16 v69, v83, v79, v69
	;;#ASMEND
	;;#ASMSTART
	v_dot2_f32_f16 v69, v84, v80, v69
	;;#ASMEND
	s_waitcnt lgkmcnt(2)
	;;#ASMSTART
	v_dot2_f32_f16 v71, v81, v85, v71
	;;#ASMEND
	;;#ASMSTART
	v_dot2_f32_f16 v71, v82, v86, v71
	;;#ASMEND
	;;#ASMSTART
	v_dot2_f32_f16 v71, v83, v87, v71
	;;#ASMEND
	;;#ASMSTART
	v_dot2_f32_f16 v71, v84, v88, v71
	;;#ASMEND
	;; [unrolled: 13-line block ×4, first 2 shown]
	;;#ASMSTART
	v_dot2_f32_f16 v74, v5, v77, v74
	;;#ASMEND
	;;#ASMSTART
	v_dot2_f32_f16 v74, v6, v78, v74
	;;#ASMEND
	;;#ASMSTART
	v_dot2_f32_f16 v74, v7, v79, v74
	;;#ASMEND
	;;#ASMSTART
	v_dot2_f32_f16 v74, v8, v80, v74
	;;#ASMEND
	;;#ASMSTART
	v_dot2_f32_f16 v75, v5, v85, v75
	;;#ASMEND
	;;#ASMSTART
	v_dot2_f32_f16 v75, v6, v86, v75
	;;#ASMEND
	;;#ASMSTART
	v_dot2_f32_f16 v75, v7, v87, v75
	;;#ASMEND
	;;#ASMSTART
	v_dot2_f32_f16 v75, v8, v88, v75
	;;#ASMEND
	;;#ASMSTART
	v_dot2_f32_f16 v76, v5, v13, v76
	;;#ASMEND
	v_mov_b32_e32 v78, v2
	;;#ASMSTART
	v_dot2_f32_f16 v76, v6, v14, v76
	;;#ASMEND
	v_add_u32_e32 v2, s6, v0
	v_mov_b32_e32 v79, v1
	;;#ASMSTART
	v_dot2_f32_f16 v76, v7, v15, v76
	;;#ASMEND
	v_add_u32_e32 v1, v2, v44
	;;#ASMSTART
	v_dot2_f32_f16 v76, v8, v16, v76
	;;#ASMEND
	;;#ASMSTART
	v_dot2_f32_f16 v73, v5, v9, v73
	;;#ASMEND
	v_add_u32_e32 v5, v2, v45
	v_ashrrev_i32_e32 v2, 31, v1
	v_lshlrev_b64 v[1:2], 1, v[1:2]
	;;#ASMSTART
	v_dot2_f32_f16 v73, v6, v10, v73
	;;#ASMEND
	v_ashrrev_i32_e32 v6, 31, v5
	v_mov_b32_e32 v77, v3
	v_cndmask_b32_e32 v3, v33, v39, vcc
	v_lshlrev_b64 v[5:6], 1, v[5:6]
	v_add_co_u32_e32 v1, vcc, s68, v1
	v_addc_co_u32_e32 v2, vcc, v50, v2, vcc
	;;#ASMSTART
	v_dot2_f32_f16 v73, v7, v11, v73
	;;#ASMEND
	v_add_co_u32_e32 v5, vcc, s68, v5
	;;#ASMSTART
	v_dot2_f32_f16 v73, v8, v12, v73
	;;#ASMEND
	v_lshlrev_b32_e32 v82, 2, v3
	v_addc_co_u32_e32 v6, vcc, v50, v6, vcc
	global_load_ushort v3, v[1:2], off
	s_nop 0
	global_load_ushort v1, v[1:2], off offset:64
	s_nop 0
	global_load_ushort v2, v[5:6], off
	s_nop 0
	global_load_ushort v5, v[5:6], off offset:64
	v_cndmask_b32_e64 v13, v33, v38, s[0:1]
	v_lshlrev_b32_e32 v81, 2, v13
	v_cndmask_b32_e64 v14, v33, v37, s[2:3]
	v_lshlrev_b32_e32 v80, 2, v14
	v_cndmask_b32_e64 v7, v33, v35, s[8:9]
	v_lshlrev_b32_e32 v16, 2, v7
	v_cndmask_b32_e64 v8, v33, v36, s[10:11]
	v_lshlrev_b32_e32 v15, 2, v8
	s_lshl_b64 s[0:1], s[12:13], 2
	s_add_u32 s2, s73, s0
	s_addc_u32 s3, s74, s1
	v_add_co_u32_e32 v10, vcc, s2, v21
	v_mov_b32_e32 v6, s3
	v_add_co_u32_e64 v9, s[0:1], s2, v23
	v_mov_b32_e32 v11, s3
	v_addc_co_u32_e32 v6, vcc, v6, v22, vcc
	s_or_b32 s8, s6, 32
	s_waitcnt vmcnt(0)
	s_barrier
	v_cvt_f32_f16_e32 v3, v3
	v_cvt_f32_f16_e32 v1, v1
	;; [unrolled: 1-line block ×4, first 2 shown]
	v_add_f32_e32 v83, v69, v3
	v_add_f32_e32 v74, v74, v1
	;; [unrolled: 1-line block ×5, first 2 shown]
	v_max3_f32 v1, v79, v1, v2
	ds_bpermute_b32 v2, v82, v1
	v_add_f32_e32 v71, v71, v3
	v_add_f32_e32 v3, 0x40051340, v69
	;; [unrolled: 1-line block ×4, first 2 shown]
	s_waitcnt lgkmcnt(0)
	v_max_f32_e32 v2, v2, v2
	v_max_f32_e32 v1, v1, v2
	ds_bpermute_b32 v2, v81, v1
	v_add_f32_e32 v5, 0x40051340, v7
	v_add_f32_e32 v72, v70, v84
	;; [unrolled: 1-line block ×3, first 2 shown]
	v_mov_b32_e32 v73, v4
	s_waitcnt lgkmcnt(0)
	v_max_f32_e32 v2, v2, v2
	v_max_f32_e32 v1, v1, v2
	ds_bpermute_b32 v2, v80, v1
	v_add_f32_e32 v4, 0x40051340, v72
	v_add_f32_e32 v75, 0x40051340, v70
	v_max3_f32 v4, v73, v4, v75
	ds_bpermute_b32 v75, v82, v4
	s_waitcnt lgkmcnt(1)
	v_max_f32_e32 v2, v2, v2
	v_max_f32_e32 v1, v1, v2
	ds_bpermute_b32 v2, v16, v1
	s_waitcnt lgkmcnt(1)
	v_max_f32_e32 v75, v75, v75
	v_max_f32_e32 v4, v4, v75
	;; [unrolled: 4-line block ×5, first 2 shown]
	v_add_f32_e32 v2, 0x40051340, v71
	v_max3_f32 v2, v78, v2, v3
	ds_bpermute_b32 v3, v82, v2
	s_waitcnt lgkmcnt(1)
	v_max_f32_e32 v75, v75, v75
	v_max_f32_e32 v4, v4, v75
	s_waitcnt lgkmcnt(0)
	v_max_f32_e32 v3, v3, v3
	v_max_f32_e32 v2, v2, v3
	ds_bpermute_b32 v3, v81, v2
	s_waitcnt lgkmcnt(0)
	v_max_f32_e32 v3, v3, v3
	v_max_f32_e32 v2, v2, v3
	ds_bpermute_b32 v3, v80, v2
	;; [unrolled: 4-line block ×4, first 2 shown]
	s_waitcnt lgkmcnt(0)
	v_max_f32_e32 v3, v3, v3
	v_max_f32_e32 v2, v2, v3
	v_add_f32_e32 v3, 0x40051340, v8
	v_max3_f32 v3, v77, v3, v5
	ds_bpermute_b32 v5, v82, v3
	v_sub_f32_e32 v71, v71, v2
	v_sub_f32_e32 v69, v69, v2
	v_cmp_ngt_f32_e64 s[20:21], s61, v71
	v_cmp_nlt_f32_e64 s[12:13], s69, v71
	s_waitcnt lgkmcnt(0)
	v_max_f32_e32 v5, v5, v5
	v_max_f32_e32 v3, v3, v5
	ds_bpermute_b32 v5, v81, v3
	v_cmp_ngt_f32_e64 s[24:25], s61, v69
	v_cmp_nlt_f32_e64 s[18:19], s69, v69
	s_waitcnt lgkmcnt(0)
	v_max_f32_e32 v5, v5, v5
	v_max_f32_e32 v3, v3, v5
	ds_bpermute_b32 v5, v80, v3
	s_waitcnt lgkmcnt(0)
	v_max_f32_e32 v5, v5, v5
	v_max_f32_e32 v3, v3, v5
	ds_bpermute_b32 v5, v16, v3
	ds_bpermute_b32 v16, v16, v4
	s_waitcnt lgkmcnt(1)
	v_max_f32_e32 v5, v5, v5
	v_max_f32_e32 v3, v3, v5
	ds_bpermute_b32 v5, v15, v3
	s_waitcnt lgkmcnt(1)
	v_max_f32_e32 v16, v16, v16
	v_max_f32_e32 v4, v4, v16
	ds_bpermute_b32 v15, v15, v4
	v_sub_f32_e32 v16, v74, v1
	s_waitcnt lgkmcnt(1)
	v_max_f32_e32 v5, v5, v5
	v_max_f32_e32 v3, v3, v5
	v_add_co_u32_e64 v5, s[2:3], v10, v53
	v_addc_co_u32_e64 v6, vcc, 0, v6, s[2:3]
	s_waitcnt lgkmcnt(0)
	v_max_f32_e32 v15, v15, v15
	v_add_co_u32_e32 v13, vcc, v9, v53
	s_mul_hi_i32 s3, s8, s65
	s_mul_i32 s2, s8, s65
	v_addc_co_u32_e64 v9, s[0:1], v11, v24, s[0:1]
	v_max_f32_e32 v4, v4, v15
	v_sub_f32_e32 v15, v83, v1
	s_lshl_b64 s[0:1], s[2:3], 2
	v_mul_f32_e32 v74, 0x3fb8aa3b, v15
	s_add_u32 s0, s73, s0
	v_mul_f32_e32 v75, 0x3fb8aa3b, v16
	v_fma_f32 v76, v15, s60, -v74
	v_addc_co_u32_e32 v14, vcc, 0, v9, vcc
	s_addc_u32 s1, s74, s1
	v_cmp_ngt_f32_e64 s[16:17], s61, v15
	v_cmp_nlt_f32_e64 s[10:11], s69, v15
	v_fmac_f32_e32 v76, 0x32a5705f, v15
	v_fma_f32 v15, v16, s60, -v75
	v_add_co_u32_e32 v9, vcc, s0, v21
	v_mov_b32_e32 v10, s1
	v_cmp_ngt_f32_e64 s[14:15], s61, v16
	v_cmp_nlt_f32_e64 s[8:9], s69, v16
	v_fmac_f32_e32 v15, 0x32a5705f, v16
	v_mul_f32_e32 v16, 0x3fb8aa3b, v71
	v_addc_co_u32_e32 v10, vcc, v10, v22, vcc
	v_fma_f32 v80, v71, s60, -v16
	v_add_co_u32_e32 v9, vcc, v9, v53
	v_fmac_f32_e32 v80, 0x32a5705f, v71
	v_mul_f32_e32 v71, 0x3fb8aa3b, v69
	v_addc_co_u32_e32 v10, vcc, 0, v10, vcc
	v_fma_f32 v81, v69, s60, -v71
	v_sub_f32_e32 v8, v8, v3
	v_add_co_u32_e32 v11, vcc, s0, v23
	v_mov_b32_e32 v12, s1
	v_fmac_f32_e32 v81, 0x32a5705f, v69
	v_mul_f32_e32 v69, 0x3fb8aa3b, v8
	v_addc_co_u32_e32 v12, vcc, v12, v24, vcc
	v_fma_f32 v82, v8, s60, -v69
	v_sub_f32_e32 v7, v7, v3
	v_add_co_u32_e32 v11, vcc, v11, v53
	v_cmp_ngt_f32_e64 s[26:27], s61, v8
	v_cmp_nlt_f32_e64 s[22:23], s69, v8
	v_fmac_f32_e32 v82, 0x32a5705f, v8
	v_mul_f32_e32 v8, 0x3fb8aa3b, v7
	v_addc_co_u32_e32 v12, vcc, 0, v12, vcc
	v_fma_f32 v83, v7, s60, -v8
	v_cmp_ngt_f32_e64 s[0:1], s61, v7
	v_cmp_nlt_f32_e32 vcc, s69, v7
	v_fmac_f32_e32 v83, 0x32a5705f, v7
	v_sub_f32_e32 v7, v72, v4
	v_mul_f32_e32 v72, 0x3fb8aa3b, v7
	v_fma_f32 v84, v7, s60, -v72
	v_cmp_ngt_f32_e64 s[34:35], s61, v7
	v_cmp_nlt_f32_e64 s[28:29], s69, v7
	v_fmac_f32_e32 v84, 0x32a5705f, v7
	v_sub_f32_e32 v7, v70, v4
	v_mul_f32_e32 v70, 0x3fb8aa3b, v7
	v_fma_f32 v85, v7, s60, -v70
	v_cmp_ngt_f32_e64 s[38:39], s61, v7
	v_cmp_nlt_f32_e64 s[30:31], s69, v7
	;; [unrolled: 6-line block ×5, first 2 shown]
	v_fmac_f32_e32 v89, 0x32a5705f, v7
	v_sub_f32_e32 v7, v73, v4
	v_mul_f32_e32 v73, 0x3fb8aa3b, v7
	v_fma_f32 v90, v7, s60, -v73
	v_rndne_f32_e32 v91, v74
	v_cmp_ngt_f32_e64 s[48:49], s61, v7
	v_cmp_nlt_f32_e64 s[46:47], s69, v7
	v_fmac_f32_e32 v90, 0x32a5705f, v7
	v_sub_f32_e32 v7, v74, v91
	v_add_f32_e32 v74, v7, v76
	v_rndne_f32_e32 v76, v75
	v_sub_f32_e32 v7, v75, v76
	v_rndne_f32_e32 v92, v16
	v_add_f32_e32 v75, v7, v15
	v_sub_f32_e32 v7, v16, v92
	v_rndne_f32_e32 v93, v71
	v_add_f32_e32 v80, v7, v80
	;; [unrolled: 3-line block ×3, first 2 shown]
	v_sub_f32_e32 v7, v69, v94
	v_add_f32_e32 v69, v7, v82
	v_rndne_f32_e32 v82, v8
	v_sub_f32_e32 v7, v8, v82
	v_rndne_f32_e32 v95, v72
	v_add_f32_e32 v83, v7, v83
	v_sub_f32_e32 v7, v72, v95
	v_add_f32_e32 v72, v7, v84
	v_rndne_f32_e32 v84, v70
	v_sub_f32_e32 v7, v70, v84
	v_rndne_f32_e32 v96, v79
	v_cvt_i32_f32_e32 v70, v91
	v_exp_f32_e32 v71, v74
	v_add_f32_e32 v85, v7, v85
	v_sub_f32_e32 v7, v79, v96
	v_rndne_f32_e32 v77, v88
	v_add_f32_e32 v86, v7, v86
	v_rndne_f32_e32 v7, v78
	v_sub_f32_e32 v15, v88, v77
	v_sub_f32_e32 v8, v78, v7
	v_add_f32_e32 v78, v15, v89
	v_rndne_f32_e32 v15, v73
	v_sub_f32_e32 v16, v73, v15
	v_ldexp_f32 v71, v71, v70
	v_cvt_i32_f32_e32 v70, v76
	v_exp_f32_e32 v73, v75
	v_exp_f32_e32 v74, v80
	;; [unrolled: 1-line block ×4, first 2 shown]
	v_ldexp_f32 v73, v73, v70
	v_cvt_i32_f32_e32 v70, v92
	v_add_f32_e32 v8, v8, v87
	v_add_f32_e32 v16, v16, v90
	v_cvt_i32_f32_e32 v7, v7
	v_ldexp_f32 v75, v74, v70
	v_cvt_i32_f32_e32 v70, v93
	v_exp_f32_e32 v74, v81
	v_exp_f32_e32 v8, v8
	v_cvt_i32_f32_e32 v15, v15
	v_exp_f32_e32 v16, v16
	v_ldexp_f32 v76, v74, v70
	v_cvt_i32_f32_e32 v70, v94
	v_mov_b32_e32 v74, v63
	v_ldexp_f32 v63, v8, v7
	v_ldexp_f32 v15, v16, v15
	;; [unrolled: 1-line block ×3, first 2 shown]
	v_cvt_i32_f32_e32 v69, v82
	v_exp_f32_e32 v70, v83
	v_cndmask_b32_e64 v16, 0, v71, s[16:17]
	v_cndmask_b32_e64 v71, 0, v76, s[24:25]
	;; [unrolled: 1-line block ×3, first 2 shown]
	v_ldexp_f32 v70, v70, v69
	v_cvt_i32_f32_e32 v69, v95
	v_cndmask_b32_e64 v15, 0, v15, s[48:49]
	v_cndmask_b32_e64 v71, v51, v71, s[18:19]
	global_load_dwordx4 v[5:8], v[5:6], off
	v_ldexp_f32 v80, v72, v69
	v_cvt_i32_f32_e32 v69, v84
	v_exp_f32_e32 v72, v85
	v_cndmask_b32_e64 v76, 0, v80, s[34:35]
	v_cndmask_b32_e64 v83, v51, v76, s[28:29]
	v_cndmask_b32_e64 v76, v51, v63, s[40:41]
	v_ldexp_f32 v81, v72, v69
	v_cvt_i32_f32_e32 v69, v96
	v_exp_f32_e32 v72, v86
	v_cndmask_b32_e64 v16, v51, v16, s[10:11]
	v_ldexp_f32 v82, v72, v69
	v_mov_b32_e32 v72, v60
	v_mov_b32_e32 v69, v68
	;; [unrolled: 1-line block ×3, first 2 shown]
	v_cvt_i32_f32_e32 v59, v77
	v_exp_f32_e32 v60, v78
	v_cndmask_b32_e64 v77, 0, v81, s[38:39]
	v_cndmask_b32_e64 v81, 0, v82, s[42:43]
	v_ldexp_f32 v78, v60, v59
	v_cndmask_b32_e64 v60, 0, v75, s[20:21]
	v_cndmask_b32_e64 v59, 0, v73, s[14:15]
	;; [unrolled: 1-line block ×7, first 2 shown]
	v_add_f32_e32 v60, v82, v71
	v_add_f32_e32 v59, v83, v79
	v_cndmask_b32_e64 v80, v51, v75, s[22:23]
	v_cndmask_b32_e64 v75, v51, v81, s[36:37]
	v_fmac_f32_e32 v60, v72, v76
	v_fmac_f32_e32 v59, v68, v77
	v_cvt_f16_f32_e32 v68, v83
	v_cvt_f16_f32_e32 v72, v82
	global_load_dwordx4 v[81:84], v[13:14], off
	v_cvt_f16_f32_e32 v15, v16
	v_add_f32_e32 v63, v16, v73
	v_cvt_f16_f32_e32 v16, v80
	v_cndmask_b32_e64 v13, 0, v70, s[0:1]
	v_cndmask_b32_e32 v13, v51, v13, vcc
	v_pack_b32_f16 v15, v15, v72
	v_pack_b32_f16 v16, v16, v68
	v_cvt_f16_f32_e32 v70, v73
	v_add_f32_e32 v68, v80, v13
	v_cvt_f16_f32_e32 v13, v13
	v_cvt_f16_f32_e32 v72, v79
	;; [unrolled: 1-line block ×3, first 2 shown]
	v_cndmask_b32_e64 v14, 0, v78, s[50:51]
	v_cndmask_b32_e64 v14, v51, v14, s[2:3]
	v_fmac_f32_e32 v63, v74, v75
	v_cvt_f16_f32_e32 v73, v75
	v_cvt_f16_f32_e32 v74, v76
	;; [unrolled: 1-line block ×3, first 2 shown]
	v_fmac_f32_e32 v68, v69, v14
	v_cvt_f16_f32_e32 v69, v14
	v_pack_b32_f16 v14, v13, v72
	v_pack_b32_f16 v13, v70, v71
	ds_write2_b64 v52, v[15:16], v[13:14] offset1:32
	s_waitcnt vmcnt(1)
	ds_write_b128 v47, v[5:8]
	s_waitcnt vmcnt(0)
	ds_write_b128 v48, v[81:84]
	s_waitcnt lgkmcnt(0)
	s_barrier
	ds_read_b128 v[5:8], v46
	ds_read2_b64 v[13:16], v32 offset1:32
	v_mul_u32_u24_e32 v70, 0x10001, v73
	v_mul_u32_u24_e32 v71, 0x10001, v74
	;; [unrolled: 1-line block ×3, first 2 shown]
	v_pk_mul_f16 v58, v58, v72
	v_pk_mul_f16 v57, v57, v72
	s_waitcnt lgkmcnt(1)
	v_mul_u32_u24_sdwa v72, v5, s75 dst_sel:DWORD dst_unused:UNUSED_PAD src0_sel:WORD_0 src1_sel:DWORD
	v_mul_u32_u24_sdwa v73, v5, s75 dst_sel:DWORD dst_unused:UNUSED_PAD src0_sel:WORD_1 src1_sel:DWORD
	v_mul_u32_u24_sdwa v74, v6, s75 dst_sel:DWORD dst_unused:UNUSED_PAD src0_sel:WORD_0 src1_sel:DWORD
	v_mul_u32_u24_sdwa v75, v6, s75 dst_sel:DWORD dst_unused:UNUSED_PAD src0_sel:WORD_1 src1_sel:DWORD
	v_pk_mul_f16 v67, v67, v70
	v_pk_mul_f16 v65, v65, v71
	v_mul_u32_u24_e32 v69, 0x10001, v69
	v_mul_u32_u24_sdwa v76, v7, s75 dst_sel:DWORD dst_unused:UNUSED_PAD src0_sel:WORD_0 src1_sel:DWORD
	v_mul_u32_u24_sdwa v77, v7, s75 dst_sel:DWORD dst_unused:UNUSED_PAD src0_sel:WORD_1 src1_sel:DWORD
	v_mul_u32_u24_sdwa v78, v8, s75 dst_sel:DWORD dst_unused:UNUSED_PAD src0_sel:WORD_0 src1_sel:DWORD
	v_mul_u32_u24_sdwa v79, v8, s75 dst_sel:DWORD dst_unused:UNUSED_PAD src0_sel:WORD_1 src1_sel:DWORD
	ds_read_b128 v[5:8], v46 offset:16
	s_waitcnt lgkmcnt(1)
	v_pk_fma_f16 v80, v14, v72, v67
	v_pk_mul_f16 v67, v13, v72
	v_pk_fma_f16 v81, v14, v73, v65
	v_pk_mul_f16 v65, v13, v73
	;; [unrolled: 2-line block ×3, first 2 shown]
	v_pk_mul_f16 v62, v62, v69
	v_pk_fma_f16 v73, v66, v70, v67
	v_pk_fma_f16 v82, v64, v71, v65
	;; [unrolled: 1-line block ×3, first 2 shown]
	ds_read2_b64 v[69:72], v32 offset0:64 offset1:96
	v_pk_fma_f16 v57, v14, v75, v57
	ds_read_b128 v[64:67], v46 offset:32
	v_pk_fma_f16 v14, v14, v74, v62
	v_pk_fma_f16 v58, v15, v79, v58
	;; [unrolled: 1-line block ×5, first 2 shown]
	s_waitcnt lgkmcnt(2)
	v_mul_u32_u24_sdwa v73, v5, s75 dst_sel:DWORD dst_unused:UNUSED_PAD src0_sel:WORD_0 src1_sel:DWORD
	v_mul_u32_u24_sdwa v76, v5, s75 dst_sel:DWORD dst_unused:UNUSED_PAD src0_sel:WORD_1 src1_sel:DWORD
	v_mul_u32_u24_sdwa v5, v6, s75 dst_sel:DWORD dst_unused:UNUSED_PAD src0_sel:WORD_1 src1_sel:DWORD
	v_pk_fma_f16 v74, v16, v77, v81
	v_pk_fma_f16 v75, v15, v77, v82
	;; [unrolled: 1-line block ×4, first 2 shown]
	v_mul_u32_u24_sdwa v15, v6, s75 dst_sel:DWORD dst_unused:UNUSED_PAD src0_sel:WORD_0 src1_sel:DWORD
	v_mul_u32_u24_sdwa v16, v8, s75 dst_sel:DWORD dst_unused:UNUSED_PAD src0_sel:WORD_1 src1_sel:DWORD
	s_waitcnt lgkmcnt(1)
	v_pk_fma_f16 v58, v69, v5, v58
	v_pk_fma_f16 v57, v70, v5, v57
	;; [unrolled: 1-line block ×10, first 2 shown]
	ds_read2_b64 v[13:16], v32 offset0:128 offset1:160
	v_mul_u32_u24_sdwa v77, v7, s75 dst_sel:DWORD dst_unused:UNUSED_PAD src0_sel:WORD_0 src1_sel:DWORD
	v_mul_u32_u24_sdwa v78, v7, s75 dst_sel:DWORD dst_unused:UNUSED_PAD src0_sel:WORD_1 src1_sel:DWORD
	v_mul_u32_u24_sdwa v79, v8, s75 dst_sel:DWORD dst_unused:UNUSED_PAD src0_sel:WORD_0 src1_sel:DWORD
	s_waitcnt lgkmcnt(1)
	v_mul_u32_u24_sdwa v75, v64, s75 dst_sel:DWORD dst_unused:UNUSED_PAD src0_sel:WORD_0 src1_sel:DWORD
	v_mul_u32_u24_sdwa v76, v64, s75 dst_sel:DWORD dst_unused:UNUSED_PAD src0_sel:WORD_1 src1_sel:DWORD
	v_mul_u32_u24_sdwa v64, v65, s75 dst_sel:DWORD dst_unused:UNUSED_PAD src0_sel:WORD_1 src1_sel:DWORD
	ds_read_b128 v[5:8], v46 offset:48
	v_pk_fma_f16 v61, v72, v77, v61
	v_pk_fma_f16 v62, v71, v77, v62
	;; [unrolled: 1-line block ×6, first 2 shown]
	v_mul_u32_u24_sdwa v71, v65, s75 dst_sel:DWORD dst_unused:UNUSED_PAD src0_sel:WORD_0 src1_sel:DWORD
	v_mul_u32_u24_sdwa v72, v67, s75 dst_sel:DWORD dst_unused:UNUSED_PAD src0_sel:WORD_1 src1_sel:DWORD
	s_waitcnt lgkmcnt(1)
	v_pk_fma_f16 v58, v13, v64, v58
	v_pk_fma_f16 v57, v14, v64, v57
	;; [unrolled: 1-line block ×10, first 2 shown]
	ds_read2_b64 v[69:72], v32 offset0:192 offset1:224
	v_mul_u32_u24_sdwa v77, v66, s75 dst_sel:DWORD dst_unused:UNUSED_PAD src0_sel:WORD_0 src1_sel:DWORD
	v_mul_u32_u24_sdwa v78, v66, s75 dst_sel:DWORD dst_unused:UNUSED_PAD src0_sel:WORD_1 src1_sel:DWORD
	v_mul_u32_u24_sdwa v79, v67, s75 dst_sel:DWORD dst_unused:UNUSED_PAD src0_sel:WORD_0 src1_sel:DWORD
	ds_read_b128 v[64:67], v46 offset:64
	s_waitcnt lgkmcnt(2)
	v_mul_u32_u24_sdwa v75, v5, s75 dst_sel:DWORD dst_unused:UNUSED_PAD src0_sel:WORD_0 src1_sel:DWORD
	v_mul_u32_u24_sdwa v76, v5, s75 dst_sel:DWORD dst_unused:UNUSED_PAD src0_sel:WORD_1 src1_sel:DWORD
	v_mul_u32_u24_sdwa v5, v6, s75 dst_sel:DWORD dst_unused:UNUSED_PAD src0_sel:WORD_1 src1_sel:DWORD
	v_pk_fma_f16 v61, v16, v77, v61
	v_pk_fma_f16 v62, v15, v77, v62
	;; [unrolled: 1-line block ×6, first 2 shown]
	v_mul_u32_u24_sdwa v15, v6, s75 dst_sel:DWORD dst_unused:UNUSED_PAD src0_sel:WORD_0 src1_sel:DWORD
	v_mul_u32_u24_sdwa v16, v8, s75 dst_sel:DWORD dst_unused:UNUSED_PAD src0_sel:WORD_1 src1_sel:DWORD
	s_waitcnt lgkmcnt(1)
	v_pk_fma_f16 v58, v69, v5, v58
	v_pk_fma_f16 v57, v70, v5, v57
	;; [unrolled: 1-line block ×10, first 2 shown]
	ds_read2_b64 v[13:16], v54 offset1:32
	v_mul_u32_u24_sdwa v77, v7, s75 dst_sel:DWORD dst_unused:UNUSED_PAD src0_sel:WORD_0 src1_sel:DWORD
	v_mul_u32_u24_sdwa v78, v7, s75 dst_sel:DWORD dst_unused:UNUSED_PAD src0_sel:WORD_1 src1_sel:DWORD
	v_mul_u32_u24_sdwa v79, v8, s75 dst_sel:DWORD dst_unused:UNUSED_PAD src0_sel:WORD_0 src1_sel:DWORD
	s_waitcnt lgkmcnt(1)
	v_mul_u32_u24_sdwa v75, v64, s75 dst_sel:DWORD dst_unused:UNUSED_PAD src0_sel:WORD_0 src1_sel:DWORD
	v_mul_u32_u24_sdwa v76, v64, s75 dst_sel:DWORD dst_unused:UNUSED_PAD src0_sel:WORD_1 src1_sel:DWORD
	v_mul_u32_u24_sdwa v64, v65, s75 dst_sel:DWORD dst_unused:UNUSED_PAD src0_sel:WORD_1 src1_sel:DWORD
	ds_read_b128 v[5:8], v46 offset:80
	v_pk_fma_f16 v61, v72, v77, v61
	v_pk_fma_f16 v62, v71, v77, v62
	;; [unrolled: 1-line block ×6, first 2 shown]
	v_mul_u32_u24_sdwa v71, v65, s75 dst_sel:DWORD dst_unused:UNUSED_PAD src0_sel:WORD_0 src1_sel:DWORD
	v_mul_u32_u24_sdwa v72, v67, s75 dst_sel:DWORD dst_unused:UNUSED_PAD src0_sel:WORD_1 src1_sel:DWORD
	s_waitcnt lgkmcnt(1)
	v_pk_fma_f16 v58, v13, v64, v58
	v_pk_fma_f16 v57, v14, v64, v57
	v_pk_fma_f16 v61, v14, v75, v61
	v_pk_fma_f16 v74, v14, v76, v74
	v_pk_fma_f16 v14, v14, v71, v70
	v_pk_fma_f16 v62, v13, v75, v62
	v_pk_fma_f16 v73, v13, v76, v73
	v_pk_fma_f16 v13, v13, v71, v69
	v_pk_fma_f16 v58, v15, v72, v58
	v_pk_fma_f16 v57, v16, v72, v57
	ds_read2_b64 v[69:72], v54 offset0:64 offset1:96
	v_mul_u32_u24_sdwa v77, v66, s75 dst_sel:DWORD dst_unused:UNUSED_PAD src0_sel:WORD_0 src1_sel:DWORD
	v_mul_u32_u24_sdwa v78, v66, s75 dst_sel:DWORD dst_unused:UNUSED_PAD src0_sel:WORD_1 src1_sel:DWORD
	v_mul_u32_u24_sdwa v79, v67, s75 dst_sel:DWORD dst_unused:UNUSED_PAD src0_sel:WORD_0 src1_sel:DWORD
	ds_read_b128 v[64:67], v46 offset:96
	s_waitcnt lgkmcnt(2)
	v_mul_u32_u24_sdwa v75, v5, s75 dst_sel:DWORD dst_unused:UNUSED_PAD src0_sel:WORD_0 src1_sel:DWORD
	v_mul_u32_u24_sdwa v76, v5, s75 dst_sel:DWORD dst_unused:UNUSED_PAD src0_sel:WORD_1 src1_sel:DWORD
	v_mul_u32_u24_sdwa v5, v6, s75 dst_sel:DWORD dst_unused:UNUSED_PAD src0_sel:WORD_1 src1_sel:DWORD
	v_pk_fma_f16 v61, v16, v77, v61
	v_pk_fma_f16 v62, v15, v77, v62
	;; [unrolled: 1-line block ×6, first 2 shown]
	v_mul_u32_u24_sdwa v15, v6, s75 dst_sel:DWORD dst_unused:UNUSED_PAD src0_sel:WORD_0 src1_sel:DWORD
	v_mul_u32_u24_sdwa v16, v8, s75 dst_sel:DWORD dst_unused:UNUSED_PAD src0_sel:WORD_1 src1_sel:DWORD
	s_waitcnt lgkmcnt(1)
	v_pk_fma_f16 v58, v69, v5, v58
	v_pk_fma_f16 v57, v70, v5, v57
	;; [unrolled: 1-line block ×10, first 2 shown]
	ds_read2_b64 v[13:16], v54 offset0:128 offset1:160
	v_mul_u32_u24_sdwa v77, v7, s75 dst_sel:DWORD dst_unused:UNUSED_PAD src0_sel:WORD_0 src1_sel:DWORD
	v_mul_u32_u24_sdwa v78, v7, s75 dst_sel:DWORD dst_unused:UNUSED_PAD src0_sel:WORD_1 src1_sel:DWORD
	v_mul_u32_u24_sdwa v79, v8, s75 dst_sel:DWORD dst_unused:UNUSED_PAD src0_sel:WORD_0 src1_sel:DWORD
	s_waitcnt lgkmcnt(1)
	v_mul_u32_u24_sdwa v75, v64, s75 dst_sel:DWORD dst_unused:UNUSED_PAD src0_sel:WORD_0 src1_sel:DWORD
	v_mul_u32_u24_sdwa v76, v64, s75 dst_sel:DWORD dst_unused:UNUSED_PAD src0_sel:WORD_1 src1_sel:DWORD
	v_mul_u32_u24_sdwa v64, v65, s75 dst_sel:DWORD dst_unused:UNUSED_PAD src0_sel:WORD_1 src1_sel:DWORD
	ds_read_b128 v[5:8], v46 offset:112
	v_pk_fma_f16 v61, v72, v77, v61
	v_pk_fma_f16 v62, v71, v77, v62
	;; [unrolled: 1-line block ×6, first 2 shown]
	v_mul_u32_u24_sdwa v71, v65, s75 dst_sel:DWORD dst_unused:UNUSED_PAD src0_sel:WORD_0 src1_sel:DWORD
	v_mul_u32_u24_sdwa v72, v67, s75 dst_sel:DWORD dst_unused:UNUSED_PAD src0_sel:WORD_1 src1_sel:DWORD
	s_waitcnt lgkmcnt(1)
	v_pk_fma_f16 v58, v13, v64, v58
	v_pk_fma_f16 v57, v14, v64, v57
	;; [unrolled: 1-line block ×10, first 2 shown]
	ds_read2_b64 v[69:72], v54 offset0:192 offset1:224
	v_mul_u32_u24_sdwa v77, v66, s75 dst_sel:DWORD dst_unused:UNUSED_PAD src0_sel:WORD_0 src1_sel:DWORD
	v_mul_u32_u24_sdwa v78, v66, s75 dst_sel:DWORD dst_unused:UNUSED_PAD src0_sel:WORD_1 src1_sel:DWORD
	v_mul_u32_u24_sdwa v79, v67, s75 dst_sel:DWORD dst_unused:UNUSED_PAD src0_sel:WORD_0 src1_sel:DWORD
	ds_read_b128 v[64:67], v46 offset:128
	s_waitcnt lgkmcnt(2)
	v_mul_u32_u24_sdwa v75, v5, s75 dst_sel:DWORD dst_unused:UNUSED_PAD src0_sel:WORD_0 src1_sel:DWORD
	v_mul_u32_u24_sdwa v76, v5, s75 dst_sel:DWORD dst_unused:UNUSED_PAD src0_sel:WORD_1 src1_sel:DWORD
	v_mul_u32_u24_sdwa v5, v6, s75 dst_sel:DWORD dst_unused:UNUSED_PAD src0_sel:WORD_1 src1_sel:DWORD
	v_pk_fma_f16 v61, v16, v77, v61
	v_pk_fma_f16 v62, v15, v77, v62
	;; [unrolled: 1-line block ×6, first 2 shown]
	v_mul_u32_u24_sdwa v15, v6, s75 dst_sel:DWORD dst_unused:UNUSED_PAD src0_sel:WORD_0 src1_sel:DWORD
	v_mul_u32_u24_sdwa v16, v8, s75 dst_sel:DWORD dst_unused:UNUSED_PAD src0_sel:WORD_1 src1_sel:DWORD
	s_waitcnt lgkmcnt(1)
	v_pk_fma_f16 v58, v69, v5, v58
	v_pk_fma_f16 v57, v70, v5, v57
	v_pk_fma_f16 v61, v70, v75, v61
	v_pk_fma_f16 v74, v70, v76, v74
	v_pk_fma_f16 v70, v70, v15, v14
	v_pk_fma_f16 v62, v69, v75, v62
	v_pk_fma_f16 v73, v69, v76, v73
	v_pk_fma_f16 v69, v69, v15, v13
	v_pk_fma_f16 v58, v71, v16, v58
	v_pk_fma_f16 v57, v72, v16, v57
	ds_read2_b64 v[13:16], v55 offset1:32
	v_mul_u32_u24_sdwa v77, v7, s75 dst_sel:DWORD dst_unused:UNUSED_PAD src0_sel:WORD_0 src1_sel:DWORD
	v_mul_u32_u24_sdwa v78, v7, s75 dst_sel:DWORD dst_unused:UNUSED_PAD src0_sel:WORD_1 src1_sel:DWORD
	v_mul_u32_u24_sdwa v79, v8, s75 dst_sel:DWORD dst_unused:UNUSED_PAD src0_sel:WORD_0 src1_sel:DWORD
	s_waitcnt lgkmcnt(1)
	v_mul_u32_u24_sdwa v75, v64, s75 dst_sel:DWORD dst_unused:UNUSED_PAD src0_sel:WORD_0 src1_sel:DWORD
	v_mul_u32_u24_sdwa v76, v64, s75 dst_sel:DWORD dst_unused:UNUSED_PAD src0_sel:WORD_1 src1_sel:DWORD
	v_mul_u32_u24_sdwa v64, v65, s75 dst_sel:DWORD dst_unused:UNUSED_PAD src0_sel:WORD_1 src1_sel:DWORD
	ds_read_b128 v[5:8], v46 offset:144
	v_pk_fma_f16 v61, v72, v77, v61
	v_pk_fma_f16 v62, v71, v77, v62
	;; [unrolled: 1-line block ×6, first 2 shown]
	v_mul_u32_u24_sdwa v71, v65, s75 dst_sel:DWORD dst_unused:UNUSED_PAD src0_sel:WORD_0 src1_sel:DWORD
	v_mul_u32_u24_sdwa v72, v67, s75 dst_sel:DWORD dst_unused:UNUSED_PAD src0_sel:WORD_1 src1_sel:DWORD
	s_waitcnt lgkmcnt(1)
	v_pk_fma_f16 v58, v13, v64, v58
	v_pk_fma_f16 v57, v14, v64, v57
	;; [unrolled: 1-line block ×10, first 2 shown]
	ds_read2_b64 v[69:72], v55 offset0:64 offset1:96
	v_mul_u32_u24_sdwa v77, v66, s75 dst_sel:DWORD dst_unused:UNUSED_PAD src0_sel:WORD_0 src1_sel:DWORD
	v_mul_u32_u24_sdwa v78, v66, s75 dst_sel:DWORD dst_unused:UNUSED_PAD src0_sel:WORD_1 src1_sel:DWORD
	v_mul_u32_u24_sdwa v79, v67, s75 dst_sel:DWORD dst_unused:UNUSED_PAD src0_sel:WORD_0 src1_sel:DWORD
	ds_read_b128 v[64:67], v46 offset:160
	s_waitcnt lgkmcnt(2)
	v_mul_u32_u24_sdwa v75, v5, s75 dst_sel:DWORD dst_unused:UNUSED_PAD src0_sel:WORD_0 src1_sel:DWORD
	v_mul_u32_u24_sdwa v76, v5, s75 dst_sel:DWORD dst_unused:UNUSED_PAD src0_sel:WORD_1 src1_sel:DWORD
	v_mul_u32_u24_sdwa v5, v6, s75 dst_sel:DWORD dst_unused:UNUSED_PAD src0_sel:WORD_1 src1_sel:DWORD
	v_pk_fma_f16 v61, v16, v77, v61
	v_pk_fma_f16 v62, v15, v77, v62
	v_pk_fma_f16 v74, v16, v78, v74
	v_pk_fma_f16 v73, v15, v78, v73
	v_pk_fma_f16 v14, v16, v79, v14
	v_pk_fma_f16 v13, v15, v79, v13
	v_mul_u32_u24_sdwa v15, v6, s75 dst_sel:DWORD dst_unused:UNUSED_PAD src0_sel:WORD_0 src1_sel:DWORD
	v_mul_u32_u24_sdwa v16, v8, s75 dst_sel:DWORD dst_unused:UNUSED_PAD src0_sel:WORD_1 src1_sel:DWORD
	s_waitcnt lgkmcnt(1)
	v_pk_fma_f16 v58, v69, v5, v58
	v_pk_fma_f16 v57, v70, v5, v57
	;; [unrolled: 1-line block ×10, first 2 shown]
	ds_read2_b64 v[13:16], v55 offset0:128 offset1:160
	v_mul_u32_u24_sdwa v77, v7, s75 dst_sel:DWORD dst_unused:UNUSED_PAD src0_sel:WORD_0 src1_sel:DWORD
	v_mul_u32_u24_sdwa v78, v7, s75 dst_sel:DWORD dst_unused:UNUSED_PAD src0_sel:WORD_1 src1_sel:DWORD
	v_mul_u32_u24_sdwa v79, v8, s75 dst_sel:DWORD dst_unused:UNUSED_PAD src0_sel:WORD_0 src1_sel:DWORD
	s_waitcnt lgkmcnt(1)
	v_mul_u32_u24_sdwa v75, v64, s75 dst_sel:DWORD dst_unused:UNUSED_PAD src0_sel:WORD_0 src1_sel:DWORD
	v_mul_u32_u24_sdwa v76, v64, s75 dst_sel:DWORD dst_unused:UNUSED_PAD src0_sel:WORD_1 src1_sel:DWORD
	v_mul_u32_u24_sdwa v64, v65, s75 dst_sel:DWORD dst_unused:UNUSED_PAD src0_sel:WORD_1 src1_sel:DWORD
	ds_read_b128 v[5:8], v46 offset:176
	v_pk_fma_f16 v61, v72, v77, v61
	v_pk_fma_f16 v62, v71, v77, v62
	;; [unrolled: 1-line block ×6, first 2 shown]
	v_mul_u32_u24_sdwa v71, v65, s75 dst_sel:DWORD dst_unused:UNUSED_PAD src0_sel:WORD_0 src1_sel:DWORD
	v_mul_u32_u24_sdwa v72, v67, s75 dst_sel:DWORD dst_unused:UNUSED_PAD src0_sel:WORD_1 src1_sel:DWORD
	s_waitcnt lgkmcnt(1)
	v_pk_fma_f16 v58, v13, v64, v58
	v_pk_fma_f16 v57, v14, v64, v57
	v_pk_fma_f16 v61, v14, v75, v61
	v_pk_fma_f16 v74, v14, v76, v74
	v_pk_fma_f16 v14, v14, v71, v70
	v_pk_fma_f16 v62, v13, v75, v62
	v_pk_fma_f16 v73, v13, v76, v73
	v_pk_fma_f16 v13, v13, v71, v69
	v_pk_fma_f16 v58, v15, v72, v58
	v_pk_fma_f16 v57, v16, v72, v57
	ds_read2_b64 v[69:72], v55 offset0:192 offset1:224
	v_mul_u32_u24_sdwa v77, v66, s75 dst_sel:DWORD dst_unused:UNUSED_PAD src0_sel:WORD_0 src1_sel:DWORD
	v_mul_u32_u24_sdwa v78, v66, s75 dst_sel:DWORD dst_unused:UNUSED_PAD src0_sel:WORD_1 src1_sel:DWORD
	v_mul_u32_u24_sdwa v79, v67, s75 dst_sel:DWORD dst_unused:UNUSED_PAD src0_sel:WORD_0 src1_sel:DWORD
	ds_read_b128 v[64:67], v46 offset:192
	s_waitcnt lgkmcnt(2)
	v_mul_u32_u24_sdwa v75, v5, s75 dst_sel:DWORD dst_unused:UNUSED_PAD src0_sel:WORD_0 src1_sel:DWORD
	v_mul_u32_u24_sdwa v76, v5, s75 dst_sel:DWORD dst_unused:UNUSED_PAD src0_sel:WORD_1 src1_sel:DWORD
	v_mul_u32_u24_sdwa v5, v6, s75 dst_sel:DWORD dst_unused:UNUSED_PAD src0_sel:WORD_1 src1_sel:DWORD
	v_pk_fma_f16 v61, v16, v77, v61
	v_pk_fma_f16 v62, v15, v77, v62
	;; [unrolled: 1-line block ×6, first 2 shown]
	v_mul_u32_u24_sdwa v15, v6, s75 dst_sel:DWORD dst_unused:UNUSED_PAD src0_sel:WORD_0 src1_sel:DWORD
	v_mul_u32_u24_sdwa v16, v8, s75 dst_sel:DWORD dst_unused:UNUSED_PAD src0_sel:WORD_1 src1_sel:DWORD
	s_waitcnt lgkmcnt(1)
	v_pk_fma_f16 v58, v69, v5, v58
	v_pk_fma_f16 v57, v70, v5, v57
	;; [unrolled: 1-line block ×10, first 2 shown]
	ds_read2_b64 v[13:16], v56 offset1:32
	v_mul_u32_u24_sdwa v77, v7, s75 dst_sel:DWORD dst_unused:UNUSED_PAD src0_sel:WORD_0 src1_sel:DWORD
	v_mul_u32_u24_sdwa v78, v7, s75 dst_sel:DWORD dst_unused:UNUSED_PAD src0_sel:WORD_1 src1_sel:DWORD
	v_mul_u32_u24_sdwa v79, v8, s75 dst_sel:DWORD dst_unused:UNUSED_PAD src0_sel:WORD_0 src1_sel:DWORD
	s_waitcnt lgkmcnt(1)
	v_mul_u32_u24_sdwa v75, v64, s75 dst_sel:DWORD dst_unused:UNUSED_PAD src0_sel:WORD_0 src1_sel:DWORD
	v_mul_u32_u24_sdwa v76, v64, s75 dst_sel:DWORD dst_unused:UNUSED_PAD src0_sel:WORD_1 src1_sel:DWORD
	v_mul_u32_u24_sdwa v64, v65, s75 dst_sel:DWORD dst_unused:UNUSED_PAD src0_sel:WORD_1 src1_sel:DWORD
	ds_read_b128 v[5:8], v46 offset:208
	v_pk_fma_f16 v61, v72, v77, v61
	v_pk_fma_f16 v62, v71, v77, v62
	v_pk_fma_f16 v74, v72, v78, v74
	v_pk_fma_f16 v73, v71, v78, v73
	v_pk_fma_f16 v70, v72, v79, v70
	v_pk_fma_f16 v69, v71, v79, v69
	v_mul_u32_u24_sdwa v71, v65, s75 dst_sel:DWORD dst_unused:UNUSED_PAD src0_sel:WORD_0 src1_sel:DWORD
	v_mul_u32_u24_sdwa v72, v67, s75 dst_sel:DWORD dst_unused:UNUSED_PAD src0_sel:WORD_1 src1_sel:DWORD
	s_waitcnt lgkmcnt(1)
	v_pk_fma_f16 v58, v13, v64, v58
	v_pk_fma_f16 v57, v14, v64, v57
	;; [unrolled: 1-line block ×10, first 2 shown]
	ds_read2_b64 v[69:72], v56 offset0:64 offset1:96
	v_mul_u32_u24_sdwa v77, v66, s75 dst_sel:DWORD dst_unused:UNUSED_PAD src0_sel:WORD_0 src1_sel:DWORD
	v_mul_u32_u24_sdwa v78, v66, s75 dst_sel:DWORD dst_unused:UNUSED_PAD src0_sel:WORD_1 src1_sel:DWORD
	v_mul_u32_u24_sdwa v79, v67, s75 dst_sel:DWORD dst_unused:UNUSED_PAD src0_sel:WORD_0 src1_sel:DWORD
	ds_read_b128 v[64:67], v46 offset:224
	s_waitcnt lgkmcnt(2)
	v_mul_u32_u24_sdwa v75, v5, s75 dst_sel:DWORD dst_unused:UNUSED_PAD src0_sel:WORD_0 src1_sel:DWORD
	v_mul_u32_u24_sdwa v76, v5, s75 dst_sel:DWORD dst_unused:UNUSED_PAD src0_sel:WORD_1 src1_sel:DWORD
	v_mul_u32_u24_sdwa v5, v6, s75 dst_sel:DWORD dst_unused:UNUSED_PAD src0_sel:WORD_1 src1_sel:DWORD
	v_pk_fma_f16 v61, v16, v77, v61
	v_pk_fma_f16 v62, v15, v77, v62
	;; [unrolled: 1-line block ×6, first 2 shown]
	v_mul_u32_u24_sdwa v15, v6, s75 dst_sel:DWORD dst_unused:UNUSED_PAD src0_sel:WORD_0 src1_sel:DWORD
	v_mul_u32_u24_sdwa v16, v8, s75 dst_sel:DWORD dst_unused:UNUSED_PAD src0_sel:WORD_1 src1_sel:DWORD
	s_waitcnt lgkmcnt(1)
	v_pk_fma_f16 v58, v69, v5, v58
	v_pk_fma_f16 v57, v70, v5, v57
	;; [unrolled: 1-line block ×10, first 2 shown]
	ds_read2_b64 v[13:16], v56 offset0:128 offset1:160
	v_mul_u32_u24_sdwa v77, v7, s75 dst_sel:DWORD dst_unused:UNUSED_PAD src0_sel:WORD_0 src1_sel:DWORD
	v_mul_u32_u24_sdwa v78, v7, s75 dst_sel:DWORD dst_unused:UNUSED_PAD src0_sel:WORD_1 src1_sel:DWORD
	v_mul_u32_u24_sdwa v79, v8, s75 dst_sel:DWORD dst_unused:UNUSED_PAD src0_sel:WORD_0 src1_sel:DWORD
	s_waitcnt lgkmcnt(1)
	v_mul_u32_u24_sdwa v75, v64, s75 dst_sel:DWORD dst_unused:UNUSED_PAD src0_sel:WORD_0 src1_sel:DWORD
	v_mul_u32_u24_sdwa v76, v64, s75 dst_sel:DWORD dst_unused:UNUSED_PAD src0_sel:WORD_1 src1_sel:DWORD
	v_mul_u32_u24_sdwa v64, v65, s75 dst_sel:DWORD dst_unused:UNUSED_PAD src0_sel:WORD_1 src1_sel:DWORD
	ds_read_b128 v[5:8], v46 offset:240
	v_pk_fma_f16 v61, v72, v77, v61
	v_pk_fma_f16 v62, v71, v77, v62
	;; [unrolled: 1-line block ×6, first 2 shown]
	v_mul_u32_u24_sdwa v79, v65, s75 dst_sel:DWORD dst_unused:UNUSED_PAD src0_sel:WORD_0 src1_sel:DWORD
	v_mul_u32_u24_sdwa v80, v66, s75 dst_sel:DWORD dst_unused:UNUSED_PAD src0_sel:WORD_0 src1_sel:DWORD
	v_mul_u32_u24_sdwa v81, v66, s75 dst_sel:DWORD dst_unused:UNUSED_PAD src0_sel:WORD_1 src1_sel:DWORD
	v_mul_u32_u24_sdwa v82, v67, s75 dst_sel:DWORD dst_unused:UNUSED_PAD src0_sel:WORD_0 src1_sel:DWORD
	v_mul_u32_u24_sdwa v83, v67, s75 dst_sel:DWORD dst_unused:UNUSED_PAD src0_sel:WORD_1 src1_sel:DWORD
	s_waitcnt lgkmcnt(1)
	v_pk_fma_f16 v58, v13, v64, v58
	v_pk_fma_f16 v57, v14, v64, v57
	ds_read2_b64 v[64:67], v56 offset0:192 offset1:224
	s_waitcnt lgkmcnt(0)
	s_barrier
	global_load_dwordx4 v[69:72], v[9:10], off
	v_pk_fma_f16 v61, v14, v75, v61
	global_load_dwordx4 v[9:12], v[11:12], off
	v_pk_fma_f16 v74, v14, v76, v74
	v_pk_fma_f16 v62, v13, v75, v62
	;; [unrolled: 1-line block ×9, first 2 shown]
	v_mul_u32_u24_sdwa v75, v5, s75 dst_sel:DWORD dst_unused:UNUSED_PAD src0_sel:WORD_0 src1_sel:DWORD
	v_pk_fma_f16 v74, v16, v81, v74
	v_pk_fma_f16 v73, v15, v81, v73
	v_mul_u32_u24_sdwa v5, v5, s75 dst_sel:DWORD dst_unused:UNUSED_PAD src0_sel:WORD_1 src1_sel:DWORD
	v_pk_fma_f16 v14, v16, v82, v14
	v_pk_fma_f16 v13, v15, v82, v13
	v_mul_u32_u24_sdwa v15, v6, s75 dst_sel:DWORD dst_unused:UNUSED_PAD src0_sel:WORD_0 src1_sel:DWORD
	v_mul_u32_u24_sdwa v6, v6, s75 dst_sel:DWORD dst_unused:UNUSED_PAD src0_sel:WORD_1 src1_sel:DWORD
	v_mul_u32_u24_sdwa v16, v7, s75 dst_sel:DWORD dst_unused:UNUSED_PAD src0_sel:WORD_0 src1_sel:DWORD
	v_mul_u32_u24_sdwa v7, v7, s75 dst_sel:DWORD dst_unused:UNUSED_PAD src0_sel:WORD_1 src1_sel:DWORD
	;; [unrolled: 2-line block ×3, first 2 shown]
	v_pk_fma_f16 v58, v64, v6, v58
	v_pk_fma_f16 v61, v65, v75, v61
	;; [unrolled: 1-line block ×16, first 2 shown]
	s_waitcnt vmcnt(1)
	ds_write_b128 v47, v[69:72]
	s_waitcnt vmcnt(0)
	ds_write_b128 v48, v[9:12]
	s_waitcnt lgkmcnt(0)
	s_barrier
	ds_read_b128 v[5:8], v46 offset:256
	ds_read_b128 v[9:12], v46 offset:272
	ds_read2_b64 v[13:16], v32 offset1:32
	s_waitcnt lgkmcnt(2)
	v_mul_u32_u24_sdwa v69, v5, s75 dst_sel:DWORD dst_unused:UNUSED_PAD src0_sel:WORD_0 src1_sel:DWORD
	v_mul_u32_u24_sdwa v70, v5, s75 dst_sel:DWORD dst_unused:UNUSED_PAD src0_sel:WORD_1 src1_sel:DWORD
	v_mul_u32_u24_sdwa v71, v6, s75 dst_sel:DWORD dst_unused:UNUSED_PAD src0_sel:WORD_0 src1_sel:DWORD
	v_mul_u32_u24_sdwa v72, v6, s75 dst_sel:DWORD dst_unused:UNUSED_PAD src0_sel:WORD_1 src1_sel:DWORD
	v_mul_u32_u24_sdwa v73, v7, s75 dst_sel:DWORD dst_unused:UNUSED_PAD src0_sel:WORD_0 src1_sel:DWORD
	s_waitcnt lgkmcnt(1)
	v_mul_u32_u24_sdwa v77, v9, s75 dst_sel:DWORD dst_unused:UNUSED_PAD src0_sel:WORD_0 src1_sel:DWORD
	v_mul_u32_u24_sdwa v78, v9, s75 dst_sel:DWORD dst_unused:UNUSED_PAD src0_sel:WORD_1 src1_sel:DWORD
	v_mul_u32_u24_sdwa v79, v10, s75 dst_sel:DWORD dst_unused:UNUSED_PAD src0_sel:WORD_0 src1_sel:DWORD
	v_mul_u32_u24_sdwa v80, v10, s75 dst_sel:DWORD dst_unused:UNUSED_PAD src0_sel:WORD_1 src1_sel:DWORD
	s_waitcnt lgkmcnt(0)
	v_pk_fma_f16 v9, v13, v69, v62
	v_pk_fma_f16 v10, v14, v69, v61
	v_mul_u32_u24_sdwa v81, v11, s75 dst_sel:DWORD dst_unused:UNUSED_PAD src0_sel:WORD_0 src1_sel:DWORD
	v_mul_u32_u24_sdwa v82, v11, s75 dst_sel:DWORD dst_unused:UNUSED_PAD src0_sel:WORD_1 src1_sel:DWORD
	v_mul_u32_u24_sdwa v83, v12, s75 dst_sel:DWORD dst_unused:UNUSED_PAD src0_sel:WORD_0 src1_sel:DWORD
	v_mul_u32_u24_sdwa v84, v12, s75 dst_sel:DWORD dst_unused:UNUSED_PAD src0_sel:WORD_1 src1_sel:DWORD
	v_pk_fma_f16 v61, v13, v70, v67
	v_pk_fma_f16 v57, v14, v70, v57
	;; [unrolled: 1-line block ×8, first 2 shown]
	ds_read2_b64 v[9:12], v32 offset0:64 offset1:96
	v_mul_u32_u24_sdwa v74, v7, s75 dst_sel:DWORD dst_unused:UNUSED_PAD src0_sel:WORD_1 src1_sel:DWORD
	v_mul_u32_u24_sdwa v75, v8, s75 dst_sel:DWORD dst_unused:UNUSED_PAD src0_sel:WORD_0 src1_sel:DWORD
	v_mul_u32_u24_sdwa v76, v8, s75 dst_sel:DWORD dst_unused:UNUSED_PAD src0_sel:WORD_1 src1_sel:DWORD
	ds_read_b128 v[5:8], v46 offset:288
	v_pk_fma_f16 v61, v15, v74, v61
	v_pk_fma_f16 v57, v16, v74, v57
	;; [unrolled: 1-line block ×6, first 2 shown]
	s_waitcnt lgkmcnt(1)
	v_pk_fma_f16 v15, v9, v77, v64
	v_pk_fma_f16 v16, v10, v77, v65
	;; [unrolled: 1-line block ×10, first 2 shown]
	ds_read2_b64 v[13:16], v32 offset0:128 offset1:160
	s_waitcnt lgkmcnt(1)
	v_mul_u32_u24_sdwa v66, v5, s75 dst_sel:DWORD dst_unused:UNUSED_PAD src0_sel:WORD_0 src1_sel:DWORD
	v_mul_u32_u24_sdwa v67, v5, s75 dst_sel:DWORD dst_unused:UNUSED_PAD src0_sel:WORD_1 src1_sel:DWORD
	v_mul_u32_u24_sdwa v69, v6, s75 dst_sel:DWORD dst_unused:UNUSED_PAD src0_sel:WORD_0 src1_sel:DWORD
	v_mul_u32_u24_sdwa v70, v6, s75 dst_sel:DWORD dst_unused:UNUSED_PAD src0_sel:WORD_1 src1_sel:DWORD
	;; [unrolled: 2-line block ×4, first 2 shown]
	ds_read_b128 v[5:8], v46 offset:304
	v_pk_fma_f16 v61, v11, v82, v61
	v_pk_fma_f16 v57, v12, v82, v57
	;; [unrolled: 1-line block ×6, first 2 shown]
	s_waitcnt lgkmcnt(1)
	v_pk_fma_f16 v11, v13, v66, v64
	v_pk_fma_f16 v12, v14, v66, v65
	;; [unrolled: 1-line block ×10, first 2 shown]
	ds_read2_b64 v[9:12], v32 offset0:192 offset1:224
	s_waitcnt lgkmcnt(1)
	v_mul_u32_u24_sdwa v75, v5, s75 dst_sel:DWORD dst_unused:UNUSED_PAD src0_sel:WORD_0 src1_sel:DWORD
	v_mul_u32_u24_sdwa v76, v5, s75 dst_sel:DWORD dst_unused:UNUSED_PAD src0_sel:WORD_1 src1_sel:DWORD
	v_mul_u32_u24_sdwa v77, v6, s75 dst_sel:DWORD dst_unused:UNUSED_PAD src0_sel:WORD_0 src1_sel:DWORD
	v_mul_u32_u24_sdwa v78, v6, s75 dst_sel:DWORD dst_unused:UNUSED_PAD src0_sel:WORD_1 src1_sel:DWORD
	;; [unrolled: 2-line block ×4, first 2 shown]
	ds_read_b128 v[5:8], v46 offset:320
	v_pk_fma_f16 v61, v15, v72, v61
	v_pk_fma_f16 v57, v16, v72, v57
	;; [unrolled: 1-line block ×6, first 2 shown]
	s_waitcnt lgkmcnt(1)
	v_pk_fma_f16 v15, v9, v75, v64
	v_pk_fma_f16 v16, v10, v75, v65
	v_pk_fma_f16 v61, v9, v76, v61
	v_pk_fma_f16 v57, v10, v76, v57
	v_pk_fma_f16 v62, v9, v77, v62
	v_pk_fma_f16 v58, v10, v77, v58
	v_pk_fma_f16 v9, v9, v78, v13
	v_pk_fma_f16 v10, v10, v78, v14
	v_pk_fma_f16 v64, v11, v79, v15
	v_pk_fma_f16 v65, v12, v79, v16
	ds_read2_b64 v[13:16], v54 offset1:32
	s_waitcnt lgkmcnt(1)
	v_mul_u32_u24_sdwa v66, v5, s75 dst_sel:DWORD dst_unused:UNUSED_PAD src0_sel:WORD_0 src1_sel:DWORD
	v_mul_u32_u24_sdwa v67, v5, s75 dst_sel:DWORD dst_unused:UNUSED_PAD src0_sel:WORD_1 src1_sel:DWORD
	v_mul_u32_u24_sdwa v69, v6, s75 dst_sel:DWORD dst_unused:UNUSED_PAD src0_sel:WORD_0 src1_sel:DWORD
	v_mul_u32_u24_sdwa v70, v6, s75 dst_sel:DWORD dst_unused:UNUSED_PAD src0_sel:WORD_1 src1_sel:DWORD
	v_mul_u32_u24_sdwa v71, v7, s75 dst_sel:DWORD dst_unused:UNUSED_PAD src0_sel:WORD_0 src1_sel:DWORD
	v_mul_u32_u24_sdwa v72, v7, s75 dst_sel:DWORD dst_unused:UNUSED_PAD src0_sel:WORD_1 src1_sel:DWORD
	v_mul_u32_u24_sdwa v73, v8, s75 dst_sel:DWORD dst_unused:UNUSED_PAD src0_sel:WORD_0 src1_sel:DWORD
	v_mul_u32_u24_sdwa v74, v8, s75 dst_sel:DWORD dst_unused:UNUSED_PAD src0_sel:WORD_1 src1_sel:DWORD
	ds_read_b128 v[5:8], v46 offset:336
	v_pk_fma_f16 v61, v11, v80, v61
	v_pk_fma_f16 v57, v12, v80, v57
	v_pk_fma_f16 v62, v11, v81, v62
	v_pk_fma_f16 v58, v12, v81, v58
	v_pk_fma_f16 v9, v11, v82, v9
	v_pk_fma_f16 v10, v12, v82, v10
	s_waitcnt lgkmcnt(1)
	v_pk_fma_f16 v11, v13, v66, v64
	v_pk_fma_f16 v12, v14, v66, v65
	v_pk_fma_f16 v61, v13, v67, v61
	v_pk_fma_f16 v57, v14, v67, v57
	v_pk_fma_f16 v62, v13, v69, v62
	v_pk_fma_f16 v13, v13, v70, v9
	v_pk_fma_f16 v58, v14, v69, v58
	v_pk_fma_f16 v14, v14, v70, v10
	v_pk_fma_f16 v64, v15, v71, v11
	v_pk_fma_f16 v65, v16, v71, v12
	ds_read2_b64 v[9:12], v54 offset0:64 offset1:96
	s_waitcnt lgkmcnt(1)
	v_mul_u32_u24_sdwa v75, v5, s75 dst_sel:DWORD dst_unused:UNUSED_PAD src0_sel:WORD_0 src1_sel:DWORD
	v_mul_u32_u24_sdwa v76, v5, s75 dst_sel:DWORD dst_unused:UNUSED_PAD src0_sel:WORD_1 src1_sel:DWORD
	v_mul_u32_u24_sdwa v77, v6, s75 dst_sel:DWORD dst_unused:UNUSED_PAD src0_sel:WORD_0 src1_sel:DWORD
	v_mul_u32_u24_sdwa v78, v6, s75 dst_sel:DWORD dst_unused:UNUSED_PAD src0_sel:WORD_1 src1_sel:DWORD
	v_mul_u32_u24_sdwa v79, v7, s75 dst_sel:DWORD dst_unused:UNUSED_PAD src0_sel:WORD_0 src1_sel:DWORD
	v_mul_u32_u24_sdwa v80, v7, s75 dst_sel:DWORD dst_unused:UNUSED_PAD src0_sel:WORD_1 src1_sel:DWORD
	v_mul_u32_u24_sdwa v81, v8, s75 dst_sel:DWORD dst_unused:UNUSED_PAD src0_sel:WORD_0 src1_sel:DWORD
	v_mul_u32_u24_sdwa v82, v8, s75 dst_sel:DWORD dst_unused:UNUSED_PAD src0_sel:WORD_1 src1_sel:DWORD
	ds_read_b128 v[5:8], v46 offset:352
	v_pk_fma_f16 v61, v15, v72, v61
	v_pk_fma_f16 v57, v16, v72, v57
	v_pk_fma_f16 v62, v15, v73, v62
	v_pk_fma_f16 v58, v16, v73, v58
	v_pk_fma_f16 v13, v15, v74, v13
	v_pk_fma_f16 v14, v16, v74, v14
	s_waitcnt lgkmcnt(1)
	v_pk_fma_f16 v15, v9, v75, v64
	v_pk_fma_f16 v16, v10, v75, v65
	v_pk_fma_f16 v61, v9, v76, v61
	v_pk_fma_f16 v57, v10, v76, v57
	v_pk_fma_f16 v62, v9, v77, v62
	v_pk_fma_f16 v58, v10, v77, v58
	v_pk_fma_f16 v9, v9, v78, v13
	v_pk_fma_f16 v10, v10, v78, v14
	v_pk_fma_f16 v64, v11, v79, v15
	v_pk_fma_f16 v65, v12, v79, v16
	ds_read2_b64 v[13:16], v54 offset0:128 offset1:160
	;; [unrolled: 28-line block ×3, first 2 shown]
	s_waitcnt lgkmcnt(1)
	v_mul_u32_u24_sdwa v75, v5, s75 dst_sel:DWORD dst_unused:UNUSED_PAD src0_sel:WORD_0 src1_sel:DWORD
	v_mul_u32_u24_sdwa v76, v5, s75 dst_sel:DWORD dst_unused:UNUSED_PAD src0_sel:WORD_1 src1_sel:DWORD
	v_mul_u32_u24_sdwa v77, v6, s75 dst_sel:DWORD dst_unused:UNUSED_PAD src0_sel:WORD_0 src1_sel:DWORD
	v_mul_u32_u24_sdwa v78, v6, s75 dst_sel:DWORD dst_unused:UNUSED_PAD src0_sel:WORD_1 src1_sel:DWORD
	v_mul_u32_u24_sdwa v79, v7, s75 dst_sel:DWORD dst_unused:UNUSED_PAD src0_sel:WORD_0 src1_sel:DWORD
	v_mul_u32_u24_sdwa v80, v7, s75 dst_sel:DWORD dst_unused:UNUSED_PAD src0_sel:WORD_1 src1_sel:DWORD
	v_mul_u32_u24_sdwa v81, v8, s75 dst_sel:DWORD dst_unused:UNUSED_PAD src0_sel:WORD_0 src1_sel:DWORD
	v_mul_u32_u24_sdwa v82, v8, s75 dst_sel:DWORD dst_unused:UNUSED_PAD src0_sel:WORD_1 src1_sel:DWORD
	ds_read_b128 v[5:8], v46 offset:384
	v_pk_fma_f16 v61, v15, v72, v61
	v_pk_fma_f16 v57, v16, v72, v57
	;; [unrolled: 1-line block ×6, first 2 shown]
	s_waitcnt lgkmcnt(1)
	v_pk_fma_f16 v15, v9, v75, v64
	v_pk_fma_f16 v16, v10, v75, v65
	;; [unrolled: 1-line block ×10, first 2 shown]
	ds_read2_b64 v[13:16], v55 offset1:32
	s_waitcnt lgkmcnt(1)
	v_mul_u32_u24_sdwa v66, v5, s75 dst_sel:DWORD dst_unused:UNUSED_PAD src0_sel:WORD_0 src1_sel:DWORD
	v_mul_u32_u24_sdwa v67, v5, s75 dst_sel:DWORD dst_unused:UNUSED_PAD src0_sel:WORD_1 src1_sel:DWORD
	v_mul_u32_u24_sdwa v69, v6, s75 dst_sel:DWORD dst_unused:UNUSED_PAD src0_sel:WORD_0 src1_sel:DWORD
	v_mul_u32_u24_sdwa v70, v6, s75 dst_sel:DWORD dst_unused:UNUSED_PAD src0_sel:WORD_1 src1_sel:DWORD
	v_mul_u32_u24_sdwa v71, v7, s75 dst_sel:DWORD dst_unused:UNUSED_PAD src0_sel:WORD_0 src1_sel:DWORD
	v_mul_u32_u24_sdwa v72, v7, s75 dst_sel:DWORD dst_unused:UNUSED_PAD src0_sel:WORD_1 src1_sel:DWORD
	v_mul_u32_u24_sdwa v73, v8, s75 dst_sel:DWORD dst_unused:UNUSED_PAD src0_sel:WORD_0 src1_sel:DWORD
	v_mul_u32_u24_sdwa v74, v8, s75 dst_sel:DWORD dst_unused:UNUSED_PAD src0_sel:WORD_1 src1_sel:DWORD
	ds_read_b128 v[5:8], v46 offset:400
	v_pk_fma_f16 v61, v11, v80, v61
	v_pk_fma_f16 v57, v12, v80, v57
	v_pk_fma_f16 v62, v11, v81, v62
	v_pk_fma_f16 v58, v12, v81, v58
	v_pk_fma_f16 v9, v11, v82, v9
	v_pk_fma_f16 v10, v12, v82, v10
	s_waitcnt lgkmcnt(1)
	v_pk_fma_f16 v11, v13, v66, v64
	v_pk_fma_f16 v12, v14, v66, v65
	v_pk_fma_f16 v61, v13, v67, v61
	v_pk_fma_f16 v57, v14, v67, v57
	v_pk_fma_f16 v62, v13, v69, v62
	v_pk_fma_f16 v13, v13, v70, v9
	v_pk_fma_f16 v58, v14, v69, v58
	v_pk_fma_f16 v14, v14, v70, v10
	v_pk_fma_f16 v64, v15, v71, v11
	v_pk_fma_f16 v65, v16, v71, v12
	ds_read2_b64 v[9:12], v55 offset0:64 offset1:96
	s_waitcnt lgkmcnt(1)
	v_mul_u32_u24_sdwa v75, v5, s75 dst_sel:DWORD dst_unused:UNUSED_PAD src0_sel:WORD_0 src1_sel:DWORD
	v_mul_u32_u24_sdwa v76, v5, s75 dst_sel:DWORD dst_unused:UNUSED_PAD src0_sel:WORD_1 src1_sel:DWORD
	v_mul_u32_u24_sdwa v77, v6, s75 dst_sel:DWORD dst_unused:UNUSED_PAD src0_sel:WORD_0 src1_sel:DWORD
	v_mul_u32_u24_sdwa v78, v6, s75 dst_sel:DWORD dst_unused:UNUSED_PAD src0_sel:WORD_1 src1_sel:DWORD
	v_mul_u32_u24_sdwa v79, v7, s75 dst_sel:DWORD dst_unused:UNUSED_PAD src0_sel:WORD_0 src1_sel:DWORD
	v_mul_u32_u24_sdwa v80, v7, s75 dst_sel:DWORD dst_unused:UNUSED_PAD src0_sel:WORD_1 src1_sel:DWORD
	v_mul_u32_u24_sdwa v81, v8, s75 dst_sel:DWORD dst_unused:UNUSED_PAD src0_sel:WORD_0 src1_sel:DWORD
	v_mul_u32_u24_sdwa v82, v8, s75 dst_sel:DWORD dst_unused:UNUSED_PAD src0_sel:WORD_1 src1_sel:DWORD
	ds_read_b128 v[5:8], v46 offset:416
	v_pk_fma_f16 v61, v15, v72, v61
	v_pk_fma_f16 v57, v16, v72, v57
	v_pk_fma_f16 v62, v15, v73, v62
	v_pk_fma_f16 v58, v16, v73, v58
	v_pk_fma_f16 v13, v15, v74, v13
	v_pk_fma_f16 v14, v16, v74, v14
	s_waitcnt lgkmcnt(1)
	v_pk_fma_f16 v15, v9, v75, v64
	v_pk_fma_f16 v16, v10, v75, v65
	v_pk_fma_f16 v61, v9, v76, v61
	v_pk_fma_f16 v57, v10, v76, v57
	v_pk_fma_f16 v62, v9, v77, v62
	v_pk_fma_f16 v58, v10, v77, v58
	v_pk_fma_f16 v9, v9, v78, v13
	v_pk_fma_f16 v10, v10, v78, v14
	v_pk_fma_f16 v64, v11, v79, v15
	v_pk_fma_f16 v65, v12, v79, v16
	ds_read2_b64 v[13:16], v55 offset0:128 offset1:160
	;; [unrolled: 28-line block ×3, first 2 shown]
	s_waitcnt lgkmcnt(1)
	v_mul_u32_u24_sdwa v75, v5, s75 dst_sel:DWORD dst_unused:UNUSED_PAD src0_sel:WORD_0 src1_sel:DWORD
	v_mul_u32_u24_sdwa v76, v5, s75 dst_sel:DWORD dst_unused:UNUSED_PAD src0_sel:WORD_1 src1_sel:DWORD
	v_mul_u32_u24_sdwa v77, v6, s75 dst_sel:DWORD dst_unused:UNUSED_PAD src0_sel:WORD_0 src1_sel:DWORD
	v_mul_u32_u24_sdwa v78, v6, s75 dst_sel:DWORD dst_unused:UNUSED_PAD src0_sel:WORD_1 src1_sel:DWORD
	;; [unrolled: 2-line block ×4, first 2 shown]
	ds_read_b128 v[5:8], v46 offset:448
	v_pk_fma_f16 v61, v15, v72, v61
	v_pk_fma_f16 v57, v16, v72, v57
	;; [unrolled: 1-line block ×6, first 2 shown]
	s_waitcnt lgkmcnt(1)
	v_pk_fma_f16 v15, v9, v75, v64
	v_pk_fma_f16 v16, v10, v75, v65
	;; [unrolled: 1-line block ×10, first 2 shown]
	ds_read2_b64 v[13:16], v56 offset1:32
	s_waitcnt lgkmcnt(1)
	v_mul_u32_u24_sdwa v66, v5, s75 dst_sel:DWORD dst_unused:UNUSED_PAD src0_sel:WORD_0 src1_sel:DWORD
	v_mul_u32_u24_sdwa v67, v5, s75 dst_sel:DWORD dst_unused:UNUSED_PAD src0_sel:WORD_1 src1_sel:DWORD
	v_mul_u32_u24_sdwa v69, v6, s75 dst_sel:DWORD dst_unused:UNUSED_PAD src0_sel:WORD_0 src1_sel:DWORD
	v_mul_u32_u24_sdwa v70, v6, s75 dst_sel:DWORD dst_unused:UNUSED_PAD src0_sel:WORD_1 src1_sel:DWORD
	;; [unrolled: 2-line block ×4, first 2 shown]
	ds_read_b128 v[5:8], v46 offset:464
	v_pk_fma_f16 v61, v11, v80, v61
	v_pk_fma_f16 v57, v12, v80, v57
	;; [unrolled: 1-line block ×6, first 2 shown]
	s_waitcnt lgkmcnt(1)
	v_pk_fma_f16 v11, v13, v66, v64
	v_pk_fma_f16 v12, v14, v66, v65
	v_pk_fma_f16 v61, v13, v67, v61
	v_pk_fma_f16 v57, v14, v67, v57
	ds_read2_b64 v[64:67], v56 offset0:64 offset1:96
	s_waitcnt lgkmcnt(1)
	v_mul_u32_u24_sdwa v75, v5, s75 dst_sel:DWORD dst_unused:UNUSED_PAD src0_sel:WORD_0 src1_sel:DWORD
	v_pk_fma_f16 v62, v13, v69, v62
	v_pk_fma_f16 v58, v14, v69, v58
	;; [unrolled: 1-line block ×6, first 2 shown]
	v_mul_u32_u24_sdwa v76, v5, s75 dst_sel:DWORD dst_unused:UNUSED_PAD src0_sel:WORD_1 src1_sel:DWORD
	v_mul_u32_u24_sdwa v77, v6, s75 dst_sel:DWORD dst_unused:UNUSED_PAD src0_sel:WORD_0 src1_sel:DWORD
	v_mul_u32_u24_sdwa v78, v6, s75 dst_sel:DWORD dst_unused:UNUSED_PAD src0_sel:WORD_1 src1_sel:DWORD
	v_mul_u32_u24_sdwa v79, v7, s75 dst_sel:DWORD dst_unused:UNUSED_PAD src0_sel:WORD_0 src1_sel:DWORD
	;; [unrolled: 2-line block ×3, first 2 shown]
	v_mul_u32_u24_sdwa v82, v8, s75 dst_sel:DWORD dst_unused:UNUSED_PAD src0_sel:WORD_1 src1_sel:DWORD
	ds_read_b128 v[5:8], v46 offset:480
	v_pk_fma_f16 v61, v15, v72, v61
	v_pk_fma_f16 v62, v15, v73, v62
	;; [unrolled: 1-line block ×3, first 2 shown]
	s_waitcnt lgkmcnt(1)
	v_pk_fma_f16 v70, v64, v75, v14
	v_pk_fma_f16 v71, v65, v75, v12
	ds_read_b128 v[12:15], v46 offset:496
	v_pk_fma_f16 v57, v16, v72, v57
	v_pk_fma_f16 v58, v16, v73, v58
	;; [unrolled: 1-line block ×11, first 2 shown]
	ds_read2_b64 v[69:72], v56 offset0:128 offset1:160
	v_pk_fma_f16 v61, v66, v80, v61
	v_pk_fma_f16 v57, v67, v80, v57
	s_waitcnt lgkmcnt(1)
	v_mul_u32_u24_sdwa v74, v12, s75 dst_sel:DWORD dst_unused:UNUSED_PAD src0_sel:WORD_0 src1_sel:DWORD
	v_pk_fma_f16 v62, v66, v81, v62
	v_pk_fma_f16 v58, v67, v81, v58
	v_mul_u32_u24_sdwa v75, v12, s75 dst_sel:DWORD dst_unused:UNUSED_PAD src0_sel:WORD_1 src1_sel:DWORD
	v_pk_fma_f16 v64, v66, v82, v64
	v_pk_fma_f16 v16, v67, v82, v16
	v_mul_u32_u24_sdwa v66, v13, s75 dst_sel:DWORD dst_unused:UNUSED_PAD src0_sel:WORD_0 src1_sel:DWORD
	v_mul_u32_u24_sdwa v67, v13, s75 dst_sel:DWORD dst_unused:UNUSED_PAD src0_sel:WORD_1 src1_sel:DWORD
	v_mul_u32_u24_sdwa v76, v14, s75 dst_sel:DWORD dst_unused:UNUSED_PAD src0_sel:WORD_0 src1_sel:DWORD
	v_mul_u32_u24_sdwa v77, v14, s75 dst_sel:DWORD dst_unused:UNUSED_PAD src0_sel:WORD_1 src1_sel:DWORD
	;; [unrolled: 2-line block ×3, first 2 shown]
	ds_read2_b64 v[12:15], v56 offset0:192 offset1:224
	s_waitcnt lgkmcnt(0)
	s_barrier
	s_load_dword s0, s[54:55], 0x4
	v_mul_u32_u24_sdwa v83, v5, s75 dst_sel:DWORD dst_unused:UNUSED_PAD src0_sel:WORD_0 src1_sel:DWORD
	v_mul_u32_u24_sdwa v9, v5, s75 dst_sel:DWORD dst_unused:UNUSED_PAD src0_sel:WORD_1 src1_sel:DWORD
	v_mul_u32_u24_sdwa v10, v6, s75 dst_sel:DWORD dst_unused:UNUSED_PAD src0_sel:WORD_0 src1_sel:DWORD
	v_mul_u32_u24_sdwa v11, v6, s75 dst_sel:DWORD dst_unused:UNUSED_PAD src0_sel:WORD_1 src1_sel:DWORD
	v_mul_u32_u24_sdwa v5, v7, s75 dst_sel:DWORD dst_unused:UNUSED_PAD src0_sel:WORD_0 src1_sel:DWORD
	v_mul_u32_u24_sdwa v6, v7, s75 dst_sel:DWORD dst_unused:UNUSED_PAD src0_sel:WORD_1 src1_sel:DWORD
	v_mul_u32_u24_sdwa v7, v8, s75 dst_sel:DWORD dst_unused:UNUSED_PAD src0_sel:WORD_0 src1_sel:DWORD
	v_mul_u32_u24_sdwa v8, v8, s75 dst_sel:DWORD dst_unused:UNUSED_PAD src0_sel:WORD_1 src1_sel:DWORD
	v_pk_fma_f16 v65, v69, v83, v65
	v_pk_fma_f16 v73, v70, v83, v73
	;; [unrolled: 1-line block ×8, first 2 shown]
	s_waitcnt lgkmcnt(0)
	s_lshl_b32 s0, s0, 6
	v_pk_fma_f16 v16, v71, v5, v65
	v_pk_fma_f16 v57, v71, v6, v61
	;; [unrolled: 1-line block ×8, first 2 shown]
	s_add_i32 s6, s0, s6
	v_pk_fma_f16 v9, v12, v74, v16
	v_pk_fma_f16 v10, v12, v75, v57
	;; [unrolled: 1-line block ×8, first 2 shown]
	s_cmp_ge_i32 s6, s66
	v_pk_fma_f16 v66, v14, v76, v9
	v_pk_fma_f16 v64, v14, v77, v10
	;; [unrolled: 1-line block ×8, first 2 shown]
	s_cbranch_scc0 .LBB37_9
.LBB37_10:
	v_cmp_lt_i32_e32 vcc, v39, v34
	v_cndmask_b32_e32 v5, v33, v39, vcc
	v_lshlrev_b32_e32 v5, 2, v5
	ds_bpermute_b32 v6, v5, v63
	ds_bpermute_b32 v12, v5, v60
	ds_bpermute_b32 v13, v5, v68
	ds_bpermute_b32 v5, v5, v59
	v_cmp_lt_i32_e32 vcc, v38, v34
	v_cndmask_b32_e32 v7, v33, v38, vcc
	v_lshlrev_b32_e32 v7, 2, v7
	s_waitcnt lgkmcnt(3)
	v_add_f32_e32 v6, v63, v6
	s_waitcnt lgkmcnt(2)
	v_add_f32_e32 v12, v60, v12
	s_waitcnt lgkmcnt(1)
	v_add_f32_e32 v13, v68, v13
	s_waitcnt lgkmcnt(0)
	v_add_f32_e32 v5, v59, v5
	ds_bpermute_b32 v8, v7, v6
	ds_bpermute_b32 v14, v7, v12
	ds_bpermute_b32 v15, v7, v13
	ds_bpermute_b32 v7, v7, v5
	v_cmp_lt_i32_e32 vcc, v37, v34
	v_cndmask_b32_e32 v9, v33, v37, vcc
	v_lshlrev_b32_e32 v9, 2, v9
	s_waitcnt lgkmcnt(3)
	v_add_f32_e32 v6, v6, v8
	s_waitcnt lgkmcnt(2)
	v_add_f32_e32 v12, v12, v14
	s_waitcnt lgkmcnt(1)
	v_add_f32_e32 v13, v13, v15
	s_waitcnt lgkmcnt(0)
	v_add_f32_e32 v5, v5, v7
	;; [unrolled: 15-line block ×4, first 2 shown]
	ds_bpermute_b32 v8, v11, v6
	ds_bpermute_b32 v10, v11, v9
	;; [unrolled: 1-line block ×4, first 2 shown]
	s_cmp_lg_u64 s[52:53], 0
	s_cselect_b64 s[0:1], -1, 0
	s_cmp_eq_u32 s7, 0
	s_cselect_b64 s[2:3], -1, 0
	s_and_b64 s[0:1], s[2:3], s[0:1]
	s_waitcnt lgkmcnt(3)
	v_add_f32_e32 v5, v6, v8
	s_waitcnt lgkmcnt(2)
	v_add_f32_e32 v6, v9, v10
	;; [unrolled: 2-line block ×4, first 2 shown]
	s_and_b64 vcc, exec, s[0:1]
	s_cbranch_vccz .LBB37_13
; %bb.11:
	s_ashr_i32 s65, s64, 31
	s_lshl_b64 s[0:1], s[64:65], 2
	s_add_u32 s0, s52, s0
	s_addc_u32 s1, s53, s1
	v_mov_b32_e32 v9, 0
	global_load_dwordx2 v[11:12], v9, s[0:1]
	v_max_f32_e32 v9, v1, v1
	v_max_f32_e32 v10, v2, v2
	;; [unrolled: 1-line block ×3, first 2 shown]
	s_mov_b32 s2, 0x3fb8aa3b
	s_mov_b32 s1, 0xc2ce8ed0
	;; [unrolled: 1-line block ×3, first 2 shown]
	v_mov_b32_e32 v17, 0x7f800000
	s_waitcnt vmcnt(0)
	v_max_f32_e32 v16, v11, v11
	v_max_f32_e32 v13, v9, v16
	;; [unrolled: 1-line block ×3, first 2 shown]
	v_sub_f32_e32 v1, v1, v13
	v_max_f32_e32 v14, v10, v18
	v_max_f32_e32 v15, v15, v16
	v_sub_f32_e32 v9, v11, v13
	v_mul_f32_e32 v16, 0x3fb8aa3b, v1
	v_sub_f32_e32 v2, v2, v14
	v_mul_f32_e32 v19, 0x3fb8aa3b, v9
	v_fma_f32 v24, v1, s2, -v16
	v_rndne_f32_e32 v32, v16
	v_sub_f32_e32 v10, v12, v14
	v_mul_f32_e32 v20, 0x3fb8aa3b, v2
	v_fma_f32 v33, v9, s2, -v19
	v_rndne_f32_e32 v34, v19
	v_fmac_f32_e32 v24, 0x32a5705f, v1
	v_sub_f32_e32 v16, v16, v32
	v_mul_f32_e32 v21, 0x3fb8aa3b, v10
	v_fma_f32 v35, v2, s2, -v20
	v_rndne_f32_e32 v36, v20
	v_fmac_f32_e32 v33, 0x32a5705f, v9
	v_sub_f32_e32 v19, v19, v34
	v_add_f32_e32 v16, v16, v24
	v_fma_f32 v37, v10, s2, -v21
	v_rndne_f32_e32 v38, v21
	v_cvt_i32_f32_e32 v32, v32
	v_fmac_f32_e32 v35, 0x32a5705f, v2
	v_sub_f32_e32 v20, v20, v36
	v_add_f32_e32 v19, v19, v33
	v_exp_f32_e32 v16, v16
	v_cvt_i32_f32_e32 v34, v34
	v_fmac_f32_e32 v37, 0x32a5705f, v10
	v_sub_f32_e32 v21, v21, v38
	v_add_f32_e32 v20, v20, v35
	v_exp_f32_e32 v19, v19
	v_cvt_i32_f32_e32 v36, v36
	v_add_f32_e32 v21, v21, v37
	v_exp_f32_e32 v20, v20
	v_cvt_i32_f32_e32 v38, v38
	v_exp_f32_e32 v21, v21
	v_ldexp_f32 v16, v16, v32
	v_cmp_ngt_f32_e32 vcc, s1, v1
	v_ldexp_f32 v19, v19, v34
	v_cndmask_b32_e32 v16, 0, v16, vcc
	v_cmp_ngt_f32_e32 vcc, s1, v9
	v_sub_f32_e32 v3, v3, v15
	v_ldexp_f32 v20, v20, v36
	v_cndmask_b32_e32 v19, 0, v19, vcc
	v_cmp_ngt_f32_e32 vcc, s1, v2
	v_mul_f32_e32 v22, 0x3fb8aa3b, v3
	v_ldexp_f32 v21, v21, v38
	v_cndmask_b32_e32 v20, 0, v20, vcc
	v_cmp_ngt_f32_e32 vcc, s1, v10
	v_sub_f32_e32 v11, v11, v15
	v_fma_f32 v39, v3, s2, -v22
	v_rndne_f32_e32 v40, v22
	v_cndmask_b32_e32 v21, 0, v21, vcc
	v_cmp_nlt_f32_e32 vcc, s0, v1
	v_mul_f32_e32 v23, 0x3fb8aa3b, v11
	v_fmac_f32_e32 v39, 0x32a5705f, v3
	v_sub_f32_e32 v22, v22, v40
	v_cndmask_b32_e32 v1, v17, v16, vcc
	v_cmp_nlt_f32_e32 vcc, s0, v9
	v_fma_f32 v41, v11, s2, -v23
	v_rndne_f32_e32 v42, v23
	v_add_f32_e32 v22, v22, v39
	v_cndmask_b32_e32 v9, v17, v19, vcc
	v_cmp_nlt_f32_e32 vcc, s0, v2
	v_cvt_i32_f32_e32 v40, v40
	v_fmac_f32_e32 v41, 0x32a5705f, v11
	v_sub_f32_e32 v23, v23, v42
	v_exp_f32_e32 v22, v22
	v_cndmask_b32_e32 v2, v17, v20, vcc
	v_cvt_f16_f32_e32 v16, v1
	v_add_f32_e32 v23, v23, v41
	v_cvt_f16_f32_e32 v19, v2
	v_cvt_i32_f32_e32 v42, v42
	v_exp_f32_e32 v23, v23
	v_cmp_nlt_f32_e32 vcc, s0, v10
	v_ldexp_f32 v22, v22, v40
	v_cndmask_b32_e32 v10, v17, v21, vcc
	v_fmac_f32_e32 v9, v5, v1
	v_mul_u32_u24_e32 v1, 0x10001, v16
	v_cmp_ngt_f32_e32 vcc, s1, v3
	v_fmac_f32_e32 v10, v6, v2
	v_mul_u32_u24_e32 v2, 0x10001, v19
	v_pk_mul_f16 v66, v66, v1
	v_pk_mul_f16 v67, v67, v1
	v_cndmask_b32_e32 v1, 0, v22, vcc
	v_cmp_nlt_f32_e32 vcc, s0, v3
	v_pk_mul_f16 v64, v64, v2
	v_pk_mul_f16 v65, v65, v2
	v_cndmask_b32_e32 v1, v17, v1, vcc
	v_ldexp_f32 v2, v23, v42
	v_cmp_ngt_f32_e32 vcc, s1, v11
	v_cndmask_b32_e32 v2, 0, v2, vcc
	v_cmp_nlt_f32_e32 vcc, s0, v11
	v_cndmask_b32_e32 v11, v17, v2, vcc
	v_max_f32_e32 v2, v4, v4
	v_max_f32_e32 v16, v2, v18
	v_sub_f32_e32 v2, v4, v16
	v_mul_f32_e32 v3, 0x3fb8aa3b, v2
	v_fma_f32 v4, v2, s2, -v3
	v_rndne_f32_e32 v5, v3
	v_fmac_f32_e32 v4, 0x32a5705f, v2
	v_sub_f32_e32 v3, v3, v5
	v_fmac_f32_e32 v11, v7, v1
	v_cvt_f16_f32_e32 v1, v1
	v_add_f32_e32 v3, v3, v4
	v_exp_f32_e32 v3, v3
	v_cvt_i32_f32_e32 v4, v5
	v_mul_u32_u24_e32 v1, 0x10001, v1
	v_pk_mul_f16 v61, v61, v1
	v_pk_mul_f16 v62, v62, v1
	v_ldexp_f32 v1, v3, v4
	v_sub_f32_e32 v3, v12, v16
	v_mul_f32_e32 v4, 0x3fb8aa3b, v3
	v_fma_f32 v5, v3, s2, -v4
	v_rndne_f32_e32 v6, v4
	v_fmac_f32_e32 v5, 0x32a5705f, v3
	v_sub_f32_e32 v4, v4, v6
	v_add_f32_e32 v4, v4, v5
	v_exp_f32_e32 v4, v4
	v_cvt_i32_f32_e32 v5, v6
	v_cmp_ngt_f32_e32 vcc, s1, v2
	v_cndmask_b32_e32 v1, 0, v1, vcc
	v_cmp_nlt_f32_e32 vcc, s0, v2
	v_cndmask_b32_e32 v1, v17, v1, vcc
	v_ldexp_f32 v2, v4, v5
	v_cvt_f16_f32_e32 v4, v1
	v_cmp_ngt_f32_e32 vcc, s1, v3
	v_cndmask_b32_e32 v2, 0, v2, vcc
	v_cmp_nlt_f32_e32 vcc, s0, v3
	v_cndmask_b32_e32 v12, v17, v2, vcc
	v_fmac_f32_e32 v12, v8, v1
	v_mul_u32_u24_e32 v1, 0x10001, v4
	v_pk_mul_f16 v58, v58, v1
	v_pk_mul_f16 v57, v57, v1
	v_mov_b32_e32 v1, v13
	v_mov_b32_e32 v2, v14
	;; [unrolled: 1-line block ×8, first 2 shown]
	v_cmp_gt_i32_e32 vcc, s62, v31
	s_and_saveexec_b64 s[0:1], vcc
	s_cbranch_execnz .LBB37_14
.LBB37_12:
	s_endpgm
.LBB37_13:
	v_mov_b32_e32 v12, v8
	v_mov_b32_e32 v11, v7
	;; [unrolled: 1-line block ×4, first 2 shown]
	v_cmp_gt_i32_e32 vcc, s62, v31
	s_and_saveexec_b64 s[0:1], vcc
	s_cbranch_execz .LBB37_12
.LBB37_14:
	s_load_dword s6, s[4:5], 0xd4
	v_mov_b32_e32 v14, 1.0
	s_waitcnt lgkmcnt(0)
	s_cmp_lg_u32 s6, 1
	s_cselect_b64 s[2:3], -1, 0
	s_cmp_eq_u32 s6, 1
	s_cselect_b64 s[4:5], -1, 0
	s_and_b64 vcc, exec, s[2:3]
	s_cbranch_vccnz .LBB37_16
; %bb.15:
	v_div_scale_f32 v13, s[0:1], v5, v5, 1.0
	v_div_scale_f32 v14, vcc, 1.0, v5, 1.0
	v_rcp_f32_e32 v15, v13
	v_fma_f32 v16, -v13, v15, 1.0
	v_fmac_f32_e32 v15, v16, v15
	v_mul_f32_e32 v16, v14, v15
	v_fma_f32 v17, -v13, v16, v14
	v_fmac_f32_e32 v16, v17, v15
	v_fma_f32 v13, -v13, v16, v14
	v_div_fmas_f32 v13, v13, v15, v16
	v_div_fixup_f32 v14, v13, v5, 1.0
.LBB37_16:
	s_mul_i32 s8, s33, s62
	s_add_i32 s8, s8, s67
	v_add_u32_e32 v5, s8, v30
	v_mul_lo_u32 v5, v5, s63
	v_cmp_eq_u32_e32 vcc, 0, v0
	v_cvt_f32_f16_e32 v0, v66
	v_mov_b32_e32 v20, 0
	v_add_u32_e32 v13, s64, v5
	v_mul_lo_u32 v13, s6, v13
	v_cvt_f32_f16_sdwa v16, v66 dst_sel:DWORD dst_unused:UNUSED_PAD src0_sel:WORD_1
	v_cvt_f32_f16_e32 v17, v67
	v_cvt_f32_f16_sdwa v18, v67 dst_sel:DWORD dst_unused:UNUSED_PAD src0_sel:WORD_1
	v_add_u32_e32 v13, s7, v13
	v_lshl_add_u32 v19, v13, 7, v29
	v_lshlrev_b64 v[19:20], 2, v[19:20]
	v_mul_f32_e32 v15, v14, v0
	v_mov_b32_e32 v0, s57
	v_add_co_u32_e64 v19, s[0:1], s56, v19
	v_mul_f32_e32 v16, v14, v16
	v_mul_f32_e32 v17, v14, v17
	;; [unrolled: 1-line block ×3, first 2 shown]
	v_addc_co_u32_e64 v20, s[0:1], v0, v20, s[0:1]
	s_and_b64 s[2:3], vcc, s[2:3]
	global_store_dwordx4 v[19:20], v[15:18], off
	s_and_saveexec_b64 s[0:1], s[2:3]
	s_cbranch_execz .LBB37_18
; %bb.17:
	v_ashrrev_i32_e32 v14, 31, v13
	v_lshlrev_b64 v[13:14], 3, v[13:14]
	v_mov_b32_e32 v0, s59
	v_add_co_u32_e32 v13, vcc, s58, v13
	v_addc_co_u32_e32 v14, vcc, v0, v14, vcc
	v_mov_b32_e32 v0, v1
	v_mov_b32_e32 v1, v9
	global_store_dwordx2 v[13:14], v[0:1], off
.LBB37_18:
	s_or_b64 exec, exec, s[0:1]
	v_cndmask_b32_e64 v0, 0, 1, s[4:5]
	v_cmp_ne_u32_e64 s[0:1], 1, v0
	s_andn2_b64 vcc, exec, s[4:5]
	v_mov_b32_e32 v1, 1.0
	s_cbranch_vccnz .LBB37_20
; %bb.19:
	v_div_scale_f32 v0, s[4:5], v6, v6, 1.0
	v_div_scale_f32 v1, vcc, 1.0, v6, 1.0
	v_rcp_f32_e32 v9, v0
	v_fma_f32 v13, -v0, v9, 1.0
	v_fmac_f32_e32 v9, v13, v9
	v_mul_f32_e32 v13, v1, v9
	v_fma_f32 v14, -v0, v13, v1
	v_fmac_f32_e32 v13, v14, v9
	v_fma_f32 v0, -v0, v13, v1
	v_div_fmas_f32 v0, v0, v9, v13
	v_div_fixup_f32 v1, v0, v6, 1.0
.LBB37_20:
	s_add_i32 s9, s64, 1
	v_add_u32_e32 v0, s9, v5
	v_mul_lo_u32 v0, s6, v0
	v_cvt_f32_f16_e32 v9, v64
	v_cvt_f32_f16_sdwa v14, v64 dst_sel:DWORD dst_unused:UNUSED_PAD src0_sel:WORD_1
	v_cvt_f32_f16_e32 v15, v65
	v_add_u32_e32 v0, s7, v0
	v_cvt_f32_f16_sdwa v16, v65 dst_sel:DWORD dst_unused:UNUSED_PAD src0_sel:WORD_1
	v_mov_b32_e32 v6, 0
	v_lshl_add_u32 v5, v0, 7, v29
	v_lshlrev_b64 v[5:6], 2, v[5:6]
	v_mul_f32_e32 v13, v1, v9
	v_mul_f32_e32 v14, v1, v14
	;; [unrolled: 1-line block ×4, first 2 shown]
	v_mov_b32_e32 v1, s57
	v_add_co_u32_e32 v5, vcc, s56, v5
	v_addc_co_u32_e32 v6, vcc, v1, v6, vcc
	global_store_dwordx4 v[5:6], v[13:16], off
	s_and_saveexec_b64 s[4:5], s[2:3]
	s_cbranch_execz .LBB37_22
; %bb.21:
	v_ashrrev_i32_e32 v1, 31, v0
	v_lshlrev_b64 v[0:1], 3, v[0:1]
	v_mov_b32_e32 v5, s59
	v_add_co_u32_e32 v0, vcc, s58, v0
	v_addc_co_u32_e32 v1, vcc, v5, v1, vcc
	v_mov_b32_e32 v9, v2
	global_store_dwordx2 v[0:1], v[9:10], off
.LBB37_22:
	s_or_b64 exec, exec, s[4:5]
	v_cmp_gt_i32_e32 vcc, s62, v28
	s_and_b64 exec, exec, vcc
	s_cbranch_execz .LBB37_12
; %bb.23:
	s_and_b64 vcc, exec, s[0:1]
	v_mov_b32_e32 v1, 1.0
	s_cbranch_vccnz .LBB37_25
; %bb.24:
	v_div_scale_f32 v0, s[4:5], v7, v7, 1.0
	v_div_scale_f32 v1, vcc, 1.0, v7, 1.0
	v_rcp_f32_e32 v2, v0
	v_fma_f32 v5, -v0, v2, 1.0
	v_fmac_f32_e32 v2, v5, v2
	v_mul_f32_e32 v5, v1, v2
	v_fma_f32 v6, -v0, v5, v1
	v_fmac_f32_e32 v5, v6, v2
	v_fma_f32 v0, -v0, v5, v1
	v_div_fmas_f32 v0, v0, v2, v5
	v_div_fixup_f32 v1, v0, v7, 1.0
.LBB37_25:
	v_add_u32_e32 v0, s8, v27
	v_mul_lo_u32 v0, v0, s63
	v_cvt_f32_f16_e32 v2, v61
	v_cvt_f32_f16_sdwa v7, v61 dst_sel:DWORD dst_unused:UNUSED_PAD src0_sel:WORD_1
	v_cvt_f32_f16_e32 v9, v62
	v_add_u32_e32 v0, s64, v0
	v_mul_lo_u32 v0, s6, v0
	v_cvt_f32_f16_sdwa v10, v62 dst_sel:DWORD dst_unused:UNUSED_PAD src0_sel:WORD_1
	v_mov_b32_e32 v6, 0
	v_mul_f32_e32 v13, v1, v2
	v_add_u32_e32 v0, s7, v0
	v_lshl_add_u32 v5, v0, 7, v29
	v_mul_f32_e32 v14, v1, v7
	v_mul_f32_e32 v15, v1, v9
	;; [unrolled: 1-line block ×3, first 2 shown]
	v_lshlrev_b64 v[1:2], 2, v[5:6]
	v_mov_b32_e32 v5, s57
	v_add_co_u32_e32 v1, vcc, s56, v1
	v_addc_co_u32_e32 v2, vcc, v5, v2, vcc
	global_store_dwordx4 v[1:2], v[13:16], off
	s_and_saveexec_b64 s[4:5], s[2:3]
	s_cbranch_execz .LBB37_27
; %bb.26:
	v_ashrrev_i32_e32 v1, 31, v0
	v_lshlrev_b64 v[0:1], 3, v[0:1]
	v_mov_b32_e32 v2, s59
	v_add_co_u32_e32 v0, vcc, s58, v0
	v_addc_co_u32_e32 v1, vcc, v2, v1, vcc
	v_mov_b32_e32 v10, v3
	global_store_dwordx2 v[0:1], v[10:11], off
.LBB37_27:
	s_or_b64 exec, exec, s[4:5]
	v_cmp_gt_i32_e32 vcc, s62, v26
	s_and_b64 exec, exec, vcc
	s_cbranch_execz .LBB37_12
; %bb.28:
	s_and_b64 vcc, exec, s[0:1]
	v_mov_b32_e32 v1, 1.0
	s_cbranch_vccnz .LBB37_30
; %bb.29:
	v_div_scale_f32 v0, s[0:1], v8, v8, 1.0
	v_div_scale_f32 v1, vcc, 1.0, v8, 1.0
	v_rcp_f32_e32 v2, v0
	v_fma_f32 v3, -v0, v2, 1.0
	v_fmac_f32_e32 v2, v3, v2
	v_mul_f32_e32 v3, v1, v2
	v_fma_f32 v5, -v0, v3, v1
	v_fmac_f32_e32 v3, v5, v2
	v_fma_f32 v0, -v0, v3, v1
	v_div_fmas_f32 v0, v0, v2, v3
	v_div_fixup_f32 v1, v0, v8, 1.0
.LBB37_30:
	v_add_u32_e32 v0, s8, v25
	v_mul_lo_u32 v0, v0, s63
	v_cvt_f32_f16_e32 v2, v58
	v_cvt_f32_f16_sdwa v6, v58 dst_sel:DWORD dst_unused:UNUSED_PAD src0_sel:WORD_1
	v_cvt_f32_f16_e32 v7, v57
	v_add_u32_e32 v0, s9, v0
	v_mul_lo_u32 v0, s6, v0
	v_cvt_f32_f16_sdwa v8, v57 dst_sel:DWORD dst_unused:UNUSED_PAD src0_sel:WORD_1
	v_mov_b32_e32 v3, 0
	v_mul_f32_e32 v5, v1, v2
	v_add_u32_e32 v0, s7, v0
	v_lshl_add_u32 v2, v0, 7, v29
	v_mul_f32_e32 v6, v1, v6
	v_mul_f32_e32 v7, v1, v7
	;; [unrolled: 1-line block ×3, first 2 shown]
	v_lshlrev_b64 v[1:2], 2, v[2:3]
	v_mov_b32_e32 v3, s57
	v_add_co_u32_e32 v1, vcc, s56, v1
	v_addc_co_u32_e32 v2, vcc, v3, v2, vcc
	global_store_dwordx4 v[1:2], v[5:8], off
	s_and_b64 exec, exec, s[2:3]
	s_cbranch_execz .LBB37_12
; %bb.31:
	v_ashrrev_i32_e32 v1, 31, v0
	v_lshlrev_b64 v[0:1], 3, v[0:1]
	v_mov_b32_e32 v2, s59
	v_add_co_u32_e32 v0, vcc, s58, v0
	v_addc_co_u32_e32 v1, vcc, v2, v1, vcc
	v_mov_b32_e32 v11, v4
	global_store_dwordx2 v[0:1], v[11:12], off
	s_endpgm
	.section	.rodata,"a",@progbits
	.p2align	6, 0x0
	.amdhsa_kernel _ZL15flash_attn_tileILi128ELi128ELi16ELi2ELb0EEvPKcS1_S1_S1_S1_PKiPfP15HIP_vector_typeIfLj2EEffffjfiS5_IjLj3EEiiiiiiiiiiiliiliiiiil
		.amdhsa_group_segment_fixed_size 21504
		.amdhsa_private_segment_fixed_size 0
		.amdhsa_kernarg_size 464
		.amdhsa_user_sgpr_count 6
		.amdhsa_user_sgpr_private_segment_buffer 1
		.amdhsa_user_sgpr_dispatch_ptr 0
		.amdhsa_user_sgpr_queue_ptr 0
		.amdhsa_user_sgpr_kernarg_segment_ptr 1
		.amdhsa_user_sgpr_dispatch_id 0
		.amdhsa_user_sgpr_flat_scratch_init 0
		.amdhsa_user_sgpr_private_segment_size 0
		.amdhsa_uses_dynamic_stack 0
		.amdhsa_system_sgpr_private_segment_wavefront_offset 0
		.amdhsa_system_sgpr_workgroup_id_x 1
		.amdhsa_system_sgpr_workgroup_id_y 1
		.amdhsa_system_sgpr_workgroup_id_z 1
		.amdhsa_system_sgpr_workgroup_info 0
		.amdhsa_system_vgpr_workitem_id 1
		.amdhsa_next_free_vgpr 97
		.amdhsa_next_free_sgpr 98
		.amdhsa_reserve_vcc 1
		.amdhsa_reserve_flat_scratch 0
		.amdhsa_float_round_mode_32 0
		.amdhsa_float_round_mode_16_64 0
		.amdhsa_float_denorm_mode_32 3
		.amdhsa_float_denorm_mode_16_64 3
		.amdhsa_dx10_clamp 1
		.amdhsa_ieee_mode 1
		.amdhsa_fp16_overflow 0
		.amdhsa_exception_fp_ieee_invalid_op 0
		.amdhsa_exception_fp_denorm_src 0
		.amdhsa_exception_fp_ieee_div_zero 0
		.amdhsa_exception_fp_ieee_overflow 0
		.amdhsa_exception_fp_ieee_underflow 0
		.amdhsa_exception_fp_ieee_inexact 0
		.amdhsa_exception_int_div_zero 0
	.end_amdhsa_kernel
	.section	.text._ZL15flash_attn_tileILi128ELi128ELi16ELi2ELb0EEvPKcS1_S1_S1_S1_PKiPfP15HIP_vector_typeIfLj2EEffffjfiS5_IjLj3EEiiiiiiiiiiiliiliiiiil,"axG",@progbits,_ZL15flash_attn_tileILi128ELi128ELi16ELi2ELb0EEvPKcS1_S1_S1_S1_PKiPfP15HIP_vector_typeIfLj2EEffffjfiS5_IjLj3EEiiiiiiiiiiiliiliiiiil,comdat
.Lfunc_end37:
	.size	_ZL15flash_attn_tileILi128ELi128ELi16ELi2ELb0EEvPKcS1_S1_S1_S1_PKiPfP15HIP_vector_typeIfLj2EEffffjfiS5_IjLj3EEiiiiiiiiiiiliiliiiiil, .Lfunc_end37-_ZL15flash_attn_tileILi128ELi128ELi16ELi2ELb0EEvPKcS1_S1_S1_S1_PKiPfP15HIP_vector_typeIfLj2EEffffjfiS5_IjLj3EEiiiiiiiiiiiliiliiiiil
                                        ; -- End function
	.set _ZL15flash_attn_tileILi128ELi128ELi16ELi2ELb0EEvPKcS1_S1_S1_S1_PKiPfP15HIP_vector_typeIfLj2EEffffjfiS5_IjLj3EEiiiiiiiiiiiliiliiiiil.num_vgpr, 97
	.set _ZL15flash_attn_tileILi128ELi128ELi16ELi2ELb0EEvPKcS1_S1_S1_S1_PKiPfP15HIP_vector_typeIfLj2EEffffjfiS5_IjLj3EEiiiiiiiiiiiliiliiiiil.num_agpr, 0
	.set _ZL15flash_attn_tileILi128ELi128ELi16ELi2ELb0EEvPKcS1_S1_S1_S1_PKiPfP15HIP_vector_typeIfLj2EEffffjfiS5_IjLj3EEiiiiiiiiiiiliiliiiiil.numbered_sgpr, 76
	.set _ZL15flash_attn_tileILi128ELi128ELi16ELi2ELb0EEvPKcS1_S1_S1_S1_PKiPfP15HIP_vector_typeIfLj2EEffffjfiS5_IjLj3EEiiiiiiiiiiiliiliiiiil.num_named_barrier, 0
	.set _ZL15flash_attn_tileILi128ELi128ELi16ELi2ELb0EEvPKcS1_S1_S1_S1_PKiPfP15HIP_vector_typeIfLj2EEffffjfiS5_IjLj3EEiiiiiiiiiiiliiliiiiil.private_seg_size, 0
	.set _ZL15flash_attn_tileILi128ELi128ELi16ELi2ELb0EEvPKcS1_S1_S1_S1_PKiPfP15HIP_vector_typeIfLj2EEffffjfiS5_IjLj3EEiiiiiiiiiiiliiliiiiil.uses_vcc, 1
	.set _ZL15flash_attn_tileILi128ELi128ELi16ELi2ELb0EEvPKcS1_S1_S1_S1_PKiPfP15HIP_vector_typeIfLj2EEffffjfiS5_IjLj3EEiiiiiiiiiiiliiliiiiil.uses_flat_scratch, 0
	.set _ZL15flash_attn_tileILi128ELi128ELi16ELi2ELb0EEvPKcS1_S1_S1_S1_PKiPfP15HIP_vector_typeIfLj2EEffffjfiS5_IjLj3EEiiiiiiiiiiiliiliiiiil.has_dyn_sized_stack, 0
	.set _ZL15flash_attn_tileILi128ELi128ELi16ELi2ELb0EEvPKcS1_S1_S1_S1_PKiPfP15HIP_vector_typeIfLj2EEffffjfiS5_IjLj3EEiiiiiiiiiiiliiliiiiil.has_recursion, 0
	.set _ZL15flash_attn_tileILi128ELi128ELi16ELi2ELb0EEvPKcS1_S1_S1_S1_PKiPfP15HIP_vector_typeIfLj2EEffffjfiS5_IjLj3EEiiiiiiiiiiiliiliiiiil.has_indirect_call, 0
	.section	.AMDGPU.csdata,"",@progbits
; Kernel info:
; codeLenInByte = 19012
; TotalNumSgprs: 80
; NumVgprs: 97
; ScratchSize: 0
; MemoryBound: 0
; FloatMode: 240
; IeeeMode: 1
; LDSByteSize: 21504 bytes/workgroup (compile time only)
; SGPRBlocks: 12
; VGPRBlocks: 24
; NumSGPRsForWavesPerEU: 102
; NumVGPRsForWavesPerEU: 97
; Occupancy: 2
; WaveLimiterHint : 1
; COMPUTE_PGM_RSRC2:SCRATCH_EN: 0
; COMPUTE_PGM_RSRC2:USER_SGPR: 6
; COMPUTE_PGM_RSRC2:TRAP_HANDLER: 0
; COMPUTE_PGM_RSRC2:TGID_X_EN: 1
; COMPUTE_PGM_RSRC2:TGID_Y_EN: 1
; COMPUTE_PGM_RSRC2:TGID_Z_EN: 1
; COMPUTE_PGM_RSRC2:TIDIG_COMP_CNT: 1
	.section	.text._ZL33flash_attn_stream_k_fixup_uniformILi128ELi16ELi2EEvPfPK15HIP_vector_typeIfLj2EEiiiiiiS1_IjLj3EES5_S5_,"axG",@progbits,_ZL33flash_attn_stream_k_fixup_uniformILi128ELi16ELi2EEvPfPK15HIP_vector_typeIfLj2EEiiiiiiS1_IjLj3EES5_S5_,comdat
	.globl	_ZL33flash_attn_stream_k_fixup_uniformILi128ELi16ELi2EEvPfPK15HIP_vector_typeIfLj2EEiiiiiiS1_IjLj3EES5_S5_ ; -- Begin function _ZL33flash_attn_stream_k_fixup_uniformILi128ELi16ELi2EEvPfPK15HIP_vector_typeIfLj2EEiiiiiiS1_IjLj3EES5_S5_
	.p2align	8
	.type	_ZL33flash_attn_stream_k_fixup_uniformILi128ELi16ELi2EEvPfPK15HIP_vector_typeIfLj2EEiiiiiiS1_IjLj3EES5_S5_,@function
_ZL33flash_attn_stream_k_fixup_uniformILi128ELi16ELi2EEvPfPK15HIP_vector_typeIfLj2EEiiiiiiS1_IjLj3EES5_S5_: ; @_ZL33flash_attn_stream_k_fixup_uniformILi128ELi16ELi2EEvPfPK15HIP_vector_typeIfLj2EEiiiiiiS1_IjLj3EES5_S5_
; %bb.0:
	s_load_dwordx8 s[12:19], s[4:5], 0x1c
	s_load_dwordx2 s[10:11], s[4:5], 0x10
	s_load_dwordx4 s[0:3], s[4:5], 0x3c
	s_waitcnt lgkmcnt(0)
	s_mul_hi_u32 s9, s15, s6
	s_add_i32 s9, s6, s9
	s_lshr_b32 s9, s9, s16
	s_mul_i32 s15, s9, s17
	s_sub_i32 s15, s6, s15
	s_mul_hi_u32 s16, s15, s18
	s_add_i32 s16, s15, s16
	s_lshr_b32 s16, s16, s19
	s_mul_i32 s0, s16, s0
	s_sub_i32 s0, s15, s0
	;; [unrolled: 5-line block ×3, first 2 shown]
	s_lshl_b32 s0, s17, 4
	s_lshl_b32 s15, s1, 1
	s_add_i32 s0, s0, s7
	s_cmp_lt_i32 s0, s10
	s_cselect_b64 s[0:1], -1, 0
	s_add_i32 s2, s15, s8
	s_cmp_lt_i32 s2, s13
	s_cselect_b64 s[2:3], -1, 0
	s_and_b64 s[0:1], s[0:1], s[2:3]
	s_andn2_b64 vcc, exec, s[0:1]
	s_cbranch_vccnz .LBB38_6
; %bb.1:
	s_load_dwordx4 s[0:3], s[4:5], 0x0
	s_mul_i32 s4, s9, s10
	s_add_i32 s4, s4, s7
	s_mul_i32 s4, s4, s11
	s_mul_i32 s16, s16, s13
	s_add_i32 s4, s4, s8
	s_add_i32 s4, s4, s16
	s_mul_i32 s5, s11, s17
	s_add_i32 s4, s4, s15
	s_lshl_b32 s5, s5, 11
	s_lshl_b32 s4, s4, 7
	s_add_i32 s5, s5, s4
	v_or_b32_e32 v1, s5, v0
	v_ashrrev_i32_e32 v2, 31, v1
	v_lshlrev_b64 v[1:2], 2, v[1:2]
	s_waitcnt lgkmcnt(0)
	v_mov_b32_e32 v3, s1
	v_add_co_u32_e32 v1, vcc, s0, v1
	v_addc_co_u32_e32 v2, vcc, v3, v2, vcc
	global_load_dword v8, v[1:2], off
	s_mul_i32 s9, s14, s6
	s_lshl_b32 s4, s7, 1
	s_add_i32 s11, s9, s14
	s_add_i32 s0, s4, s8
	s_lshl_b32 s1, s11, 5
	s_add_i32 s0, s0, s1
	s_sub_i32 s0, s0, 32
	s_ashr_i32 s1, s0, 31
	s_lshl_b64 s[0:1], s[0:1], 3
	s_add_u32 s0, s2, s0
	s_addc_u32 s1, s3, s1
	s_load_dword s5, s[0:1], 0x4
	s_add_i32 s10, s11, -2
	s_cmp_lt_i32 s10, s9
	s_cbranch_scc1 .LBB38_4
; %bb.2:
	s_lshl_b32 s16, s12, 7
	s_ashr_i32 s17, s16, 31
	s_lshl_b64 s[16:17], s[16:17], 2
	s_add_u32 s10, s2, s16
	s_addc_u32 s13, s3, s17
	s_add_i32 s6, s6, 1
	s_load_dword s0, s[0:1], 0x0
	s_mul_i32 s1, s14, s6
	s_lshl_b32 s7, s7, 8
	s_lshl_b32 s14, s8, 7
	;; [unrolled: 1-line block ×3, first 2 shown]
	s_add_i32 s7, s14, s7
	s_lshl_b32 s1, s1, 5
	s_add_i32 s7, s7, s6
	s_add_i32 s1, s8, s1
	s_lshl_b32 s6, s12, 5
	s_add_i32 s1, s1, s6
	v_or_b32_e32 v0, s7, v0
	s_add_i32 s1, s1, s4
	s_add_i32 s11, s11, -1
	v_add_u32_e32 v3, 0xffffe000, v0
	s_sub_i32 s4, s1, 64
	s_waitcnt lgkmcnt(0)
	v_mov_b32_e32 v7, s5
	v_mov_b32_e32 v6, s0
	;; [unrolled: 1-line block ×3, first 2 shown]
	s_mov_b32 s6, 0x3fb8aa3b
	s_mov_b32 s7, 0xc2ce8ed0
	;; [unrolled: 1-line block ×3, first 2 shown]
	v_mov_b32_e32 v5, 0x7f800000
	s_mov_b32 s12, 0xc1a00000
.LBB38_3:                               ; =>This Inner Loop Header: Depth=1
	v_ashrrev_i32_e32 v4, 31, v3
	v_lshlrev_b64 v[9:10], 2, v[3:4]
	s_ashr_i32 s5, s4, 31
	v_add_co_u32_e32 v9, vcc, s10, v9
	v_addc_co_u32_e32 v10, vcc, v0, v10, vcc
	global_load_dword v4, v[9:10], off
	s_lshl_b64 s[0:1], s[4:5], 3
	s_add_u32 s0, s2, s0
	s_addc_u32 s1, s3, s1
	s_load_dwordx2 s[14:15], s[0:1], 0x0
	s_waitcnt vmcnt(1)
	v_mov_b32_e32 v9, v8
	v_max_f32_e32 v8, v6, v6
	v_mov_b32_e32 v10, v7
	s_add_i32 s11, s11, -1
	s_waitcnt lgkmcnt(0)
	v_max_f32_e64 v7, s14, s14
	v_max_f32_e32 v7, v8, v7
	v_sub_f32_e32 v11, s14, v7
	v_sub_f32_e32 v8, v6, v7
	v_mul_f32_e32 v12, 0x3fb8aa3b, v11
	v_mov_b32_e32 v6, v7
	v_mul_f32_e32 v7, 0x3fb8aa3b, v8
	v_fma_f32 v15, v11, s6, -v12
	v_rndne_f32_e32 v16, v12
	v_fma_f32 v13, v8, s6, -v7
	v_rndne_f32_e32 v14, v7
	v_fmac_f32_e32 v15, 0x32a5705f, v11
	v_sub_f32_e32 v12, v12, v16
	v_fmac_f32_e32 v13, 0x32a5705f, v8
	v_sub_f32_e32 v7, v7, v14
	v_add_f32_e32 v12, v12, v15
	v_cvt_i32_f32_e32 v16, v16
	v_add_f32_e32 v7, v7, v13
	v_exp_f32_e32 v12, v12
	v_cvt_i32_f32_e32 v14, v14
	v_exp_f32_e32 v7, v7
	v_cmp_ngt_f32_e32 vcc, s7, v11
	v_ldexp_f32 v12, v12, v16
	v_cmp_ngt_f32_e64 s[0:1], s7, v8
	v_ldexp_f32 v7, v7, v14
	v_cndmask_b32_e32 v12, 0, v12, vcc
	v_cmp_nlt_f32_e32 vcc, s8, v11
	v_cndmask_b32_e64 v7, 0, v7, s[0:1]
	v_cmp_nlt_f32_e64 s[0:1], s8, v8
	v_cndmask_b32_e32 v12, v5, v12, vcc
	v_cmp_le_f32_e32 vcc, s12, v11
	v_cndmask_b32_e64 v7, v5, v7, s[0:1]
	v_cmp_le_f32_e64 s[0:1], s12, v8
	v_cndmask_b32_e32 v8, 0, v12, vcc
	s_sub_i32 s4, s4, 32
	v_cndmask_b32_e64 v11, 0, v7, s[0:1]
	v_mul_f32_e32 v7, s15, v8
	v_add_u32_e32 v3, 0xfffff000, v3
	s_cmp_le_i32 s11, s9
	v_fmac_f32_e32 v7, v10, v11
	s_waitcnt vmcnt(0)
	v_mul_f32_e32 v8, v4, v8
	v_fmac_f32_e32 v8, v9, v11
	s_cbranch_scc0 .LBB38_3
	s_branch .LBB38_5
.LBB38_4:
	s_waitcnt lgkmcnt(0)
	v_mov_b32_e32 v7, s5
.LBB38_5:
	s_waitcnt vmcnt(0)
	v_div_scale_f32 v0, s[0:1], v7, v7, v8
	v_div_scale_f32 v3, vcc, v8, v7, v8
	v_rcp_f32_e32 v4, v0
	v_fma_f32 v5, -v0, v4, 1.0
	v_fmac_f32_e32 v4, v5, v4
	v_mul_f32_e32 v5, v3, v4
	v_fma_f32 v6, -v0, v5, v3
	v_fmac_f32_e32 v5, v6, v4
	v_fma_f32 v0, -v0, v5, v3
	v_div_fmas_f32 v0, v0, v4, v5
	v_div_fixup_f32 v0, v0, v7, v8
	global_store_dword v[1:2], v0, off
.LBB38_6:
	s_endpgm
	.section	.rodata,"a",@progbits
	.p2align	6, 0x0
	.amdhsa_kernel _ZL33flash_attn_stream_k_fixup_uniformILi128ELi16ELi2EEvPfPK15HIP_vector_typeIfLj2EEiiiiiiS1_IjLj3EES5_S5_
		.amdhsa_group_segment_fixed_size 0
		.amdhsa_private_segment_fixed_size 0
		.amdhsa_kernarg_size 76
		.amdhsa_user_sgpr_count 6
		.amdhsa_user_sgpr_private_segment_buffer 1
		.amdhsa_user_sgpr_dispatch_ptr 0
		.amdhsa_user_sgpr_queue_ptr 0
		.amdhsa_user_sgpr_kernarg_segment_ptr 1
		.amdhsa_user_sgpr_dispatch_id 0
		.amdhsa_user_sgpr_flat_scratch_init 0
		.amdhsa_user_sgpr_private_segment_size 0
		.amdhsa_uses_dynamic_stack 0
		.amdhsa_system_sgpr_private_segment_wavefront_offset 0
		.amdhsa_system_sgpr_workgroup_id_x 1
		.amdhsa_system_sgpr_workgroup_id_y 1
		.amdhsa_system_sgpr_workgroup_id_z 1
		.amdhsa_system_sgpr_workgroup_info 0
		.amdhsa_system_vgpr_workitem_id 0
		.amdhsa_next_free_vgpr 17
		.amdhsa_next_free_sgpr 20
		.amdhsa_reserve_vcc 1
		.amdhsa_reserve_flat_scratch 0
		.amdhsa_float_round_mode_32 0
		.amdhsa_float_round_mode_16_64 0
		.amdhsa_float_denorm_mode_32 3
		.amdhsa_float_denorm_mode_16_64 3
		.amdhsa_dx10_clamp 1
		.amdhsa_ieee_mode 1
		.amdhsa_fp16_overflow 0
		.amdhsa_exception_fp_ieee_invalid_op 0
		.amdhsa_exception_fp_denorm_src 0
		.amdhsa_exception_fp_ieee_div_zero 0
		.amdhsa_exception_fp_ieee_overflow 0
		.amdhsa_exception_fp_ieee_underflow 0
		.amdhsa_exception_fp_ieee_inexact 0
		.amdhsa_exception_int_div_zero 0
	.end_amdhsa_kernel
	.section	.text._ZL33flash_attn_stream_k_fixup_uniformILi128ELi16ELi2EEvPfPK15HIP_vector_typeIfLj2EEiiiiiiS1_IjLj3EES5_S5_,"axG",@progbits,_ZL33flash_attn_stream_k_fixup_uniformILi128ELi16ELi2EEvPfPK15HIP_vector_typeIfLj2EEiiiiiiS1_IjLj3EES5_S5_,comdat
.Lfunc_end38:
	.size	_ZL33flash_attn_stream_k_fixup_uniformILi128ELi16ELi2EEvPfPK15HIP_vector_typeIfLj2EEiiiiiiS1_IjLj3EES5_S5_, .Lfunc_end38-_ZL33flash_attn_stream_k_fixup_uniformILi128ELi16ELi2EEvPfPK15HIP_vector_typeIfLj2EEiiiiiiS1_IjLj3EES5_S5_
                                        ; -- End function
	.set _ZL33flash_attn_stream_k_fixup_uniformILi128ELi16ELi2EEvPfPK15HIP_vector_typeIfLj2EEiiiiiiS1_IjLj3EES5_S5_.num_vgpr, 17
	.set _ZL33flash_attn_stream_k_fixup_uniformILi128ELi16ELi2EEvPfPK15HIP_vector_typeIfLj2EEiiiiiiS1_IjLj3EES5_S5_.num_agpr, 0
	.set _ZL33flash_attn_stream_k_fixup_uniformILi128ELi16ELi2EEvPfPK15HIP_vector_typeIfLj2EEiiiiiiS1_IjLj3EES5_S5_.numbered_sgpr, 20
	.set _ZL33flash_attn_stream_k_fixup_uniformILi128ELi16ELi2EEvPfPK15HIP_vector_typeIfLj2EEiiiiiiS1_IjLj3EES5_S5_.num_named_barrier, 0
	.set _ZL33flash_attn_stream_k_fixup_uniformILi128ELi16ELi2EEvPfPK15HIP_vector_typeIfLj2EEiiiiiiS1_IjLj3EES5_S5_.private_seg_size, 0
	.set _ZL33flash_attn_stream_k_fixup_uniformILi128ELi16ELi2EEvPfPK15HIP_vector_typeIfLj2EEiiiiiiS1_IjLj3EES5_S5_.uses_vcc, 1
	.set _ZL33flash_attn_stream_k_fixup_uniformILi128ELi16ELi2EEvPfPK15HIP_vector_typeIfLj2EEiiiiiiS1_IjLj3EES5_S5_.uses_flat_scratch, 0
	.set _ZL33flash_attn_stream_k_fixup_uniformILi128ELi16ELi2EEvPfPK15HIP_vector_typeIfLj2EEiiiiiiS1_IjLj3EES5_S5_.has_dyn_sized_stack, 0
	.set _ZL33flash_attn_stream_k_fixup_uniformILi128ELi16ELi2EEvPfPK15HIP_vector_typeIfLj2EEiiiiiiS1_IjLj3EES5_S5_.has_recursion, 0
	.set _ZL33flash_attn_stream_k_fixup_uniformILi128ELi16ELi2EEvPfPK15HIP_vector_typeIfLj2EEiiiiiiS1_IjLj3EES5_S5_.has_indirect_call, 0
	.section	.AMDGPU.csdata,"",@progbits
; Kernel info:
; codeLenInByte = 856
; TotalNumSgprs: 24
; NumVgprs: 17
; ScratchSize: 0
; MemoryBound: 0
; FloatMode: 240
; IeeeMode: 1
; LDSByteSize: 0 bytes/workgroup (compile time only)
; SGPRBlocks: 2
; VGPRBlocks: 4
; NumSGPRsForWavesPerEU: 24
; NumVGPRsForWavesPerEU: 17
; Occupancy: 10
; WaveLimiterHint : 0
; COMPUTE_PGM_RSRC2:SCRATCH_EN: 0
; COMPUTE_PGM_RSRC2:USER_SGPR: 6
; COMPUTE_PGM_RSRC2:TRAP_HANDLER: 0
; COMPUTE_PGM_RSRC2:TGID_X_EN: 1
; COMPUTE_PGM_RSRC2:TGID_Y_EN: 1
; COMPUTE_PGM_RSRC2:TGID_Z_EN: 1
; COMPUTE_PGM_RSRC2:TIDIG_COMP_CNT: 0
	.section	.text._ZL33flash_attn_stream_k_fixup_generalILi128ELi16ELi2EEvPfPK15HIP_vector_typeIfLj2EEiiiiS1_IjLj3EES5_S5_S5_,"axG",@progbits,_ZL33flash_attn_stream_k_fixup_generalILi128ELi16ELi2EEvPfPK15HIP_vector_typeIfLj2EEiiiiS1_IjLj3EES5_S5_S5_,comdat
	.globl	_ZL33flash_attn_stream_k_fixup_generalILi128ELi16ELi2EEvPfPK15HIP_vector_typeIfLj2EEiiiiS1_IjLj3EES5_S5_S5_ ; -- Begin function _ZL33flash_attn_stream_k_fixup_generalILi128ELi16ELi2EEvPfPK15HIP_vector_typeIfLj2EEiiiiS1_IjLj3EES5_S5_S5_
	.p2align	8
	.type	_ZL33flash_attn_stream_k_fixup_generalILi128ELi16ELi2EEvPfPK15HIP_vector_typeIfLj2EEiiiiS1_IjLj3EES5_S5_S5_,@function
_ZL33flash_attn_stream_k_fixup_generalILi128ELi16ELi2EEvPfPK15HIP_vector_typeIfLj2EEiiiiS1_IjLj3EES5_S5_S5_: ; @_ZL33flash_attn_stream_k_fixup_generalILi128ELi16ELi2EEvPfPK15HIP_vector_typeIfLj2EEiiiiS1_IjLj3EES5_S5_S5_
; %bb.0:
	s_load_dwordx4 s[0:3], s[4:5], 0x10
	s_load_dword s22, s[4:5], 0x50
	s_mov_b32 s12, 0
	s_waitcnt lgkmcnt(0)
	s_mul_hi_i32 s13, s3, s6
	s_cmp_lg_u64 s[12:13], 0
	s_mul_i32 s9, s3, s6
	s_cbranch_scc0 .LBB39_20
; %bb.1:
	s_add_u32 s10, s22, 0
	s_addc_u32 s11, 0, 0
	s_xor_b64 s[10:11], s[10:11], 0
	v_cvt_f32_u32_e32 v1, s10
	v_cvt_f32_u32_e32 v2, s11
	s_sub_u32 s12, 0, s10
	s_subb_u32 s18, 0, s11
	v_madmk_f32 v1, v2, 0x4f800000, v1
	v_rcp_f32_e32 v1, v1
	v_mul_f32_e32 v1, 0x5f7ffffc, v1
	v_mul_f32_e32 v2, 0x2f800000, v1
	v_trunc_f32_e32 v2, v2
	v_madmk_f32 v1, v2, 0xcf800000, v1
	v_cvt_u32_f32_e32 v2, v2
	v_cvt_u32_f32_e32 v1, v1
	v_readfirstlane_b32 s19, v2
	v_readfirstlane_b32 s14, v1
	s_mul_i32 s15, s12, s19
	s_mul_hi_u32 s21, s12, s14
	s_mul_i32 s20, s18, s14
	s_add_i32 s15, s21, s15
	s_add_i32 s15, s15, s20
	s_mul_i32 s23, s12, s14
	s_mul_i32 s21, s14, s15
	s_mul_hi_u32 s24, s14, s23
	s_mul_hi_u32 s20, s14, s15
	s_add_u32 s21, s24, s21
	s_addc_u32 s20, 0, s20
	s_mul_hi_u32 s25, s19, s23
	s_mul_i32 s23, s19, s23
	s_add_u32 s21, s21, s23
	s_mul_hi_u32 s24, s19, s15
	s_addc_u32 s20, s20, s25
	s_addc_u32 s21, s24, 0
	s_mul_i32 s15, s19, s15
	s_add_u32 s15, s20, s15
	s_addc_u32 s20, 0, s21
	s_add_u32 s21, s14, s15
	s_cselect_b64 s[14:15], -1, 0
	s_cmp_lg_u64 s[14:15], 0
	s_addc_u32 s19, s19, s20
	s_mul_i32 s14, s12, s19
	s_mul_hi_u32 s15, s12, s21
	s_add_i32 s14, s15, s14
	s_mul_i32 s18, s18, s21
	s_add_i32 s14, s14, s18
	s_mul_i32 s12, s12, s21
	s_mul_hi_u32 s18, s19, s12
	s_mul_i32 s20, s19, s12
	s_mul_i32 s24, s21, s14
	s_mul_hi_u32 s12, s21, s12
	s_mul_hi_u32 s23, s21, s14
	s_add_u32 s12, s12, s24
	s_addc_u32 s23, 0, s23
	s_add_u32 s12, s12, s20
	s_mul_hi_u32 s15, s19, s14
	s_addc_u32 s12, s23, s18
	s_addc_u32 s15, s15, 0
	s_mul_i32 s14, s19, s14
	s_add_u32 s12, s12, s14
	s_addc_u32 s18, 0, s15
	s_add_u32 s20, s21, s12
	s_cselect_b64 s[14:15], -1, 0
	s_cmp_lg_u64 s[14:15], 0
	s_addc_u32 s18, s19, s18
	s_ashr_i32 s14, s13, 31
	s_add_u32 s12, s9, s14
	s_mov_b32 s15, s14
	s_addc_u32 s13, s13, s14
	s_xor_b64 s[12:13], s[12:13], s[14:15]
	s_mul_i32 s21, s12, s18
	s_mul_hi_u32 s23, s12, s20
	s_mul_hi_u32 s19, s12, s18
	s_add_u32 s21, s23, s21
	s_addc_u32 s19, 0, s19
	s_mul_hi_u32 s24, s13, s20
	s_mul_i32 s20, s13, s20
	s_add_u32 s20, s21, s20
	s_mul_hi_u32 s23, s13, s18
	s_addc_u32 s19, s19, s24
	s_addc_u32 s20, s23, 0
	s_mul_i32 s18, s13, s18
	s_add_u32 s23, s19, s18
	s_addc_u32 s24, 0, s20
	s_mul_i32 s18, s10, s24
	s_mul_hi_u32 s19, s10, s23
	s_add_i32 s18, s19, s18
	s_mul_i32 s19, s11, s23
	s_add_i32 s25, s18, s19
	s_sub_i32 s20, s13, s25
	s_mul_i32 s18, s10, s23
	s_sub_u32 s12, s12, s18
	s_cselect_b64 s[18:19], -1, 0
	s_cmp_lg_u64 s[18:19], 0
	s_subb_u32 s26, s20, s11
	s_sub_u32 s27, s12, s10
	s_cselect_b64 s[20:21], -1, 0
	s_cmp_lg_u64 s[20:21], 0
	s_subb_u32 s20, s26, 0
	s_cmp_ge_u32 s20, s11
	s_cselect_b32 s21, -1, 0
	s_cmp_ge_u32 s27, s10
	s_cselect_b32 s26, -1, 0
	s_cmp_eq_u32 s20, s11
	s_cselect_b32 s20, s26, s21
	s_add_u32 s21, s23, 1
	s_addc_u32 s26, s24, 0
	s_add_u32 s27, s23, 2
	s_addc_u32 s28, s24, 0
	s_cmp_lg_u32 s20, 0
	s_cselect_b32 s20, s27, s21
	s_cselect_b32 s21, s28, s26
	s_cmp_lg_u64 s[18:19], 0
	s_subb_u32 s13, s13, s25
	s_cmp_ge_u32 s13, s11
	s_cselect_b32 s18, -1, 0
	s_cmp_ge_u32 s12, s10
	s_cselect_b32 s10, -1, 0
	s_cmp_eq_u32 s13, s11
	s_cselect_b32 s10, s10, s18
	s_cmp_lg_u32 s10, 0
	s_cselect_b32 s11, s21, s24
	s_cselect_b32 s10, s20, s23
	s_xor_b64 s[12:13], s[14:15], 0
	s_xor_b64 s[10:11], s[10:11], s[12:13]
	s_sub_u32 s10, s10, s12
	s_load_dwordx4 s[12:15], s[4:5], 0x44
	s_cbranch_execnz .LBB39_3
.LBB39_2:
	v_cvt_f32_u32_e32 v1, s22
	s_sub_i32 s10, 0, s22
	v_rcp_iflag_f32_e32 v1, v1
	v_mul_f32_e32 v1, 0x4f7ffffe, v1
	v_cvt_u32_f32_e32 v1, v1
	v_readfirstlane_b32 s11, v1
	s_mul_i32 s10, s10, s11
	s_mul_hi_u32 s10, s11, s10
	s_add_i32 s11, s11, s10
	s_mul_hi_u32 s10, s9, s11
	s_waitcnt lgkmcnt(0)
	s_mul_i32 s15, s10, s22
	s_sub_i32 s9, s9, s15
	s_add_i32 s11, s10, 1
	s_sub_i32 s15, s9, s22
	s_cmp_ge_u32 s9, s22
	s_cselect_b32 s10, s11, s10
	s_cselect_b32 s9, s15, s9
	s_add_i32 s11, s10, 1
	s_cmp_ge_u32 s9, s22
	s_cselect_b32 s10, s11, s10
.LBB39_3:
	s_add_i32 s9, s6, 1
	s_mul_hi_i32 s21, s3, s9
	s_mov_b32 s20, 0
	s_cmp_lg_u64 s[20:21], 0
	s_mul_i32 s9, s3, s9
	s_cbranch_scc0 .LBB39_21
; %bb.4:
	s_add_u32 s16, s22, 0
	s_addc_u32 s17, 0, 0
	s_xor_b64 s[18:19], s[16:17], 0
	v_cvt_f32_u32_e32 v1, s18
	v_cvt_f32_u32_e32 v2, s19
	s_sub_u32 s11, 0, s18
	s_waitcnt lgkmcnt(0)
	s_subb_u32 s15, 0, s19
	v_madmk_f32 v1, v2, 0x4f800000, v1
	v_rcp_f32_e32 v1, v1
	v_mul_f32_e32 v1, 0x5f7ffffc, v1
	v_mul_f32_e32 v2, 0x2f800000, v1
	v_trunc_f32_e32 v2, v2
	v_madmk_f32 v1, v2, 0xcf800000, v1
	v_cvt_u32_f32_e32 v2, v2
	v_cvt_u32_f32_e32 v1, v1
	v_readfirstlane_b32 s20, v2
	v_readfirstlane_b32 s23, v1
	s_mul_i32 s24, s11, s20
	s_mul_hi_u32 s26, s11, s23
	s_mul_i32 s25, s15, s23
	s_add_i32 s24, s26, s24
	s_add_i32 s24, s24, s25
	s_mul_i32 s27, s11, s23
	s_mul_i32 s26, s23, s24
	s_mul_hi_u32 s28, s23, s27
	s_mul_hi_u32 s25, s23, s24
	s_add_u32 s26, s28, s26
	s_addc_u32 s25, 0, s25
	s_mul_hi_u32 s29, s20, s27
	s_mul_i32 s27, s20, s27
	s_add_u32 s26, s26, s27
	s_mul_hi_u32 s28, s20, s24
	s_addc_u32 s25, s25, s29
	s_addc_u32 s26, s28, 0
	s_mul_i32 s24, s20, s24
	s_add_u32 s24, s25, s24
	s_addc_u32 s26, 0, s26
	s_add_u32 s23, s23, s24
	s_cselect_b64 s[24:25], -1, 0
	s_cmp_lg_u64 s[24:25], 0
	s_addc_u32 s20, s20, s26
	s_mul_i32 s24, s11, s20
	s_mul_hi_u32 s25, s11, s23
	s_add_i32 s24, s25, s24
	s_mul_i32 s15, s15, s23
	s_add_i32 s24, s24, s15
	s_mul_i32 s11, s11, s23
	s_mul_hi_u32 s25, s20, s11
	s_mul_i32 s26, s20, s11
	s_mul_i32 s28, s23, s24
	s_mul_hi_u32 s11, s23, s11
	s_mul_hi_u32 s27, s23, s24
	s_add_u32 s11, s11, s28
	s_addc_u32 s27, 0, s27
	s_add_u32 s11, s11, s26
	s_mul_hi_u32 s15, s20, s24
	s_addc_u32 s11, s27, s25
	s_addc_u32 s15, s15, 0
	s_mul_i32 s24, s20, s24
	s_add_u32 s11, s11, s24
	s_addc_u32 s15, 0, s15
	s_add_u32 s11, s23, s11
	s_cselect_b64 s[24:25], -1, 0
	s_cmp_lg_u64 s[24:25], 0
	s_addc_u32 s15, s20, s15
	s_ashr_i32 s24, s21, 31
	s_add_u32 s20, s9, s24
	s_mov_b32 s25, s24
	s_addc_u32 s21, s21, s24
	s_xor_b64 s[20:21], s[20:21], s[24:25]
	s_mul_i32 s26, s20, s15
	s_mul_hi_u32 s27, s20, s11
	s_mul_hi_u32 s23, s20, s15
	s_add_u32 s26, s27, s26
	s_addc_u32 s23, 0, s23
	s_mul_hi_u32 s28, s21, s11
	s_mul_i32 s11, s21, s11
	s_add_u32 s11, s26, s11
	s_mul_hi_u32 s27, s21, s15
	s_addc_u32 s11, s23, s28
	s_addc_u32 s23, s27, 0
	s_mul_i32 s15, s21, s15
	s_add_u32 s11, s11, s15
	s_addc_u32 s15, 0, s23
	s_mul_i32 s23, s18, s15
	s_mul_hi_u32 s26, s18, s11
	s_add_i32 s23, s26, s23
	s_mul_i32 s26, s19, s11
	s_add_i32 s23, s23, s26
	s_sub_i32 s28, s21, s23
	s_mul_i32 s26, s18, s11
	s_sub_u32 s20, s20, s26
	s_cselect_b64 s[26:27], -1, 0
	s_cmp_lg_u64 s[26:27], 0
	s_subb_u32 s30, s28, s19
	s_sub_u32 s31, s20, s18
	s_cselect_b64 s[28:29], -1, 0
	s_cmp_lg_u64 s[28:29], 0
	s_subb_u32 s28, s30, 0
	s_cmp_ge_u32 s28, s19
	s_cselect_b32 s29, -1, 0
	s_cmp_ge_u32 s31, s18
	s_cselect_b32 s30, -1, 0
	s_cmp_eq_u32 s28, s19
	s_cselect_b32 s28, s30, s29
	s_add_u32 s29, s11, 1
	s_addc_u32 s30, s15, 0
	s_add_u32 s31, s11, 2
	s_addc_u32 s33, s15, 0
	s_cmp_lg_u32 s28, 0
	s_cselect_b32 s28, s31, s29
	s_cselect_b32 s29, s33, s30
	s_cmp_lg_u64 s[26:27], 0
	s_subb_u32 s21, s21, s23
	s_cmp_ge_u32 s21, s19
	s_cselect_b32 s23, -1, 0
	s_cmp_ge_u32 s20, s18
	s_cselect_b32 s18, -1, 0
	s_cmp_eq_u32 s21, s19
	s_cselect_b32 s18, s18, s23
	s_cmp_lg_u32 s18, 0
	s_cselect_b32 s19, s29, s15
	s_cselect_b32 s18, s28, s11
	s_xor_b64 s[20:21], s[24:25], 0
	s_xor_b64 s[18:19], s[18:19], s[20:21]
	s_sub_u32 s18, s18, s20
	s_cbranch_execnz .LBB39_6
.LBB39_5:
	v_cvt_f32_u32_e32 v1, s22
	s_sub_i32 s11, 0, s22
	v_rcp_iflag_f32_e32 v1, v1
	v_mul_f32_e32 v1, 0x4f7ffffe, v1
	v_cvt_u32_f32_e32 v1, v1
	s_waitcnt lgkmcnt(0)
	v_readfirstlane_b32 s15, v1
	s_mul_i32 s11, s11, s15
	s_mul_hi_u32 s11, s15, s11
	s_add_i32 s15, s15, s11
	s_mul_hi_u32 s11, s9, s15
	s_mul_i32 s16, s11, s22
	s_sub_i32 s9, s9, s16
	s_add_i32 s15, s11, 1
	s_sub_i32 s16, s9, s22
	s_cmp_ge_u32 s9, s22
	s_cselect_b32 s11, s15, s11
	s_cselect_b32 s9, s16, s9
	s_add_i32 s15, s11, 1
	s_cmp_ge_u32 s9, s22
	s_cselect_b32 s18, s15, s11
.LBB39_6:
	s_cmp_eq_u32 s10, s18
	s_waitcnt lgkmcnt(0)
	s_mul_hi_u32 s9, s10, s12
	s_cselect_b64 s[16:17], -1, 0
	s_add_i32 s9, s9, s10
	s_lshr_b32 s11, s9, s13
	s_mul_i32 s9, s11, s14
	s_cmp_eq_u32 s9, s10
	s_mul_hi_u32 s9, s18, s12
	s_cselect_b64 s[20:21], -1, 0
	s_add_i32 s9, s9, s18
	s_lshr_b32 s9, s9, s13
	s_cmp_eq_u32 s11, s9
	s_mul_i32 s9, s9, s14
	s_cselect_b64 s[24:25], -1, 0
	s_cmp_lg_u32 s9, s18
	s_cselect_b64 s[18:19], -1, 0
	s_and_b64 s[18:19], s[24:25], s[18:19]
	s_or_b64 s[16:17], s[16:17], s[20:21]
	s_or_b64 s[16:17], s[16:17], s[18:19]
	s_and_b64 vcc, exec, s[16:17]
	s_cbranch_vccnz .LBB39_23
; %bb.7:
	s_load_dwordx8 s[24:31], s[4:5], 0x20
	s_load_dword s15, s[4:5], 0x40
	s_waitcnt lgkmcnt(0)
	s_mul_hi_u32 s9, s10, s24
	s_add_i32 s9, s9, s10
	s_lshr_b32 s9, s9, s25
	s_mul_i32 s16, s9, s26
	s_sub_i32 s16, s10, s16
	s_mul_hi_u32 s17, s16, s27
	s_add_i32 s17, s16, s17
	s_lshr_b32 s23, s17, s28
	s_mul_i32 s17, s23, s29
	s_sub_i32 s16, s16, s17
	;; [unrolled: 5-line block ×3, first 2 shown]
	s_mul_hi_u32 s16, s15, s12
	s_add_i32 s15, s15, s16
	s_lshr_b32 s25, s15, s13
	s_lshl_b32 s15, s25, 4
	s_lshl_b32 s24, s17, 1
	s_add_i32 s15, s15, s7
	s_cmp_lt_i32 s15, s0
	s_cselect_b64 s[16:17], -1, 0
	s_add_i32 s15, s24, s8
	s_cmp_lt_i32 s15, s2
	s_cselect_b64 s[18:19], -1, 0
	s_and_b64 s[16:17], s[16:17], s[18:19]
	s_andn2_b64 vcc, exec, s[16:17]
	s_cbranch_vccnz .LBB39_23
; %bb.8:
	s_load_dwordx4 s[16:19], s[4:5], 0x0
	s_mov_b32 s4, 0
	s_lshl_b32 s15, s7, 1
	s_lshl_b32 s20, s22, 7
	s_mov_b32 s21, s4
	s_add_i32 s15, s15, s8
	s_lshl_b64 s[20:21], s[20:21], 2
	s_waitcnt lgkmcnt(0)
	s_add_u32 s20, s18, s20
	s_mul_i32 s0, s9, s0
	s_addc_u32 s21, s19, s21
	s_add_i32 s0, s0, s7
	s_mul_i32 s0, s0, s1
	s_mul_i32 s23, s23, s2
	s_add_i32 s0, s0, s8
	s_add_i32 s0, s0, s23
	s_mul_i32 s2, s1, s25
	s_add_i32 s0, s0, s24
	s_lshl_b32 s2, s2, 11
	s_lshl_b32 s0, s0, 7
	s_add_i32 s2, s2, s0
	v_or_b32_e32 v1, s2, v0
	v_ashrrev_i32_e32 v2, 31, v1
	v_lshlrev_b64 v[1:2], 2, v[1:2]
	v_mov_b32_e32 v3, s17
	v_add_co_u32_e32 v1, vcc, s16, v1
	v_addc_co_u32_e32 v2, vcc, v3, v2, vcc
	global_load_dword v3, v[1:2], off
	v_cvt_f32_u32_e32 v4, s22
	s_lshl_b32 s0, s6, 5
	s_add_i32 s0, s15, s0
	s_ashr_i32 s1, s0, 31
	s_lshl_b64 s[0:1], s[0:1], 3
	v_rcp_iflag_f32_e32 v4, v4
	s_add_u32 s0, s18, s0
	s_addc_u32 s1, s19, s1
	s_load_dwordx2 s[0:1], s[0:1], 0x0
	v_mul_f32_e32 v4, 0x4f7ffffe, v4
	v_cvt_u32_f32_e32 v4, v4
	s_add_i32 s24, s6, -1
	v_lshl_or_b32 v0, s15, 7, v0
	s_waitcnt lgkmcnt(0)
	v_mov_b32_e32 v6, s1
	v_mov_b32_e32 v7, s0
	s_mov_b32 s2, 0x3fb8aa3b
	s_mov_b32 s16, 0xc2ce8ed0
	;; [unrolled: 1-line block ×4, first 2 shown]
	v_mov_b32_e32 v5, 0x7f800000
	s_mul_hi_i32 s5, s24, s3
	s_cmp_lg_u64 s[4:5], 0
	s_mul_i32 s8, s24, s3
	s_cbranch_scc0 .LBB39_19
.LBB39_9:
	s_add_u32 s0, s22, 0
	s_addc_u32 s1, 0, 0
	s_xor_b64 s[0:1], s[0:1], 0
	v_cvt_f32_u32_e32 v8, s0
	v_cvt_f32_u32_e32 v9, s1
	s_sub_u32 s9, 0, s0
	s_subb_u32 s25, 0, s1
	v_mac_f32_e32 v8, 0x4f800000, v9
	v_rcp_f32_e32 v8, v8
	v_mul_f32_e32 v8, 0x5f7ffffc, v8
	v_mul_f32_e32 v9, 0x2f800000, v8
	v_trunc_f32_e32 v9, v9
	v_mac_f32_e32 v8, 0xcf800000, v9
	v_cvt_u32_f32_e32 v9, v9
	v_cvt_u32_f32_e32 v8, v8
	v_readfirstlane_b32 s26, v9
	v_readfirstlane_b32 s6, v8
	s_mul_i32 s7, s9, s26
	s_mul_hi_u32 s28, s9, s6
	s_mul_i32 s27, s25, s6
	s_add_i32 s7, s28, s7
	s_mul_i32 s29, s9, s6
	s_add_i32 s7, s7, s27
	s_mul_i32 s28, s6, s7
	s_mul_hi_u32 s30, s6, s29
	s_mul_hi_u32 s27, s6, s7
	s_add_u32 s28, s30, s28
	s_addc_u32 s27, 0, s27
	s_mul_hi_u32 s31, s26, s29
	s_mul_i32 s29, s26, s29
	s_add_u32 s28, s28, s29
	s_mul_hi_u32 s30, s26, s7
	s_addc_u32 s27, s27, s31
	s_addc_u32 s28, s30, 0
	s_mul_i32 s7, s26, s7
	s_add_u32 s7, s27, s7
	s_addc_u32 s27, 0, s28
	s_add_u32 s28, s6, s7
	s_cselect_b64 s[6:7], -1, 0
	s_cmp_lg_u64 s[6:7], 0
	s_addc_u32 s26, s26, s27
	s_mul_i32 s6, s9, s26
	s_mul_hi_u32 s7, s9, s28
	s_add_i32 s6, s7, s6
	s_mul_i32 s25, s25, s28
	s_add_i32 s6, s6, s25
	s_mul_i32 s9, s9, s28
	s_mul_hi_u32 s25, s26, s9
	s_mul_i32 s27, s26, s9
	s_mul_i32 s30, s28, s6
	s_mul_hi_u32 s9, s28, s9
	s_mul_hi_u32 s29, s28, s6
	s_add_u32 s9, s9, s30
	s_addc_u32 s29, 0, s29
	s_add_u32 s9, s9, s27
	s_mul_hi_u32 s7, s26, s6
	s_addc_u32 s9, s29, s25
	s_addc_u32 s7, s7, 0
	s_mul_i32 s6, s26, s6
	s_add_u32 s6, s9, s6
	s_addc_u32 s9, 0, s7
	s_add_u32 s25, s28, s6
	s_cselect_b64 s[6:7], -1, 0
	s_cmp_lg_u64 s[6:7], 0
	s_addc_u32 s9, s26, s9
	s_ashr_i32 s6, s5, 31
	s_add_u32 s26, s8, s6
	s_mov_b32 s7, s6
	s_addc_u32 s27, s5, s6
	s_xor_b64 s[26:27], s[26:27], s[6:7]
	s_mul_i32 s28, s26, s9
	s_mul_hi_u32 s29, s26, s25
	s_mul_hi_u32 s5, s26, s9
	s_add_u32 s28, s29, s28
	s_addc_u32 s5, 0, s5
	s_mul_hi_u32 s30, s27, s25
	s_mul_i32 s25, s27, s25
	s_add_u32 s25, s28, s25
	s_mul_hi_u32 s29, s27, s9
	s_addc_u32 s5, s5, s30
	s_addc_u32 s25, s29, 0
	s_mul_i32 s9, s27, s9
	s_add_u32 s5, s5, s9
	s_addc_u32 s9, 0, s25
	s_mul_i32 s25, s0, s9
	s_mul_hi_u32 s28, s0, s5
	s_add_i32 s25, s28, s25
	s_mul_i32 s28, s1, s5
	s_add_i32 s25, s25, s28
	s_sub_i32 s30, s27, s25
	s_mul_i32 s28, s0, s5
	s_sub_u32 s26, s26, s28
	s_cselect_b64 s[28:29], -1, 0
	s_cmp_lg_u64 s[28:29], 0
	s_subb_u32 s33, s30, s1
	s_sub_u32 s34, s26, s0
	s_cselect_b64 s[30:31], -1, 0
	s_cmp_lg_u64 s[30:31], 0
	s_subb_u32 s30, s33, 0
	s_cmp_ge_u32 s30, s1
	s_cselect_b32 s31, -1, 0
	s_cmp_ge_u32 s34, s0
	s_cselect_b32 s33, -1, 0
	s_cmp_eq_u32 s30, s1
	s_cselect_b32 s30, s33, s31
	s_add_u32 s31, s5, 1
	s_addc_u32 s33, s9, 0
	s_add_u32 s34, s5, 2
	s_addc_u32 s35, s9, 0
	s_cmp_lg_u32 s30, 0
	s_cselect_b32 s30, s34, s31
	s_cselect_b32 s31, s35, s33
	s_cmp_lg_u64 s[28:29], 0
	s_subb_u32 s25, s27, s25
	s_cmp_ge_u32 s25, s1
	s_cselect_b32 s27, -1, 0
	s_cmp_ge_u32 s26, s0
	s_cselect_b32 s0, -1, 0
	s_cmp_eq_u32 s25, s1
	s_cselect_b32 s0, s0, s27
	s_cmp_lg_u32 s0, 0
	s_cselect_b32 s1, s31, s9
	s_cselect_b32 s0, s30, s5
	s_xor_b64 s[6:7], s[6:7], 0
	s_xor_b64 s[0:1], s[0:1], s[6:7]
	s_sub_u32 s6, s0, s6
	s_cbranch_execnz .LBB39_11
.LBB39_10:
	s_sub_i32 s0, 0, s22
	v_readfirstlane_b32 s1, v4
	s_mul_i32 s0, s0, s1
	s_mul_hi_u32 s0, s1, s0
	s_add_i32 s1, s1, s0
	s_mul_hi_u32 s0, s8, s1
	s_mul_i32 s5, s0, s22
	s_sub_i32 s5, s8, s5
	s_add_i32 s1, s0, 1
	s_sub_i32 s6, s5, s22
	s_cmp_ge_u32 s5, s22
	s_cselect_b32 s0, s1, s0
	s_cselect_b32 s5, s6, s5
	s_add_i32 s1, s0, 1
	s_cmp_ge_u32 s5, s22
	s_cselect_b32 s6, s1, s0
.LBB39_11:
	s_cmp_lg_u32 s10, s6
	s_mov_b64 s[8:9], -1
                                        ; implicit-def: $sgpr0_sgpr1
                                        ; implicit-def: $vgpr10
                                        ; implicit-def: $vgpr8
                                        ; implicit-def: $vgpr9
                                        ; implicit-def: $sgpr5
                                        ; implicit-def: $sgpr7
	s_cbranch_scc1 .LBB39_14
; %bb.12:
	s_andn2_b64 vcc, exec, s[8:9]
	s_cbranch_vccz .LBB39_17
.LBB39_13:
	s_andn2_b64 vcc, exec, s[0:1]
	s_cbranch_vccnz .LBB39_18
	s_branch .LBB39_22
.LBB39_14:
	s_add_i32 s0, s24, s22
	s_lshl_b32 s0, s0, 5
	s_add_i32 s0, s0, s15
	s_mov_b32 s1, s4
	s_lshl_b64 s[0:1], s[0:1], 3
	s_add_u32 s8, s18, s0
	s_mul_hi_u32 s0, s6, s12
	s_addc_u32 s9, s19, s1
	s_add_i32 s0, s0, s6
	s_lshr_b32 s5, s0, s13
	s_mul_i32 s0, s5, s14
	s_cmp_eq_u32 s0, s6
	s_cselect_b64 s[0:1], -1, 0
	s_cmp_lt_u32 s5, s11
	s_cselect_b64 s[26:27], -1, 0
	s_or_b64 s[26:27], s[26:27], s[0:1]
	s_mov_b64 s[0:1], -1
	s_and_b64 vcc, exec, s[26:27]
	s_mov_b32 s5, s24
	s_mov_b32 s7, s10
	s_cbranch_vccnz .LBB39_16
; %bb.15:
	s_add_i32 s5, s24, -1
	s_mov_b64 s[0:1], 0
	s_mov_b32 s7, s6
.LBB39_16:
	v_lshl_add_u32 v8, s24, 12, v0
	v_ashrrev_i32_e32 v9, 31, v8
	v_lshlrev_b64 v[8:9], 2, v[8:9]
	v_mov_b32_e32 v10, s21
	v_add_co_u32_e32 v8, vcc, s20, v8
	v_addc_co_u32_e32 v9, vcc, v10, v9, vcc
	global_load_dword v10, v[8:9], off
	s_load_dwordx2 s[8:9], s[8:9], 0x0
	v_max_f32_e32 v8, v7, v7
	s_waitcnt lgkmcnt(0)
	v_max_f32_e64 v9, s8, s8
	v_max_f32_e32 v8, v8, v9
	v_sub_f32_e32 v9, v7, v8
	v_sub_f32_e32 v11, s8, v8
	v_mul_f32_e32 v12, 0x3fb8aa3b, v9
	v_mul_f32_e32 v13, 0x3fb8aa3b, v11
	v_fma_f32 v14, v9, s2, -v12
	v_rndne_f32_e32 v15, v12
	v_fma_f32 v16, v11, s2, -v13
	v_rndne_f32_e32 v17, v13
	v_fmac_f32_e32 v14, 0x32a5705f, v9
	v_sub_f32_e32 v12, v12, v15
	v_fmac_f32_e32 v16, 0x32a5705f, v11
	v_sub_f32_e32 v13, v13, v17
	v_add_f32_e32 v12, v12, v14
	v_cvt_i32_f32_e32 v15, v15
	v_add_f32_e32 v13, v13, v16
	v_exp_f32_e32 v12, v12
	v_cvt_i32_f32_e32 v17, v17
	v_exp_f32_e32 v13, v13
	v_cmp_ngt_f32_e32 vcc, s16, v9
	v_ldexp_f32 v12, v12, v15
	v_cndmask_b32_e32 v12, 0, v12, vcc
	v_ldexp_f32 v13, v13, v17
	v_cmp_ngt_f32_e32 vcc, s16, v11
	v_cndmask_b32_e32 v13, 0, v13, vcc
	v_cmp_nlt_f32_e32 vcc, s17, v9
	v_cndmask_b32_e32 v12, v5, v12, vcc
	v_cmp_nlt_f32_e32 vcc, s17, v11
	v_cndmask_b32_e32 v13, v5, v13, vcc
	v_cmp_le_f32_e32 vcc, s23, v9
	v_cndmask_b32_e32 v12, 0, v12, vcc
	v_cmp_le_f32_e32 vcc, s23, v11
	v_cndmask_b32_e32 v11, 0, v13, vcc
	v_mul_f32_e32 v9, s9, v11
	v_fmac_f32_e32 v9, v6, v12
	s_waitcnt vmcnt(0)
	v_mul_f32_e32 v10, v10, v11
	v_fmac_f32_e32 v10, v3, v12
	s_cbranch_execnz .LBB39_13
.LBB39_17:
	s_add_i32 s5, s24, -1
	s_mov_b32 s7, s10
	v_mov_b32_e32 v9, v6
	v_mov_b32_e32 v8, v7
	s_waitcnt vmcnt(0)
	v_mov_b32_e32 v10, v3
	s_cbranch_execz .LBB39_22
.LBB39_18:
	s_mov_b32 s10, s7
	s_mov_b32 s24, s5
	v_mov_b32_e32 v6, v9
	v_mov_b32_e32 v7, v8
	s_waitcnt vmcnt(0)
	v_mov_b32_e32 v3, v10
	s_mul_hi_i32 s5, s24, s3
	s_cmp_lg_u64 s[4:5], 0
	s_mul_i32 s8, s24, s3
	s_cbranch_scc1 .LBB39_9
.LBB39_19:
                                        ; implicit-def: $sgpr6_sgpr7
	s_branch .LBB39_10
.LBB39_20:
                                        ; implicit-def: $sgpr10_sgpr11
	s_load_dwordx4 s[12:15], s[4:5], 0x44
	s_branch .LBB39_2
.LBB39_21:
                                        ; implicit-def: $sgpr18_sgpr19
	s_branch .LBB39_5
.LBB39_22:
	v_div_scale_f32 v0, s[0:1], v9, v9, v10
	s_waitcnt vmcnt(0)
	v_div_scale_f32 v3, vcc, v10, v9, v10
	v_rcp_f32_e32 v4, v0
	v_fma_f32 v5, -v0, v4, 1.0
	v_fmac_f32_e32 v4, v5, v4
	v_mul_f32_e32 v5, v3, v4
	v_fma_f32 v6, -v0, v5, v3
	v_fmac_f32_e32 v5, v6, v4
	v_fma_f32 v0, -v0, v5, v3
	v_div_fmas_f32 v0, v0, v4, v5
	v_div_fixup_f32 v0, v0, v9, v10
	global_store_dword v[1:2], v0, off
.LBB39_23:
	s_endpgm
	.section	.rodata,"a",@progbits
	.p2align	6, 0x0
	.amdhsa_kernel _ZL33flash_attn_stream_k_fixup_generalILi128ELi16ELi2EEvPfPK15HIP_vector_typeIfLj2EEiiiiS1_IjLj3EES5_S5_S5_
		.amdhsa_group_segment_fixed_size 0
		.amdhsa_private_segment_fixed_size 0
		.amdhsa_kernarg_size 336
		.amdhsa_user_sgpr_count 6
		.amdhsa_user_sgpr_private_segment_buffer 1
		.amdhsa_user_sgpr_dispatch_ptr 0
		.amdhsa_user_sgpr_queue_ptr 0
		.amdhsa_user_sgpr_kernarg_segment_ptr 1
		.amdhsa_user_sgpr_dispatch_id 0
		.amdhsa_user_sgpr_flat_scratch_init 0
		.amdhsa_user_sgpr_private_segment_size 0
		.amdhsa_uses_dynamic_stack 0
		.amdhsa_system_sgpr_private_segment_wavefront_offset 0
		.amdhsa_system_sgpr_workgroup_id_x 1
		.amdhsa_system_sgpr_workgroup_id_y 1
		.amdhsa_system_sgpr_workgroup_id_z 1
		.amdhsa_system_sgpr_workgroup_info 0
		.amdhsa_system_vgpr_workitem_id 0
		.amdhsa_next_free_vgpr 18
		.amdhsa_next_free_sgpr 36
		.amdhsa_reserve_vcc 1
		.amdhsa_reserve_flat_scratch 0
		.amdhsa_float_round_mode_32 0
		.amdhsa_float_round_mode_16_64 0
		.amdhsa_float_denorm_mode_32 3
		.amdhsa_float_denorm_mode_16_64 3
		.amdhsa_dx10_clamp 1
		.amdhsa_ieee_mode 1
		.amdhsa_fp16_overflow 0
		.amdhsa_exception_fp_ieee_invalid_op 0
		.amdhsa_exception_fp_denorm_src 0
		.amdhsa_exception_fp_ieee_div_zero 0
		.amdhsa_exception_fp_ieee_overflow 0
		.amdhsa_exception_fp_ieee_underflow 0
		.amdhsa_exception_fp_ieee_inexact 0
		.amdhsa_exception_int_div_zero 0
	.end_amdhsa_kernel
	.section	.text._ZL33flash_attn_stream_k_fixup_generalILi128ELi16ELi2EEvPfPK15HIP_vector_typeIfLj2EEiiiiS1_IjLj3EES5_S5_S5_,"axG",@progbits,_ZL33flash_attn_stream_k_fixup_generalILi128ELi16ELi2EEvPfPK15HIP_vector_typeIfLj2EEiiiiS1_IjLj3EES5_S5_S5_,comdat
.Lfunc_end39:
	.size	_ZL33flash_attn_stream_k_fixup_generalILi128ELi16ELi2EEvPfPK15HIP_vector_typeIfLj2EEiiiiS1_IjLj3EES5_S5_S5_, .Lfunc_end39-_ZL33flash_attn_stream_k_fixup_generalILi128ELi16ELi2EEvPfPK15HIP_vector_typeIfLj2EEiiiiS1_IjLj3EES5_S5_S5_
                                        ; -- End function
	.set _ZL33flash_attn_stream_k_fixup_generalILi128ELi16ELi2EEvPfPK15HIP_vector_typeIfLj2EEiiiiS1_IjLj3EES5_S5_S5_.num_vgpr, 18
	.set _ZL33flash_attn_stream_k_fixup_generalILi128ELi16ELi2EEvPfPK15HIP_vector_typeIfLj2EEiiiiS1_IjLj3EES5_S5_S5_.num_agpr, 0
	.set _ZL33flash_attn_stream_k_fixup_generalILi128ELi16ELi2EEvPfPK15HIP_vector_typeIfLj2EEiiiiS1_IjLj3EES5_S5_S5_.numbered_sgpr, 36
	.set _ZL33flash_attn_stream_k_fixup_generalILi128ELi16ELi2EEvPfPK15HIP_vector_typeIfLj2EEiiiiS1_IjLj3EES5_S5_S5_.num_named_barrier, 0
	.set _ZL33flash_attn_stream_k_fixup_generalILi128ELi16ELi2EEvPfPK15HIP_vector_typeIfLj2EEiiiiS1_IjLj3EES5_S5_S5_.private_seg_size, 0
	.set _ZL33flash_attn_stream_k_fixup_generalILi128ELi16ELi2EEvPfPK15HIP_vector_typeIfLj2EEiiiiS1_IjLj3EES5_S5_S5_.uses_vcc, 1
	.set _ZL33flash_attn_stream_k_fixup_generalILi128ELi16ELi2EEvPfPK15HIP_vector_typeIfLj2EEiiiiS1_IjLj3EES5_S5_S5_.uses_flat_scratch, 0
	.set _ZL33flash_attn_stream_k_fixup_generalILi128ELi16ELi2EEvPfPK15HIP_vector_typeIfLj2EEiiiiS1_IjLj3EES5_S5_S5_.has_dyn_sized_stack, 0
	.set _ZL33flash_attn_stream_k_fixup_generalILi128ELi16ELi2EEvPfPK15HIP_vector_typeIfLj2EEiiiiS1_IjLj3EES5_S5_S5_.has_recursion, 0
	.set _ZL33flash_attn_stream_k_fixup_generalILi128ELi16ELi2EEvPfPK15HIP_vector_typeIfLj2EEiiiiS1_IjLj3EES5_S5_S5_.has_indirect_call, 0
	.section	.AMDGPU.csdata,"",@progbits
; Kernel info:
; codeLenInByte = 2940
; TotalNumSgprs: 40
; NumVgprs: 18
; ScratchSize: 0
; MemoryBound: 0
; FloatMode: 240
; IeeeMode: 1
; LDSByteSize: 0 bytes/workgroup (compile time only)
; SGPRBlocks: 4
; VGPRBlocks: 4
; NumSGPRsForWavesPerEU: 40
; NumVGPRsForWavesPerEU: 18
; Occupancy: 10
; WaveLimiterHint : 0
; COMPUTE_PGM_RSRC2:SCRATCH_EN: 0
; COMPUTE_PGM_RSRC2:USER_SGPR: 6
; COMPUTE_PGM_RSRC2:TRAP_HANDLER: 0
; COMPUTE_PGM_RSRC2:TGID_X_EN: 1
; COMPUTE_PGM_RSRC2:TGID_Y_EN: 1
; COMPUTE_PGM_RSRC2:TGID_Z_EN: 1
; COMPUTE_PGM_RSRC2:TIDIG_COMP_CNT: 0
	.section	.text._ZL15flash_attn_tileILi128ELi128ELi8ELi2ELb0EEvPKcS1_S1_S1_S1_PKiPfP15HIP_vector_typeIfLj2EEffffjfiS5_IjLj3EEiiiiiiiiiiiliiliiiiil,"axG",@progbits,_ZL15flash_attn_tileILi128ELi128ELi8ELi2ELb0EEvPKcS1_S1_S1_S1_PKiPfP15HIP_vector_typeIfLj2EEffffjfiS5_IjLj3EEiiiiiiiiiiiliiliiiiil,comdat
	.globl	_ZL15flash_attn_tileILi128ELi128ELi8ELi2ELb0EEvPKcS1_S1_S1_S1_PKiPfP15HIP_vector_typeIfLj2EEffffjfiS5_IjLj3EEiiiiiiiiiiiliiliiiiil ; -- Begin function _ZL15flash_attn_tileILi128ELi128ELi8ELi2ELb0EEvPKcS1_S1_S1_S1_PKiPfP15HIP_vector_typeIfLj2EEffffjfiS5_IjLj3EEiiiiiiiiiiiliiliiiiil
	.p2align	8
	.type	_ZL15flash_attn_tileILi128ELi128ELi8ELi2ELb0EEvPKcS1_S1_S1_S1_PKiPfP15HIP_vector_typeIfLj2EEffffjfiS5_IjLj3EEiiiiiiiiiiiliiliiiiil,@function
_ZL15flash_attn_tileILi128ELi128ELi8ELi2ELb0EEvPKcS1_S1_S1_S1_PKiPfP15HIP_vector_typeIfLj2EEffffjfiS5_IjLj3EEiiiiiiiiiiiliiliiiiil: ; @_ZL15flash_attn_tileILi128ELi128ELi8ELi2ELb0EEvPKcS1_S1_S1_S1_PKiPfP15HIP_vector_typeIfLj2EEffffjfiS5_IjLj3EEiiiiiiiiiiiliiliiiiil
; %bb.0:
	s_load_dwordx4 s[24:27], s[4:5], 0x5c
	s_load_dwordx2 s[30:31], s[4:5], 0x80
	s_mov_b64 s[42:43], s[2:3]
	s_mov_b64 s[40:41], s[0:1]
	s_add_u32 s40, s40, s9
	s_addc_u32 s41, s41, 0
	s_waitcnt lgkmcnt(0)
	s_lshr_b32 s0, s27, 31
	s_add_i32 s0, s27, s0
	s_ashr_i32 s0, s0, 1
	v_mov_b32_e32 v23, v0
	v_cvt_f32_u32_e32 v0, s0
	s_sub_i32 s1, 0, s0
	s_load_dwordx2 s[36:37], s[4:5], 0xb8
	s_mov_b64 s[34:35], 0
	v_rcp_iflag_f32_e32 v0, v0
	v_mul_f32_e32 v0, 0x4f7ffffe, v0
	v_cvt_u32_f32_e32 v0, v0
	v_readfirstlane_b32 s2, v0
	s_mul_i32 s1, s1, s2
	s_mul_hi_u32 s1, s2, s1
	s_add_i32 s2, s2, s1
	s_mul_hi_u32 s1, s8, s2
	s_mul_i32 s2, s1, s0
	s_sub_i32 s2, s8, s2
	s_add_i32 s3, s1, 1
	s_sub_i32 s9, s2, s0
	s_cmp_ge_u32 s2, s0
	s_cselect_b32 s1, s3, s1
	s_cselect_b32 s2, s9, s2
	s_add_i32 s3, s1, 1
	s_cmp_ge_u32 s2, s0
	s_cselect_b32 s33, s3, s1
	s_abs_i32 s0, s31
	v_cvt_f32_u32_e32 v0, s0
	s_lshl_b32 s1, s8, 1
	s_mul_i32 s8, s33, s27
	s_sub_i32 s9, 0, s0
	v_rcp_iflag_f32_e32 v0, v0
	s_sub_i32 s28, s1, s8
	s_abs_i32 s3, s27
	s_xor_b32 s2, s27, s31
	v_mul_f32_e32 v0, 0x4f7ffffe, v0
	v_cvt_u32_f32_e32 v0, v0
	s_ashr_i32 s2, s2, 31
	v_readfirstlane_b32 s1, v0
	s_mul_i32 s9, s9, s1
	s_mul_hi_u32 s8, s1, s9
	s_add_i32 s1, s1, s8
	s_mul_hi_u32 s1, s3, s1
	s_mul_i32 s8, s1, s0
	s_sub_i32 s3, s3, s8
	s_add_i32 s9, s1, 1
	s_sub_i32 s8, s3, s0
	s_cmp_ge_u32 s3, s0
	s_cselect_b32 s1, s9, s1
	s_cselect_b32 s3, s8, s3
	s_add_i32 s8, s1, 1
	s_cmp_ge_u32 s3, s0
	s_cselect_b32 s0, s8, s1
	s_xor_b32 s0, s0, s2
	s_sub_i32 s31, s0, s2
	s_abs_i32 s29, s31
	v_cvt_f32_u32_e32 v0, s29
	s_load_dwordx16 s[8:23], s[4:5], 0x0
	v_rcp_iflag_f32_e32 v0, v0
	s_waitcnt lgkmcnt(0)
	s_cmp_eq_u64 s[14:15], 0
	v_mul_f32_e32 v0, 0x4f7ffffe, v0
	v_cvt_u32_f32_e32 v0, v0
	v_readfirstlane_b32 s38, v0
	s_cbranch_scc1 .LBB40_2
; %bb.1:
	s_abs_i32 s2, s36
	v_cvt_f32_u32_e32 v0, s2
	s_sub_i32 s35, 0, s2
	s_abs_i32 s34, s33
	s_ashr_i32 s3, s33, 31
	v_rcp_iflag_f32_e32 v0, v0
	s_load_dwordx2 s[0:1], s[4:5], 0xc8
	v_mul_f32_e32 v0, 0x4f7ffffe, v0
	v_cvt_u32_f32_e32 v0, v0
	v_readfirstlane_b32 s36, v0
	s_mul_i32 s35, s35, s36
	s_mul_hi_u32 s35, s36, s35
	s_add_i32 s36, s36, s35
	s_mul_hi_u32 s35, s34, s36
	s_mul_i32 s35, s35, s2
	s_sub_i32 s34, s34, s35
	s_sub_i32 s35, s34, s2
	s_cmp_ge_u32 s34, s2
	s_cselect_b32 s34, s35, s34
	s_sub_i32 s35, s34, s2
	s_cmp_ge_u32 s34, s2
	s_cselect_b32 s2, s35, s34
	s_xor_b32 s2, s2, s3
	s_sub_i32 s2, s2, s3
	s_ashr_i32 s3, s2, 31
	s_waitcnt lgkmcnt(0)
	s_mul_hi_u32 s34, s0, s2
	s_mul_i32 s3, s0, s3
	s_mul_i32 s1, s1, s2
	s_add_i32 s3, s34, s3
	s_add_i32 s3, s3, s1
	s_mul_i32 s0, s0, s2
	s_add_u32 s34, s14, s0
	s_addc_u32 s35, s15, s3
.LBB40_2:
	s_load_dwordx4 s[0:3], s[4:5], 0x70
	v_lshl_add_u32 v24, s6, 3, v1
	v_mul_hi_u32 v0, s24, v24
	v_lshlrev_b32_e32 v94, 3, v23
	s_waitcnt lgkmcnt(0)
	s_mul_i32 s2, s33, s2
	v_add_u32_e32 v0, v24, v0
	s_ashr_i32 s14, s2, 31
	v_lshrrev_b32_e32 v0, s25, v0
	s_mul_i32 s3, s28, s1
	s_add_u32 s2, s8, s2
	v_mul_lo_u32 v0, v0, s26
	s_addc_u32 s8, s9, s14
	s_ashr_i32 s9, s3, 31
	s_add_u32 s14, s2, s3
	s_addc_u32 s15, s8, s9
	s_ashr_i32 s3, s0, 31
	s_mov_b32 s2, s0
	v_sub_u32_e32 v2, v24, v0
	s_lshr_b64 s[8:9], s[2:3], 2
	v_mad_u64_u32 v[3:4], s[8:9], s8, v2, 0
	s_lshr_b32 s0, s3, 2
	v_mov_b32_e32 v0, v4
	v_mad_u64_u32 v[4:5], s[2:3], s0, v2, v[0:1]
	v_mov_b32_e32 v0, s15
	s_ashr_i32 s0, s1, 31
	v_lshlrev_b64 v[3:4], 2, v[3:4]
	s_and_b32 s1, s1, -4
	v_add_co_u32_e32 v3, vcc, s14, v3
	v_addc_co_u32_e32 v0, vcc, v0, v4, vcc
	v_lshlrev_b32_e32 v4, 4, v23
	v_add_co_u32_e32 v7, vcc, v3, v4
	v_addc_co_u32_e32 v8, vcc, 0, v0, vcc
	global_load_dwordx4 v[3:6], v[7:8], off
	v_mov_b32_e32 v0, s0
	v_add_co_u32_e32 v7, vcc, s1, v7
	v_addc_co_u32_e32 v8, vcc, v8, v0, vcc
	global_load_dwordx4 v[7:10], v[7:8], off
	s_load_dword s0, s[4:5], 0x40
	v_mov_b32_e32 v0, 0x4400
	v_lshl_add_u32 v95, v1, 9, v0
	v_add_u32_e32 v0, v95, v94
	s_cmp_eq_u64 s[18:19], 0
	s_waitcnt vmcnt(1) lgkmcnt(0)
	v_fma_mixlo_f16 v3, s0, v3, 0
	v_fma_mixlo_f16 v4, s0, v4, 0
	;; [unrolled: 1-line block ×4, first 2 shown]
	v_lshlrev_b32_e32 v4, 16, v4
	v_and_b32_e32 v3, 0xffff, v3
	v_lshlrev_b32_e32 v6, 16, v6
	v_and_b32_e32 v5, 0xffff, v5
	s_waitcnt vmcnt(0)
	v_fma_mixlo_f16 v7, s0, v7, 0
	v_fma_mixlo_f16 v8, s0, v8, 0
	;; [unrolled: 1-line block ×4, first 2 shown]
	v_or_b32_e32 v3, v4, v3
	v_or3_b32 v4, v6, v5, 0
	v_lshlrev_b32_e32 v5, 16, v8
	v_and_b32_e32 v6, 0xffff, v7
	v_lshlrev_b32_e32 v7, 16, v10
	v_and_b32_e32 v8, 0xffff, v9
	v_or_b32_e32 v5, v5, v6
	v_or3_b32 v3, 0, 0, v3
	v_or3_b32 v6, v7, v8, 0
	;; [unrolled: 1-line block ×3, first 2 shown]
	ds_write2_b64 v0, v[3:4], v[5:6] offset1:32
	s_waitcnt lgkmcnt(0)
	s_barrier
	s_cbranch_scc1 .LBB40_4
; %bb.3:
	s_load_dword s0, s[4:5], 0xd0
	s_mov_b32 s1, 0
	s_waitcnt lgkmcnt(0)
	s_mul_i32 s0, s0, s33
	s_add_i32 s0, s0, s6
	s_lshl_b64 s[0:1], s[0:1], 2
	s_add_u32 s0, s18, s0
	s_addc_u32 s1, s19, s1
	s_load_dword s30, s[0:1], 0x0
.LBB40_4:
	s_lshl_b32 s6, s7, 6
	s_waitcnt lgkmcnt(0)
	s_cmp_lt_i32 s6, s30
	v_mbcnt_lo_u32_b32 v3, -1, 0
	s_cbranch_scc1 .LBB40_7
; %bb.5:
	v_mbcnt_hi_u32_b32 v96, -1, v3
	v_and_b32_e32 v0, 0x60, v96
	v_add_u32_e32 v97, 32, v0
	v_xor_b32_e32 v102, 16, v96
	v_xor_b32_e32 v101, 8, v96
	;; [unrolled: 1-line block ×5, first 2 shown]
	v_lshlrev_b32_e32 v25, 2, v23
	s_cbranch_execz .LBB40_8
; %bb.6:
	v_mov_b32_e32 v14, 0
	v_mov_b32_e32 v124, 0
	;; [unrolled: 1-line block ×8, first 2 shown]
	s_branch .LBB40_11
.LBB40_7:
                                        ; implicit-def: $vgpr96
                                        ; implicit-def: $vgpr97
                                        ; implicit-def: $vgpr102
                                        ; implicit-def: $vgpr101
                                        ; implicit-def: $vgpr100
                                        ; implicit-def: $vgpr99
                                        ; implicit-def: $vgpr98
	v_lshlrev_b32_e32 v25, 2, v23
.LBB40_8:
	s_sub_i32 s0, 0, s29
	s_mul_i32 s0, s0, s38
	buffer_store_dword v24, off, s[40:43], 0 offset:8 ; 4-byte Folded Spill
	s_mul_hi_u32 s0, s38, s0
	s_add_i32 s38, s38, s0
	s_load_dwordx2 s[8:9], s[4:5], 0x8c
	s_load_dwordx4 s[0:3], s[4:5], 0x98
	s_abs_i32 s24, s28
	s_mul_hi_u32 s25, s24, s38
	s_ashr_i32 s36, s28, 31
	s_waitcnt lgkmcnt(0)
	s_ashr_i32 s19, s8, 2
	s_ashr_i32 s8, s33, 31
	;; [unrolled: 1-line block ×4, first 2 shown]
	s_mul_hi_u32 s37, s0, s33
	s_mul_i32 s38, s0, s8
	s_add_i32 s37, s37, s38
	s_mul_i32 s1, s1, s33
	s_ashr_i32 s31, s31, 31
	s_add_i32 s37, s37, s1
	s_mul_i32 s0, s0, s33
	s_add_u32 s0, s10, s0
	s_addc_u32 s1, s11, s37
	s_mul_i32 s11, s25, s29
	s_sub_i32 s11, s24, s11
	s_xor_b32 s10, s36, s31
	s_add_i32 s24, s25, 1
	s_sub_i32 s31, s11, s29
	s_cmp_ge_u32 s11, s29
	s_cselect_b32 s24, s24, s25
	s_cselect_b32 s11, s31, s11
	s_add_i32 s25, s24, 1
	s_cmp_ge_u32 s11, s29
	s_cselect_b32 s11, s25, s24
	s_load_dwordx2 s[14:15], s[4:5], 0xa8
	s_xor_b32 s11, s11, s10
	s_sub_i32 s10, s11, s10
	s_mul_i32 s9, s10, s9
	s_ashr_i32 s11, s9, 31
	s_add_u32 s24, s0, s9
	s_addc_u32 s25, s1, s11
	s_waitcnt lgkmcnt(0)
	s_mul_hi_u32 s0, s14, s33
	s_mul_i32 s1, s14, s8
	s_add_i32 s0, s0, s1
	s_mul_i32 s1, s15, s33
	s_add_i32 s0, s0, s1
	s_mul_i32 s1, s14, s33
	s_add_u32 s1, s12, s1
	s_mul_i32 s10, s10, s3
	s_addc_u32 s0, s13, s0
	s_ashr_i32 s3, s10, 31
	s_add_u32 s29, s1, s10
	v_lshrrev_b32_e32 v0, 4, v23
	v_and_b32_e32 v20, 60, v25
	s_addc_u32 s31, s0, s3
	v_lshl_add_u32 v10, v1, 1, v0
	v_lshlrev_b32_e32 v15, 2, v20
	s_movk_i32 s0, 0x110
	v_mov_b32_e32 v14, v23
	v_mad_u32_u24 v126, v10, s0, v15
	buffer_store_dword v14, off, s[40:43], 0 ; 4-byte Folded Spill
	s_nop 0
	buffer_store_dword v15, off, s[40:43], 0 offset:4 ; 4-byte Folded Spill
	v_mul_lo_u32 v4, s19, v10
	s_lshl_b32 s0, s19, 4
	v_mul_lo_u32 v14, s18, v10
	v_mbcnt_hi_u32_b32 v96, -1, v3
	v_add_u32_e32 v6, s0, v4
	v_add_u32_e32 v8, s0, v6
	;; [unrolled: 1-line block ×3, first 2 shown]
	v_mad_u64_u32 v[73:74], s[0:1], v2, s2, v[23:24]
	v_mov_b32_e32 v2, 0x5400
	s_lshl_b32 s0, s18, 4
	v_lshl_add_u32 v108, v1, 8, v2
	v_add_u32_e32 v1, s0, v14
	v_add_u32_e32 v16, s0, v1
	v_add_u32_e32 v18, s0, v16
	v_ashrrev_i32_e32 v5, 31, v4
	v_ashrrev_i32_e32 v7, 31, v6
	;; [unrolled: 1-line block ×7, first 2 shown]
	s_add_u32 s14, s4, 0xd0
	v_lshlrev_b64 v[74:75], 2, v[4:5]
	v_lshlrev_b64 v[76:77], 2, v[6:7]
	;; [unrolled: 1-line block ×4, first 2 shown]
	v_and_b32_e32 v3, 0x60, v96
	v_lshlrev_b64 v[84:85], 2, v[1:2]
	v_lshlrev_b64 v[86:87], 2, v[16:17]
	;; [unrolled: 1-line block ×3, first 2 shown]
	v_mov_b32_e32 v11, 0
	v_add_u32_e32 v0, 0x1100, v126
	v_mul_u32_u24_e32 v107, 0x110, v23
	s_addc_u32 s15, s5, 0
	v_mov_b32_e32 v90, 0xfeffffff
	v_lshlrev_b32_e32 v113, 2, v20
	v_add_u32_e32 v97, 32, v3
	v_xor_b32_e32 v102, 16, v96
	v_xor_b32_e32 v101, 8, v96
	;; [unrolled: 1-line block ×5, first 2 shown]
	v_mov_b32_e32 v114, s35
	s_mov_b32 s35, 0x3fb8aa3b
	s_mov_b32 s36, 0xc2ce8ed0
	;; [unrolled: 1-line block ×3, first 2 shown]
	v_mov_b32_e32 v115, 0x7f800000
	s_mov_b32 s38, 0x10001
	v_add_u32_e32 v116, v108, v25
	v_add_u32_e32 v117, 0x800, v94
	;; [unrolled: 1-line block ×8, first 2 shown]
	v_mov_b32_e32 v13, 0
	v_mov_b32_e32 v12, 0
	;; [unrolled: 1-line block ×5, first 2 shown]
	buffer_store_dword v25, off, s[40:43], 0 offset:12 ; 4-byte Folded Spill
	v_lshl_or_b32 v127, v10, 8, v15
	v_ashrrev_i32_e32 v15, 31, v14
	v_lshlrev_b64 v[82:83], 2, v[14:15]
	v_add_u32_e32 v93, 0x1000, v127
	v_add_u32_e32 v92, 0x2000, v127
	v_mov_b32_e32 v14, 0
.LBB40_9:                               ; =>This Inner Loop Header: Depth=1
	v_cmp_lt_i32_e32 vcc, v102, v97
	v_cndmask_b32_e32 v2, v96, v102, vcc
	v_cmp_lt_i32_e32 vcc, v101, v97
	s_mul_hi_i32 s1, s6, s19
	s_mul_i32 s0, s6, s19
	v_add_u32_e32 v1, s6, v73
	v_cndmask_b32_e32 v3, v96, v101, vcc
	v_cmp_lt_i32_e32 vcc, v100, v97
	v_cndmask_b32_e32 v4, v96, v100, vcc
	v_cmp_lt_i32_e32 vcc, v99, v97
	s_lshl_b64 s[0:1], s[0:1], 2
	v_lshlrev_b32_e32 v27, 2, v2
	v_ashrrev_i32_e32 v2, 31, v1
	v_cndmask_b32_e32 v5, v96, v99, vcc
	v_cmp_lt_i32_e32 vcc, v98, v97
	s_add_u32 s12, s24, s0
	v_lshlrev_b64 v[1:2], 1, v[1:2]
	v_cndmask_b32_e32 v6, v96, v98, vcc
	s_addc_u32 s8, s25, s1
	v_lshlrev_b32_e32 v26, 2, v3
	v_lshlrev_b32_e32 v25, 2, v4
	;; [unrolled: 1-line block ×3, first 2 shown]
	v_mov_b32_e32 v3, s8
	v_mov_b32_e32 v4, s8
	;; [unrolled: 1-line block ×4, first 2 shown]
	v_add_co_u32_e64 v1, s[8:9], s34, v1
	s_mul_hi_i32 s3, s6, s18
	s_mul_i32 s2, s6, s18
	v_addc_co_u32_e64 v2, s[8:9], v114, v2, s[8:9]
	v_lshlrev_b32_e32 v24, 2, v5
	s_lshl_b64 s[10:11], s[2:3], 2
	v_add_co_u32_e32 v5, vcc, s12, v76
	v_add_co_u32_e64 v7, s[0:1], s12, v78
	v_add_co_u32_e64 v9, s[2:3], s12, v80
	v_add_co_u32_e64 v10, s[8:9], s12, v74
	v_addc_co_u32_e64 v28, s[8:9], v3, v75, s[8:9]
	v_addc_co_u32_e32 v4, vcc, v4, v77, vcc
	v_addc_co_u32_e64 v6, s[0:1], v6, v79, s[0:1]
	v_addc_co_u32_e64 v8, s[2:3], v8, v81, s[2:3]
	v_add_co_u32_e32 v3, vcc, v5, v113
	v_add_co_u32_e64 v5, s[0:1], v7, v113
	v_add_co_u32_e64 v7, s[2:3], v9, v113
	;; [unrolled: 1-line block ×3, first 2 shown]
	v_addc_co_u32_e64 v10, s[8:9], 0, v28, s[8:9]
	v_addc_co_u32_e32 v4, vcc, 0, v4, vcc
	v_addc_co_u32_e64 v6, vcc, 0, v6, s[0:1]
	v_addc_co_u32_e64 v8, vcc, 0, v8, s[2:3]
	global_load_dwordx4 v[28:31], v[9:10], off
	global_load_dwordx4 v[32:35], v[3:4], off
	;; [unrolled: 1-line block ×4, first 2 shown]
	v_mov_b32_e32 v18, 0
	v_mov_b32_e32 v19, 0
	;; [unrolled: 1-line block ×4, first 2 shown]
	s_add_u32 s10, s29, s10
	s_addc_u32 s11, s31, s11
	v_mov_b32_e32 v44, s11
	v_add_co_u32_e32 v45, vcc, s10, v82
	v_mov_b32_e32 v46, s11
	v_add_co_u32_e64 v47, s[0:1], s10, v84
	v_mov_b32_e32 v48, s11
	v_add_co_u32_e64 v49, s[2:3], s10, v86
	;; [unrolled: 2-line block ×3, first 2 shown]
	v_addc_co_u32_e32 v4, vcc, v44, v83, vcc
	v_addc_co_u32_e64 v6, vcc, v46, v85, s[0:1]
	v_addc_co_u32_e64 v8, s[0:1], v48, v87, s[2:3]
	s_waitcnt vmcnt(3)
	ds_write_b128 v126, v[28:31]
	s_waitcnt vmcnt(2)
	ds_write_b128 v0, v[32:35]
	v_add_u32_e32 v28, 0x2200, v126
	s_waitcnt vmcnt(1)
	ds_write_b128 v28, v[36:39]
	v_add_u32_e32 v28, 0x3300, v126
	s_waitcnt vmcnt(0)
	ds_write_b128 v28, v[40:43]
	s_waitcnt lgkmcnt(0)
	s_barrier
	ds_read_b128 v[28:31], v95
	ds_read_b128 v[32:35], v107
	ds_read_b128 v[36:39], v107 offset:8704
	ds_read_b128 v[40:43], v95 offset:256
	s_waitcnt lgkmcnt(2)
	;;#ASMSTART
	v_dot2_f32_f16 v18, v32, v28, v18
	;;#ASMEND
	;;#ASMSTART
	v_dot2_f32_f16 v18, v33, v29, v18
	;;#ASMEND
	;;#ASMSTART
	v_dot2_f32_f16 v18, v34, v30, v18
	;;#ASMEND
	;;#ASMSTART
	v_dot2_f32_f16 v18, v35, v31, v18
	;;#ASMEND
	s_waitcnt lgkmcnt(0)
	;;#ASMSTART
	v_dot2_f32_f16 v19, v32, v40, v19
	;;#ASMEND
	;;#ASMSTART
	v_dot2_f32_f16 v19, v33, v41, v19
	;;#ASMEND
	;;#ASMSTART
	v_dot2_f32_f16 v19, v34, v42, v19
	;;#ASMEND
	;;#ASMSTART
	v_dot2_f32_f16 v19, v35, v43, v19
	;;#ASMEND
	;;#ASMSTART
	v_dot2_f32_f16 v20, v36, v28, v20
	;;#ASMEND
	;;#ASMSTART
	v_dot2_f32_f16 v20, v37, v29, v20
	;;#ASMEND
	;;#ASMSTART
	v_dot2_f32_f16 v20, v38, v30, v20
	;;#ASMEND
	;;#ASMSTART
	v_dot2_f32_f16 v20, v39, v31, v20
	;;#ASMEND
	;;#ASMSTART
	v_dot2_f32_f16 v21, v36, v40, v21
	;;#ASMEND
	;;#ASMSTART
	v_dot2_f32_f16 v21, v37, v41, v21
	;;#ASMEND
	;;#ASMSTART
	v_dot2_f32_f16 v21, v38, v42, v21
	;;#ASMEND
	;;#ASMSTART
	v_dot2_f32_f16 v21, v39, v43, v21
	;;#ASMEND
	ds_read_b128 v[28:31], v95 offset:16
	ds_read_b128 v[32:35], v107 offset:16
	ds_read_b128 v[36:39], v107 offset:8720
	ds_read_b128 v[40:43], v95 offset:272
	s_waitcnt lgkmcnt(2)
	;;#ASMSTART
	v_dot2_f32_f16 v18, v32, v28, v18
	;;#ASMEND
	;;#ASMSTART
	v_dot2_f32_f16 v18, v33, v29, v18
	;;#ASMEND
	;;#ASMSTART
	v_dot2_f32_f16 v18, v34, v30, v18
	;;#ASMEND
	;;#ASMSTART
	v_dot2_f32_f16 v18, v35, v31, v18
	;;#ASMEND
	s_waitcnt lgkmcnt(0)
	;;#ASMSTART
	v_dot2_f32_f16 v19, v32, v40, v19
	;;#ASMEND
	;;#ASMSTART
	v_dot2_f32_f16 v19, v33, v41, v19
	;;#ASMEND
	;;#ASMSTART
	v_dot2_f32_f16 v19, v34, v42, v19
	;;#ASMEND
	;;#ASMSTART
	v_dot2_f32_f16 v19, v35, v43, v19
	;;#ASMEND
	;;#ASMSTART
	v_dot2_f32_f16 v20, v36, v28, v20
	;;#ASMEND
	;;#ASMSTART
	v_dot2_f32_f16 v20, v37, v29, v20
	;;#ASMEND
	;;#ASMSTART
	v_dot2_f32_f16 v20, v38, v30, v20
	;;#ASMEND
	;;#ASMSTART
	v_dot2_f32_f16 v20, v39, v31, v20
	;;#ASMEND
	;;#ASMSTART
	v_dot2_f32_f16 v21, v36, v40, v21
	;;#ASMEND
	;;#ASMSTART
	v_dot2_f32_f16 v21, v37, v41, v21
	;;#ASMEND
	;;#ASMSTART
	v_dot2_f32_f16 v21, v38, v42, v21
	;;#ASMEND
	;;#ASMSTART
	v_dot2_f32_f16 v21, v39, v43, v21
	;;#ASMEND
	ds_read_b128 v[28:31], v95 offset:32
	ds_read_b128 v[32:35], v107 offset:32
	;; [unrolled: 54-line block ×15, first 2 shown]
	ds_read_b128 v[36:39], v107 offset:8944
	ds_read_b128 v[40:43], v95 offset:496
	s_waitcnt lgkmcnt(2)
	;;#ASMSTART
	v_dot2_f32_f16 v18, v32, v28, v18
	;;#ASMEND
	;;#ASMSTART
	v_dot2_f32_f16 v18, v33, v29, v18
	;;#ASMEND
	;; [unrolled: 3-line block ×4, first 2 shown]
	s_waitcnt lgkmcnt(0)
	;;#ASMSTART
	v_dot2_f32_f16 v19, v32, v40, v19
	;;#ASMEND
	;;#ASMSTART
	v_dot2_f32_f16 v19, v33, v41, v19
	;;#ASMEND
	;; [unrolled: 3-line block ×12, first 2 shown]
	global_load_ushort v36, v[1:2], off
	global_load_ushort v37, v[1:2], off offset:64
	v_addc_co_u32_e64 v44, s[2:3], v50, v89, s[8:9]
	v_add_co_u32_e32 v3, vcc, v47, v113
	v_add_co_u32_e64 v5, s[0:1], v49, v113
	v_add_co_u32_e64 v7, s[2:3], v51, v113
	;; [unrolled: 1-line block ×3, first 2 shown]
	v_addc_co_u32_e64 v10, s[8:9], 0, v4, s[8:9]
	v_addc_co_u32_e32 v4, vcc, 0, v6, vcc
	v_addc_co_u32_e64 v6, vcc, 0, v8, s[0:1]
	v_addc_co_u32_e64 v8, vcc, 0, v44, s[2:3]
	s_waitcnt vmcnt(0)
	s_barrier
	global_load_dwordx4 v[28:31], v[9:10], off
	s_nop 0
	global_load_dwordx4 v[1:4], v[3:4], off
	s_nop 0
	;; [unrolled: 2-line block ×3, first 2 shown]
	global_load_dwordx4 v[5:8], v[7:8], off
	v_mov_b32_e32 v16, v91
	v_mov_b32_e32 v17, v90
	;; [unrolled: 1-line block ×4, first 2 shown]
	v_cvt_f32_f16_e32 v9, v36
	v_cvt_f32_f16_e32 v10, v37
	v_add_f32_e32 v18, v18, v9
	v_add_f32_e32 v20, v20, v10
	v_add_f32_e32 v9, v19, v9
	v_add_f32_e32 v10, v21, v10
	v_add_f32_e32 v19, 0x40051340, v18
	v_add_f32_e32 v21, 0x40051340, v20
	v_add_f32_e32 v36, 0x40051340, v9
	v_add_f32_e32 v37, 0x40051340, v10
	v_max3_f32 v19, v17, v19, v21
	v_max3_f32 v21, v16, v36, v37
	ds_bpermute_b32 v36, v27, v19
	ds_bpermute_b32 v27, v27, v21
	s_waitcnt lgkmcnt(1)
	v_max_f32_e32 v36, v36, v36
	s_waitcnt lgkmcnt(0)
	v_max_f32_e32 v27, v27, v27
	v_max_f32_e32 v19, v19, v36
	v_max_f32_e32 v21, v21, v27
	ds_bpermute_b32 v27, v26, v19
	ds_bpermute_b32 v26, v26, v21
	s_waitcnt lgkmcnt(1)
	v_max_f32_e32 v27, v27, v27
	s_waitcnt lgkmcnt(0)
	v_max_f32_e32 v26, v26, v26
	v_max_f32_e32 v19, v19, v27
	v_max_f32_e32 v21, v21, v26
	;; [unrolled: 8-line block ×5, first 2 shown]
	v_sub_f32_e32 v17, v17, v90
	v_sub_f32_e32 v18, v18, v90
	;; [unrolled: 1-line block ×6, first 2 shown]
	v_mul_f32_e32 v20, 0x3fb8aa3b, v18
	v_mul_f32_e32 v21, 0x3fb8aa3b, v19
	;; [unrolled: 1-line block ×6, first 2 shown]
	v_fma_f32 v27, v18, s35, -v20
	v_rndne_f32_e32 v36, v20
	v_fma_f32 v37, v19, s35, -v21
	v_rndne_f32_e32 v38, v21
	;; [unrolled: 2-line block ×6, first 2 shown]
	v_fmac_f32_e32 v27, 0x32a5705f, v18
	v_sub_f32_e32 v20, v20, v36
	v_fmac_f32_e32 v37, 0x32a5705f, v19
	v_sub_f32_e32 v21, v21, v38
	;; [unrolled: 2-line block ×6, first 2 shown]
	v_add_f32_e32 v20, v20, v27
	v_add_f32_e32 v21, v21, v37
	;; [unrolled: 1-line block ×5, first 2 shown]
	v_cvt_i32_f32_e32 v36, v36
	v_cvt_i32_f32_e32 v38, v38
	;; [unrolled: 1-line block ×5, first 2 shown]
	v_add_f32_e32 v26, v26, v45
	v_exp_f32_e32 v20, v20
	v_exp_f32_e32 v21, v21
	;; [unrolled: 1-line block ×5, first 2 shown]
	v_cvt_i32_f32_e32 v46, v46
	v_exp_f32_e32 v26, v26
	v_ldexp_f32 v20, v20, v36
	v_ldexp_f32 v21, v21, v38
	v_cmp_ngt_f32_e32 vcc, s36, v19
	v_ldexp_f32 v23, v23, v40
	v_cmp_ngt_f32_e64 s[0:1], s36, v17
	v_ldexp_f32 v24, v24, v42
	v_cmp_ngt_f32_e64 s[2:3], s36, v9
	;; [unrolled: 2-line block ×3, first 2 shown]
	v_cmp_ngt_f32_e64 s[12:13], s36, v18
	v_ldexp_f32 v26, v26, v46
	v_cmp_ngt_f32_e64 s[10:11], s36, v16
	v_cndmask_b32_e64 v20, 0, v20, s[12:13]
	v_cndmask_b32_e32 v21, 0, v21, vcc
	v_cmp_nlt_f32_e32 vcc, s37, v19
	v_cndmask_b32_e64 v19, 0, v23, s[0:1]
	v_cmp_nlt_f32_e64 s[0:1], s37, v17
	v_cndmask_b32_e64 v17, 0, v24, s[2:3]
	v_cmp_nlt_f32_e64 s[2:3], s37, v9
	;; [unrolled: 2-line block ×3, first 2 shown]
	v_cmp_nlt_f32_e64 s[12:13], s37, v18
	v_cndmask_b32_e64 v10, 0, v26, s[10:11]
	v_cmp_nlt_f32_e64 s[10:11], s37, v16
	v_cndmask_b32_e64 v16, v115, v20, s[12:13]
	v_cndmask_b32_e32 v18, v115, v21, vcc
	v_cndmask_b32_e64 v17, v115, v17, s[2:3]
	v_cndmask_b32_e64 v9, v115, v9, s[8:9]
	;; [unrolled: 1-line block ×4, first 2 shown]
	v_cvt_f16_f32_e32 v20, v16
	v_add_f32_e32 v125, v16, v18
	v_cvt_f16_f32_e32 v16, v18
	v_cvt_f16_f32_e32 v21, v17
	v_add_f32_e32 v124, v17, v9
	v_cvt_f16_f32_e32 v9, v9
	v_cvt_f16_f32_e32 v18, v19
	;; [unrolled: 1-line block ×3, first 2 shown]
	v_fmac_f32_e32 v124, v22, v10
	v_pack_b32_f16 v10, v20, v21
	v_pack_b32_f16 v9, v16, v9
	v_mul_u32_u24_e32 v23, 0x10001, v18
	v_mul_u32_u24_e32 v24, 0x10001, v17
	ds_write2_b32 v116, v10, v9 offset1:32
	s_waitcnt vmcnt(3)
	ds_write_b128 v127, v[28:31]
	s_waitcnt vmcnt(2)
	ds_write_b128 v93, v[1:4]
	;; [unrolled: 2-line block ×3, first 2 shown]
	v_add_u32_e32 v1, 0x3000, v127
	v_fmac_f32_e32 v125, v15, v19
	v_pk_mul_f16 v36, v12, v23
	v_pk_mul_f16 v37, v11, v24
	s_waitcnt vmcnt(0)
	ds_write_b128 v1, v[5:8]
	s_waitcnt lgkmcnt(0)
	s_barrier
	ds_read2_b64 v[15:18], v94 offset1:32
	ds_read_b128 v[19:22], v108
	ds_read_b128 v[29:32], v108 offset:16
	ds_read_b128 v[5:8], v108 offset:32
	;; [unrolled: 1-line block ×3, first 2 shown]
	ds_read2_b64 v[41:44], v94 offset0:64 offset1:96
	ds_read2_b64 v[45:48], v94 offset0:128 offset1:160
	ds_read2_b64 v[57:60], v94 offset0:192 offset1:224
	ds_read2_b64 v[61:64], v117 offset1:32
	ds_read2_b64 v[103:106], v117 offset0:64 offset1:96
	ds_read2_b64 v[109:112], v117 offset0:128 offset1:160
	;; [unrolled: 1-line block ×3, first 2 shown]
	ds_read2_b64 v[65:68], v118 offset1:32
	ds_read_b128 v[49:52], v108 offset:64
	ds_read2_b64 v[25:28], v118 offset0:64 offset1:96
	ds_read2_b64 v[9:12], v118 offset0:128 offset1:160
	s_waitcnt lgkmcnt(14)
	v_mul_u32_u24_sdwa v33, v19, s38 dst_sel:DWORD dst_unused:UNUSED_PAD src0_sel:WORD_0 src1_sel:DWORD
	v_mul_u32_u24_sdwa v19, v19, s38 dst_sel:DWORD dst_unused:UNUSED_PAD src0_sel:WORD_1 src1_sel:DWORD
	v_pk_mul_f16 v34, v15, v33
	v_pk_mul_f16 v15, v15, v19
	v_pk_fma_f16 v14, v14, v23, v34
	v_mul_u32_u24_sdwa v23, v20, s38 dst_sel:DWORD dst_unused:UNUSED_PAD src0_sel:WORD_0 src1_sel:DWORD
	v_pk_fma_f16 v33, v16, v33, v36
	v_mul_u32_u24_sdwa v20, v20, s38 dst_sel:DWORD dst_unused:UNUSED_PAD src0_sel:WORD_1 src1_sel:DWORD
	v_pk_fma_f16 v16, v16, v19, v37
	v_pk_fma_f16 v13, v13, v24, v15
	v_pk_fma_f16 v15, v18, v23, v33
	v_pk_fma_f16 v16, v18, v20, v16
	v_pk_fma_f16 v14, v17, v23, v14
	v_pk_fma_f16 v13, v17, v20, v13
	v_mul_u32_u24_sdwa v17, v21, s38 dst_sel:DWORD dst_unused:UNUSED_PAD src0_sel:WORD_0 src1_sel:DWORD
	v_mul_u32_u24_sdwa v18, v21, s38 dst_sel:DWORD dst_unused:UNUSED_PAD src0_sel:WORD_1 src1_sel:DWORD
	v_mul_u32_u24_sdwa v19, v22, s38 dst_sel:DWORD dst_unused:UNUSED_PAD src0_sel:WORD_0 src1_sel:DWORD
	v_mul_u32_u24_sdwa v20, v22, s38 dst_sel:DWORD dst_unused:UNUSED_PAD src0_sel:WORD_1 src1_sel:DWORD
	s_waitcnt lgkmcnt(10)
	v_pk_fma_f16 v15, v42, v17, v15
	v_pk_fma_f16 v16, v42, v18, v16
	v_pk_fma_f16 v14, v41, v17, v14
	v_pk_fma_f16 v13, v41, v18, v13
	v_pk_fma_f16 v17, v44, v19, v15
	v_pk_fma_f16 v18, v44, v20, v16
	v_pk_fma_f16 v19, v43, v19, v14
	v_pk_fma_f16 v20, v43, v20, v13
	v_mul_u32_u24_sdwa v21, v29, s38 dst_sel:DWORD dst_unused:UNUSED_PAD src0_sel:WORD_0 src1_sel:DWORD
	v_mul_u32_u24_sdwa v22, v29, s38 dst_sel:DWORD dst_unused:UNUSED_PAD src0_sel:WORD_1 src1_sel:DWORD
	v_mul_u32_u24_sdwa v23, v30, s38 dst_sel:DWORD dst_unused:UNUSED_PAD src0_sel:WORD_0 src1_sel:DWORD
	v_mul_u32_u24_sdwa v24, v30, s38 dst_sel:DWORD dst_unused:UNUSED_PAD src0_sel:WORD_1 src1_sel:DWORD
	s_waitcnt lgkmcnt(9)
	v_pk_fma_f16 v17, v46, v21, v17
	v_pk_fma_f16 v18, v46, v22, v18
	;; [unrolled: 13-line block ×6, first 2 shown]
	v_pk_fma_f16 v6, v109, v8, v6
	v_pk_fma_f16 v1, v109, v1, v5
	;; [unrolled: 1-line block ×6, first 2 shown]
	v_mul_u32_u24_sdwa v2, v3, s38 dst_sel:DWORD dst_unused:UNUSED_PAD src0_sel:WORD_0 src1_sel:DWORD
	v_mul_u32_u24_sdwa v3, v3, s38 dst_sel:DWORD dst_unused:UNUSED_PAD src0_sel:WORD_1 src1_sel:DWORD
	ds_read_b128 v[33:36], v108 offset:80
	ds_read_b128 v[53:56], v108 offset:96
	v_mul_u32_u24_sdwa v8, v4, s38 dst_sel:DWORD dst_unused:UNUSED_PAD src0_sel:WORD_0 src1_sel:DWORD
	v_mul_u32_u24_sdwa v4, v4, s38 dst_sel:DWORD dst_unused:UNUSED_PAD src0_sel:WORD_1 src1_sel:DWORD
	s_waitcnt lgkmcnt(6)
	v_pk_fma_f16 v5, v70, v2, v5
	v_pk_fma_f16 v7, v70, v3, v7
	;; [unrolled: 1-line block ×8, first 2 shown]
	s_waitcnt lgkmcnt(4)
	v_mul_u32_u24_sdwa v4, v49, s38 dst_sel:DWORD dst_unused:UNUSED_PAD src0_sel:WORD_0 src1_sel:DWORD
	v_mul_u32_u24_sdwa v49, v49, s38 dst_sel:DWORD dst_unused:UNUSED_PAD src0_sel:WORD_1 src1_sel:DWORD
	v_mul_u32_u24_sdwa v70, v50, s38 dst_sel:DWORD dst_unused:UNUSED_PAD src0_sel:WORD_0 src1_sel:DWORD
	v_mul_u32_u24_sdwa v50, v50, s38 dst_sel:DWORD dst_unused:UNUSED_PAD src0_sel:WORD_1 src1_sel:DWORD
	v_pk_fma_f16 v3, v66, v4, v3
	v_pk_fma_f16 v66, v66, v49, v69
	;; [unrolled: 1-line block ×4, first 2 shown]
	ds_read2_b64 v[37:40], v118 offset0:192 offset1:224
	v_pk_fma_f16 v3, v68, v70, v3
	v_pk_fma_f16 v4, v68, v50, v66
	;; [unrolled: 1-line block ×4, first 2 shown]
	v_mul_u32_u24_sdwa v69, v51, s38 dst_sel:DWORD dst_unused:UNUSED_PAD src0_sel:WORD_0 src1_sel:DWORD
	v_mul_u32_u24_sdwa v70, v51, s38 dst_sel:DWORD dst_unused:UNUSED_PAD src0_sel:WORD_1 src1_sel:DWORD
	v_mul_u32_u24_sdwa v71, v52, s38 dst_sel:DWORD dst_unused:UNUSED_PAD src0_sel:WORD_0 src1_sel:DWORD
	v_mul_u32_u24_sdwa v72, v52, s38 dst_sel:DWORD dst_unused:UNUSED_PAD src0_sel:WORD_1 src1_sel:DWORD
	s_waitcnt lgkmcnt(4)
	v_pk_fma_f16 v3, v26, v69, v3
	v_pk_fma_f16 v4, v26, v70, v4
	;; [unrolled: 1-line block ×4, first 2 shown]
	ds_read2_b64 v[13:16], v119 offset1:32
	v_pk_fma_f16 v3, v28, v71, v3
	v_pk_fma_f16 v4, v28, v72, v4
	;; [unrolled: 1-line block ×4, first 2 shown]
	s_waitcnt lgkmcnt(3)
	v_mul_u32_u24_sdwa v69, v33, s38 dst_sel:DWORD dst_unused:UNUSED_PAD src0_sel:WORD_0 src1_sel:DWORD
	v_mul_u32_u24_sdwa v33, v33, s38 dst_sel:DWORD dst_unused:UNUSED_PAD src0_sel:WORD_1 src1_sel:DWORD
	v_mul_u32_u24_sdwa v70, v34, s38 dst_sel:DWORD dst_unused:UNUSED_PAD src0_sel:WORD_0 src1_sel:DWORD
	v_mul_u32_u24_sdwa v34, v34, s38 dst_sel:DWORD dst_unused:UNUSED_PAD src0_sel:WORD_1 src1_sel:DWORD
	v_pk_fma_f16 v3, v10, v69, v3
	v_pk_fma_f16 v4, v10, v33, v4
	;; [unrolled: 1-line block ×4, first 2 shown]
	ds_read2_b64 v[41:44], v119 offset0:64 offset1:96
	v_pk_fma_f16 v3, v12, v70, v3
	v_pk_fma_f16 v4, v12, v34, v4
	v_pk_fma_f16 v2, v11, v70, v2
	v_pk_fma_f16 v1, v11, v34, v1
	v_mul_u32_u24_sdwa v9, v35, s38 dst_sel:DWORD dst_unused:UNUSED_PAD src0_sel:WORD_0 src1_sel:DWORD
	v_mul_u32_u24_sdwa v10, v35, s38 dst_sel:DWORD dst_unused:UNUSED_PAD src0_sel:WORD_1 src1_sel:DWORD
	ds_read_b128 v[57:60], v108 offset:112
	ds_read_b128 v[61:64], v108 offset:128
	v_mul_u32_u24_sdwa v11, v36, s38 dst_sel:DWORD dst_unused:UNUSED_PAD src0_sel:WORD_0 src1_sel:DWORD
	v_mul_u32_u24_sdwa v12, v36, s38 dst_sel:DWORD dst_unused:UNUSED_PAD src0_sel:WORD_1 src1_sel:DWORD
	s_waitcnt lgkmcnt(4)
	v_pk_fma_f16 v3, v38, v9, v3
	v_pk_fma_f16 v4, v38, v10, v4
	;; [unrolled: 1-line block ×4, first 2 shown]
	ds_read2_b64 v[17:20], v119 offset0:128 offset1:160
	v_pk_fma_f16 v3, v40, v11, v3
	v_pk_fma_f16 v4, v40, v12, v4
	;; [unrolled: 1-line block ×4, first 2 shown]
	v_mul_u32_u24_sdwa v9, v53, s38 dst_sel:DWORD dst_unused:UNUSED_PAD src0_sel:WORD_0 src1_sel:DWORD
	v_mul_u32_u24_sdwa v10, v53, s38 dst_sel:DWORD dst_unused:UNUSED_PAD src0_sel:WORD_1 src1_sel:DWORD
	v_mul_u32_u24_sdwa v11, v54, s38 dst_sel:DWORD dst_unused:UNUSED_PAD src0_sel:WORD_0 src1_sel:DWORD
	v_mul_u32_u24_sdwa v12, v54, s38 dst_sel:DWORD dst_unused:UNUSED_PAD src0_sel:WORD_1 src1_sel:DWORD
	s_waitcnt lgkmcnt(4)
	v_pk_fma_f16 v3, v14, v9, v3
	v_pk_fma_f16 v4, v14, v10, v4
	;; [unrolled: 1-line block ×4, first 2 shown]
	ds_read2_b64 v[45:48], v119 offset0:192 offset1:224
	v_pk_fma_f16 v9, v16, v11, v3
	v_pk_fma_f16 v10, v16, v12, v4
	;; [unrolled: 1-line block ×4, first 2 shown]
	v_mul_u32_u24_sdwa v13, v55, s38 dst_sel:DWORD dst_unused:UNUSED_PAD src0_sel:WORD_0 src1_sel:DWORD
	v_mul_u32_u24_sdwa v14, v55, s38 dst_sel:DWORD dst_unused:UNUSED_PAD src0_sel:WORD_1 src1_sel:DWORD
	v_mul_u32_u24_sdwa v15, v56, s38 dst_sel:DWORD dst_unused:UNUSED_PAD src0_sel:WORD_0 src1_sel:DWORD
	v_mul_u32_u24_sdwa v16, v56, s38 dst_sel:DWORD dst_unused:UNUSED_PAD src0_sel:WORD_1 src1_sel:DWORD
	s_waitcnt lgkmcnt(4)
	v_pk_fma_f16 v9, v42, v13, v9
	v_pk_fma_f16 v10, v42, v14, v10
	;; [unrolled: 1-line block ×4, first 2 shown]
	ds_read2_b64 v[21:24], v120 offset1:32
	v_pk_fma_f16 v13, v44, v15, v9
	v_pk_fma_f16 v14, v44, v16, v10
	;; [unrolled: 1-line block ×4, first 2 shown]
	s_waitcnt lgkmcnt(4)
	v_mul_u32_u24_sdwa v41, v57, s38 dst_sel:DWORD dst_unused:UNUSED_PAD src0_sel:WORD_0 src1_sel:DWORD
	v_mul_u32_u24_sdwa v42, v57, s38 dst_sel:DWORD dst_unused:UNUSED_PAD src0_sel:WORD_1 src1_sel:DWORD
	v_mul_u32_u24_sdwa v43, v58, s38 dst_sel:DWORD dst_unused:UNUSED_PAD src0_sel:WORD_0 src1_sel:DWORD
	v_mul_u32_u24_sdwa v44, v58, s38 dst_sel:DWORD dst_unused:UNUSED_PAD src0_sel:WORD_1 src1_sel:DWORD
	s_waitcnt lgkmcnt(2)
	v_pk_fma_f16 v13, v18, v41, v13
	v_pk_fma_f16 v14, v18, v42, v14
	v_pk_fma_f16 v15, v17, v41, v15
	v_pk_fma_f16 v16, v17, v42, v16
	ds_read2_b64 v[29:32], v120 offset0:64 offset1:96
	v_pk_fma_f16 v17, v20, v43, v13
	v_pk_fma_f16 v18, v20, v44, v14
	;; [unrolled: 1-line block ×4, first 2 shown]
	v_mul_u32_u24_sdwa v53, v59, s38 dst_sel:DWORD dst_unused:UNUSED_PAD src0_sel:WORD_0 src1_sel:DWORD
	v_mul_u32_u24_sdwa v54, v59, s38 dst_sel:DWORD dst_unused:UNUSED_PAD src0_sel:WORD_1 src1_sel:DWORD
	ds_read_b128 v[65:68], v108 offset:144
	ds_read_b128 v[69:72], v108 offset:160
	v_mul_u32_u24_sdwa v55, v60, s38 dst_sel:DWORD dst_unused:UNUSED_PAD src0_sel:WORD_0 src1_sel:DWORD
	v_mul_u32_u24_sdwa v56, v60, s38 dst_sel:DWORD dst_unused:UNUSED_PAD src0_sel:WORD_1 src1_sel:DWORD
	s_waitcnt lgkmcnt(4)
	v_pk_fma_f16 v17, v46, v53, v17
	v_pk_fma_f16 v18, v46, v54, v18
	;; [unrolled: 1-line block ×4, first 2 shown]
	ds_read2_b64 v[5:8], v120 offset0:128 offset1:160
	v_pk_fma_f16 v45, v48, v55, v17
	v_pk_fma_f16 v46, v48, v56, v18
	;; [unrolled: 1-line block ×4, first 2 shown]
	v_mul_u32_u24_sdwa v53, v61, s38 dst_sel:DWORD dst_unused:UNUSED_PAD src0_sel:WORD_0 src1_sel:DWORD
	v_mul_u32_u24_sdwa v54, v61, s38 dst_sel:DWORD dst_unused:UNUSED_PAD src0_sel:WORD_1 src1_sel:DWORD
	v_mul_u32_u24_sdwa v55, v62, s38 dst_sel:DWORD dst_unused:UNUSED_PAD src0_sel:WORD_0 src1_sel:DWORD
	v_mul_u32_u24_sdwa v56, v62, s38 dst_sel:DWORD dst_unused:UNUSED_PAD src0_sel:WORD_1 src1_sel:DWORD
	s_waitcnt lgkmcnt(4)
	v_pk_fma_f16 v45, v22, v53, v45
	v_pk_fma_f16 v22, v22, v54, v46
	;; [unrolled: 1-line block ×4, first 2 shown]
	ds_read2_b64 v[49:52], v120 offset0:192 offset1:224
	v_pk_fma_f16 v53, v24, v55, v45
	v_pk_fma_f16 v54, v24, v56, v22
	;; [unrolled: 1-line block ×4, first 2 shown]
	v_mul_u32_u24_sdwa v57, v63, s38 dst_sel:DWORD dst_unused:UNUSED_PAD src0_sel:WORD_0 src1_sel:DWORD
	v_mul_u32_u24_sdwa v58, v63, s38 dst_sel:DWORD dst_unused:UNUSED_PAD src0_sel:WORD_1 src1_sel:DWORD
	v_mul_u32_u24_sdwa v59, v64, s38 dst_sel:DWORD dst_unused:UNUSED_PAD src0_sel:WORD_0 src1_sel:DWORD
	v_mul_u32_u24_sdwa v60, v64, s38 dst_sel:DWORD dst_unused:UNUSED_PAD src0_sel:WORD_1 src1_sel:DWORD
	s_waitcnt lgkmcnt(4)
	v_pk_fma_f16 v53, v30, v57, v53
	v_pk_fma_f16 v55, v29, v57, v55
	;; [unrolled: 1-line block ×4, first 2 shown]
	ds_read2_b64 v[25:28], v121 offset1:32
	s_waitcnt lgkmcnt(4)
	v_mul_u32_u24_sdwa v57, v65, s38 dst_sel:DWORD dst_unused:UNUSED_PAD src0_sel:WORD_0 src1_sel:DWORD
	v_mul_u32_u24_sdwa v54, v65, s38 dst_sel:DWORD dst_unused:UNUSED_PAD src0_sel:WORD_1 src1_sel:DWORD
	v_pk_fma_f16 v53, v32, v59, v53
	v_pk_fma_f16 v55, v31, v59, v55
	;; [unrolled: 1-line block ×4, first 2 shown]
	v_mul_u32_u24_sdwa v56, v66, s38 dst_sel:DWORD dst_unused:UNUSED_PAD src0_sel:WORD_0 src1_sel:DWORD
	v_mul_u32_u24_sdwa v60, v66, s38 dst_sel:DWORD dst_unused:UNUSED_PAD src0_sel:WORD_1 src1_sel:DWORD
	s_waitcnt lgkmcnt(2)
	v_pk_fma_f16 v53, v6, v57, v53
	v_pk_fma_f16 v55, v5, v57, v55
	;; [unrolled: 1-line block ×4, first 2 shown]
	ds_read2_b64 v[33:36], v121 offset0:64 offset1:96
	v_mul_u32_u24_sdwa v61, v67, s38 dst_sel:DWORD dst_unused:UNUSED_PAD src0_sel:WORD_0 src1_sel:DWORD
	v_mul_u32_u24_sdwa v62, v67, s38 dst_sel:DWORD dst_unused:UNUSED_PAD src0_sel:WORD_1 src1_sel:DWORD
	v_pk_fma_f16 v53, v8, v56, v53
	v_pk_fma_f16 v55, v7, v56, v55
	;; [unrolled: 1-line block ×4, first 2 shown]
	ds_read_b128 v[103:106], v108 offset:176
	ds_read_b128 v[41:44], v108 offset:192
	v_mul_u32_u24_sdwa v63, v68, s38 dst_sel:DWORD dst_unused:UNUSED_PAD src0_sel:WORD_0 src1_sel:DWORD
	v_mul_u32_u24_sdwa v64, v68, s38 dst_sel:DWORD dst_unused:UNUSED_PAD src0_sel:WORD_1 src1_sel:DWORD
	s_waitcnt lgkmcnt(4)
	v_pk_fma_f16 v53, v50, v61, v53
	v_pk_fma_f16 v55, v49, v61, v55
	;; [unrolled: 1-line block ×4, first 2 shown]
	ds_read2_b64 v[37:40], v121 offset0:128 offset1:160
	v_mul_u32_u24_sdwa v57, v69, s38 dst_sel:DWORD dst_unused:UNUSED_PAD src0_sel:WORD_0 src1_sel:DWORD
	v_mul_u32_u24_sdwa v54, v69, s38 dst_sel:DWORD dst_unused:UNUSED_PAD src0_sel:WORD_1 src1_sel:DWORD
	v_pk_fma_f16 v53, v52, v63, v53
	v_pk_fma_f16 v55, v51, v63, v55
	;; [unrolled: 1-line block ×4, first 2 shown]
	v_mul_u32_u24_sdwa v56, v70, s38 dst_sel:DWORD dst_unused:UNUSED_PAD src0_sel:WORD_0 src1_sel:DWORD
	v_mul_u32_u24_sdwa v60, v70, s38 dst_sel:DWORD dst_unused:UNUSED_PAD src0_sel:WORD_1 src1_sel:DWORD
	s_waitcnt lgkmcnt(4)
	v_pk_fma_f16 v53, v26, v57, v53
	v_pk_fma_f16 v55, v25, v57, v55
	;; [unrolled: 1-line block ×4, first 2 shown]
	ds_read2_b64 v[1:4], v121 offset0:192 offset1:224
	v_mul_u32_u24_sdwa v65, v71, s38 dst_sel:DWORD dst_unused:UNUSED_PAD src0_sel:WORD_0 src1_sel:DWORD
	v_mul_u32_u24_sdwa v66, v71, s38 dst_sel:DWORD dst_unused:UNUSED_PAD src0_sel:WORD_1 src1_sel:DWORD
	v_pk_fma_f16 v53, v28, v56, v53
	v_pk_fma_f16 v54, v27, v56, v55
	;; [unrolled: 1-line block ×4, first 2 shown]
	v_mul_u32_u24_sdwa v67, v72, s38 dst_sel:DWORD dst_unused:UNUSED_PAD src0_sel:WORD_0 src1_sel:DWORD
	v_mul_u32_u24_sdwa v68, v72, s38 dst_sel:DWORD dst_unused:UNUSED_PAD src0_sel:WORD_1 src1_sel:DWORD
	s_waitcnt lgkmcnt(4)
	v_pk_fma_f16 v53, v34, v65, v53
	v_pk_fma_f16 v54, v33, v65, v54
	;; [unrolled: 1-line block ×4, first 2 shown]
	ds_read2_b64 v[9:12], v122 offset1:32
	s_waitcnt lgkmcnt(4)
	v_mul_u32_u24_sdwa v61, v103, s38 dst_sel:DWORD dst_unused:UNUSED_PAD src0_sel:WORD_0 src1_sel:DWORD
	v_mul_u32_u24_sdwa v58, v103, s38 dst_sel:DWORD dst_unused:UNUSED_PAD src0_sel:WORD_1 src1_sel:DWORD
	v_pk_fma_f16 v53, v36, v67, v53
	v_pk_fma_f16 v54, v35, v67, v54
	;; [unrolled: 1-line block ×4, first 2 shown]
	v_mul_u32_u24_sdwa v59, v104, s38 dst_sel:DWORD dst_unused:UNUSED_PAD src0_sel:WORD_0 src1_sel:DWORD
	v_mul_u32_u24_sdwa v64, v104, s38 dst_sel:DWORD dst_unused:UNUSED_PAD src0_sel:WORD_1 src1_sel:DWORD
	s_waitcnt lgkmcnt(2)
	v_pk_fma_f16 v53, v38, v61, v53
	v_pk_fma_f16 v54, v37, v61, v54
	v_pk_fma_f16 v34, v38, v58, v34
	v_pk_fma_f16 v33, v37, v58, v33
	ds_read2_b64 v[13:16], v122 offset0:64 offset1:96
	v_mul_u32_u24_sdwa v69, v105, s38 dst_sel:DWORD dst_unused:UNUSED_PAD src0_sel:WORD_0 src1_sel:DWORD
	v_mul_u32_u24_sdwa v70, v105, s38 dst_sel:DWORD dst_unused:UNUSED_PAD src0_sel:WORD_1 src1_sel:DWORD
	v_pk_fma_f16 v38, v40, v59, v53
	v_pk_fma_f16 v53, v39, v59, v54
	;; [unrolled: 1-line block ×4, first 2 shown]
	ds_read_b128 v[21:24], v108 offset:208
	ds_read_b128 v[5:8], v108 offset:224
	v_mul_u32_u24_sdwa v71, v106, s38 dst_sel:DWORD dst_unused:UNUSED_PAD src0_sel:WORD_0 src1_sel:DWORD
	v_mul_u32_u24_sdwa v72, v106, s38 dst_sel:DWORD dst_unused:UNUSED_PAD src0_sel:WORD_1 src1_sel:DWORD
	s_waitcnt lgkmcnt(4)
	v_pk_fma_f16 v38, v2, v69, v38
	v_pk_fma_f16 v53, v1, v69, v53
	;; [unrolled: 1-line block ×4, first 2 shown]
	ds_read2_b64 v[17:20], v122 offset0:128 offset1:160
	v_mul_u32_u24_sdwa v57, v41, s38 dst_sel:DWORD dst_unused:UNUSED_PAD src0_sel:WORD_0 src1_sel:DWORD
	v_mul_u32_u24_sdwa v41, v41, s38 dst_sel:DWORD dst_unused:UNUSED_PAD src0_sel:WORD_1 src1_sel:DWORD
	v_pk_fma_f16 v33, v4, v71, v38
	v_pk_fma_f16 v34, v3, v71, v53
	;; [unrolled: 1-line block ×4, first 2 shown]
	v_mul_u32_u24_sdwa v55, v42, s38 dst_sel:DWORD dst_unused:UNUSED_PAD src0_sel:WORD_0 src1_sel:DWORD
	v_mul_u32_u24_sdwa v42, v42, s38 dst_sel:DWORD dst_unused:UNUSED_PAD src0_sel:WORD_1 src1_sel:DWORD
	s_waitcnt lgkmcnt(4)
	v_pk_fma_f16 v33, v10, v57, v33
	v_pk_fma_f16 v2, v10, v41, v2
	;; [unrolled: 1-line block ×4, first 2 shown]
	ds_read2_b64 v[45:48], v122 offset0:192 offset1:224
	v_mul_u32_u24_sdwa v62, v43, s38 dst_sel:DWORD dst_unused:UNUSED_PAD src0_sel:WORD_0 src1_sel:DWORD
	v_mul_u32_u24_sdwa v43, v43, s38 dst_sel:DWORD dst_unused:UNUSED_PAD src0_sel:WORD_1 src1_sel:DWORD
	v_pk_fma_f16 v9, v12, v55, v33
	v_pk_fma_f16 v2, v12, v42, v2
	;; [unrolled: 1-line block ×4, first 2 shown]
	v_mul_u32_u24_sdwa v63, v44, s38 dst_sel:DWORD dst_unused:UNUSED_PAD src0_sel:WORD_0 src1_sel:DWORD
	v_mul_u32_u24_sdwa v44, v44, s38 dst_sel:DWORD dst_unused:UNUSED_PAD src0_sel:WORD_1 src1_sel:DWORD
	s_waitcnt lgkmcnt(4)
	v_pk_fma_f16 v9, v14, v62, v9
	v_pk_fma_f16 v2, v14, v43, v2
	;; [unrolled: 1-line block ×4, first 2 shown]
	ds_read2_b64 v[29:32], v123 offset1:32
	s_waitcnt lgkmcnt(4)
	v_mul_u32_u24_sdwa v65, v21, s38 dst_sel:DWORD dst_unused:UNUSED_PAD src0_sel:WORD_0 src1_sel:DWORD
	v_mul_u32_u24_sdwa v56, v21, s38 dst_sel:DWORD dst_unused:UNUSED_PAD src0_sel:WORD_1 src1_sel:DWORD
	v_pk_fma_f16 v9, v16, v63, v9
	v_pk_fma_f16 v2, v16, v44, v2
	;; [unrolled: 1-line block ×4, first 2 shown]
	v_mul_u32_u24_sdwa v60, v22, s38 dst_sel:DWORD dst_unused:UNUSED_PAD src0_sel:WORD_0 src1_sel:DWORD
	v_mul_u32_u24_sdwa v35, v22, s38 dst_sel:DWORD dst_unused:UNUSED_PAD src0_sel:WORD_1 src1_sel:DWORD
	s_waitcnt lgkmcnt(2)
	v_pk_fma_f16 v9, v18, v65, v9
	v_pk_fma_f16 v2, v18, v56, v2
	;; [unrolled: 1-line block ×4, first 2 shown]
	ds_read2_b64 v[49:52], v123 offset0:64 offset1:96
	v_mul_u32_u24_sdwa v36, v23, s38 dst_sel:DWORD dst_unused:UNUSED_PAD src0_sel:WORD_0 src1_sel:DWORD
	v_mul_u32_u24_sdwa v66, v23, s38 dst_sel:DWORD dst_unused:UNUSED_PAD src0_sel:WORD_1 src1_sel:DWORD
	v_pk_fma_f16 v9, v20, v60, v9
	v_pk_fma_f16 v2, v20, v35, v2
	;; [unrolled: 1-line block ×4, first 2 shown]
	v_mul_u32_u24_sdwa v67, v24, s38 dst_sel:DWORD dst_unused:UNUSED_PAD src0_sel:WORD_0 src1_sel:DWORD
	v_mul_u32_u24_sdwa v68, v24, s38 dst_sel:DWORD dst_unused:UNUSED_PAD src0_sel:WORD_1 src1_sel:DWORD
	ds_read_b128 v[21:24], v108 offset:240
	s_waitcnt lgkmcnt(3)
	v_pk_fma_f16 v9, v46, v36, v9
	v_pk_fma_f16 v2, v46, v66, v2
	;; [unrolled: 1-line block ×4, first 2 shown]
	ds_read2_b64 v[25:28], v123 offset0:128 offset1:160
	v_mul_u32_u24_sdwa v61, v5, s38 dst_sel:DWORD dst_unused:UNUSED_PAD src0_sel:WORD_0 src1_sel:DWORD
	v_mul_u32_u24_sdwa v37, v5, s38 dst_sel:DWORD dst_unused:UNUSED_PAD src0_sel:WORD_1 src1_sel:DWORD
	v_pk_fma_f16 v9, v48, v67, v9
	v_pk_fma_f16 v2, v48, v68, v2
	;; [unrolled: 1-line block ×4, first 2 shown]
	v_mul_u32_u24_sdwa v54, v6, s38 dst_sel:DWORD dst_unused:UNUSED_PAD src0_sel:WORD_0 src1_sel:DWORD
	v_mul_u32_u24_sdwa v39, v6, s38 dst_sel:DWORD dst_unused:UNUSED_PAD src0_sel:WORD_1 src1_sel:DWORD
	v_mul_u32_u24_sdwa v40, v7, s38 dst_sel:DWORD dst_unused:UNUSED_PAD src0_sel:WORD_0 src1_sel:DWORD
	v_mul_u32_u24_sdwa v58, v7, s38 dst_sel:DWORD dst_unused:UNUSED_PAD src0_sel:WORD_1 src1_sel:DWORD
	;; [unrolled: 2-line block ×3, first 2 shown]
	ds_read2_b64 v[5:8], v123 offset0:192 offset1:224
	s_waitcnt lgkmcnt(0)
	s_barrier
	s_load_dword s0, s[14:15], 0x4
	v_pk_fma_f16 v9, v30, v61, v9
	v_pk_fma_f16 v2, v30, v37, v2
	;; [unrolled: 1-line block ×12, first 2 shown]
	v_mul_u32_u24_sdwa v69, v21, s38 dst_sel:DWORD dst_unused:UNUSED_PAD src0_sel:WORD_0 src1_sel:DWORD
	v_mul_u32_u24_sdwa v21, v21, s38 dst_sel:DWORD dst_unused:UNUSED_PAD src0_sel:WORD_1 src1_sel:DWORD
	v_pk_fma_f16 v9, v52, v59, v9
	v_pk_fma_f16 v2, v52, v64, v2
	;; [unrolled: 1-line block ×4, first 2 shown]
	v_mul_u32_u24_sdwa v38, v22, s38 dst_sel:DWORD dst_unused:UNUSED_PAD src0_sel:WORD_0 src1_sel:DWORD
	v_mul_u32_u24_sdwa v3, v22, s38 dst_sel:DWORD dst_unused:UNUSED_PAD src0_sel:WORD_1 src1_sel:DWORD
	v_pk_fma_f16 v9, v26, v69, v9
	v_pk_fma_f16 v2, v26, v21, v2
	;; [unrolled: 1-line block ×4, first 2 shown]
	v_mul_u32_u24_sdwa v4, v23, s38 dst_sel:DWORD dst_unused:UNUSED_PAD src0_sel:WORD_0 src1_sel:DWORD
	v_mul_u32_u24_sdwa v22, v23, s38 dst_sel:DWORD dst_unused:UNUSED_PAD src0_sel:WORD_1 src1_sel:DWORD
	s_waitcnt lgkmcnt(0)
	s_lshl_b32 s0, s0, 6
	v_pk_fma_f16 v9, v28, v38, v9
	v_pk_fma_f16 v2, v28, v3, v2
	;; [unrolled: 1-line block ×4, first 2 shown]
	v_mul_u32_u24_sdwa v23, v24, s38 dst_sel:DWORD dst_unused:UNUSED_PAD src0_sel:WORD_0 src1_sel:DWORD
	v_mul_u32_u24_sdwa v24, v24, s38 dst_sel:DWORD dst_unused:UNUSED_PAD src0_sel:WORD_1 src1_sel:DWORD
	s_add_i32 s6, s0, s6
	v_pk_fma_f16 v3, v6, v4, v9
	v_pk_fma_f16 v2, v6, v22, v2
	;; [unrolled: 1-line block ×4, first 2 shown]
	s_cmp_ge_i32 s6, s30
	v_pk_fma_f16 v12, v8, v23, v3
	v_pk_fma_f16 v11, v8, v24, v2
	;; [unrolled: 1-line block ×4, first 2 shown]
	s_cbranch_scc0 .LBB40_9
; %bb.10:
	buffer_load_dword v23, off, s[40:43], 0 ; 4-byte Folded Reload
	buffer_load_dword v24, off, s[40:43], 0 offset:4 ; 4-byte Folded Reload
	buffer_load_dword v24, off, s[40:43], 0 offset:8 ; 4-byte Folded Reload
	;; [unrolled: 1-line block ×3, first 2 shown]
.LBB40_11:
	v_cmp_lt_i32_e32 vcc, v102, v97
	v_cndmask_b32_e32 v0, v96, v102, vcc
	v_lshlrev_b32_e32 v0, 2, v0
	ds_bpermute_b32 v1, v0, v125
	ds_bpermute_b32 v0, v0, v124
	v_cmp_lt_i32_e32 vcc, v101, v97
	v_cndmask_b32_e32 v2, v96, v101, vcc
	v_lshlrev_b32_e32 v2, 2, v2
	s_waitcnt lgkmcnt(1)
	v_add_f32_e32 v1, v125, v1
	s_waitcnt lgkmcnt(0)
	v_add_f32_e32 v0, v124, v0
	ds_bpermute_b32 v3, v2, v1
	ds_bpermute_b32 v2, v2, v0
	v_cmp_lt_i32_e32 vcc, v100, v97
	v_cndmask_b32_e32 v4, v96, v100, vcc
	v_lshlrev_b32_e32 v4, 2, v4
	s_waitcnt lgkmcnt(1)
	v_add_f32_e32 v1, v1, v3
	s_waitcnt lgkmcnt(0)
	v_add_f32_e32 v0, v0, v2
	;; [unrolled: 9-line block ×4, first 2 shown]
	ds_bpermute_b32 v3, v4, v1
	ds_bpermute_b32 v2, v4, v0
	s_cmp_lg_u64 s[16:17], 0
	s_cselect_b64 s[0:1], -1, 0
	s_cmp_eq_u32 s7, 0
	s_cselect_b64 s[2:3], -1, 0
	s_and_b64 s[0:1], s[2:3], s[0:1]
	s_waitcnt lgkmcnt(1)
	v_add_f32_e32 v1, v1, v3
	s_waitcnt lgkmcnt(0)
	v_add_f32_e32 v2, v0, v2
	s_and_b64 vcc, exec, s[0:1]
	s_cbranch_vccz .LBB40_14
; %bb.12:
	s_ashr_i32 s29, s28, 31
	s_lshl_b64 s[0:1], s[28:29], 2
	s_add_u32 s0, s16, s0
	s_addc_u32 s1, s17, s1
	v_mov_b32_e32 v0, 0
	global_load_dwordx2 v[3:4], v0, s[0:1]
	v_max_f32_e32 v0, v90, v90
	v_max_f32_e32 v6, v91, v91
	s_mov_b32 s0, 0x3fb8aa3b
	s_mov_b32 s1, 0xc2ce8ed0
	;; [unrolled: 1-line block ×3, first 2 shown]
	v_mov_b32_e32 v7, 0x7f800000
	s_waitcnt vmcnt(0)
	v_max_f32_e32 v5, v3, v3
	v_max_f32_e32 v8, v4, v4
	;; [unrolled: 1-line block ×4, first 2 shown]
	v_sub_f32_e32 v0, v90, v5
	v_sub_f32_e32 v8, v91, v6
	v_mov_b32_e32 v91, v6
	v_sub_f32_e32 v3, v3, v5
	v_mov_b32_e32 v90, v5
	v_mul_f32_e32 v5, 0x3fb8aa3b, v0
	v_sub_f32_e32 v4, v4, v6
	v_mul_f32_e32 v6, 0x3fb8aa3b, v3
	v_fma_f32 v15, v0, s0, -v5
	v_rndne_f32_e32 v16, v5
	v_mul_f32_e32 v9, 0x3fb8aa3b, v8
	v_fma_f32 v17, v3, s0, -v6
	v_rndne_f32_e32 v18, v6
	v_fmac_f32_e32 v15, 0x32a5705f, v0
	v_sub_f32_e32 v5, v5, v16
	v_mul_f32_e32 v10, 0x3fb8aa3b, v4
	v_fma_f32 v19, v8, s0, -v9
	v_rndne_f32_e32 v20, v9
	v_fmac_f32_e32 v17, 0x32a5705f, v3
	v_sub_f32_e32 v6, v6, v18
	v_add_f32_e32 v5, v5, v15
	v_fma_f32 v21, v4, s0, -v10
	v_rndne_f32_e32 v22, v10
	v_cvt_i32_f32_e32 v16, v16
	v_fmac_f32_e32 v19, 0x32a5705f, v8
	v_sub_f32_e32 v9, v9, v20
	v_add_f32_e32 v6, v6, v17
	v_exp_f32_e32 v5, v5
	v_cvt_i32_f32_e32 v18, v18
	v_fmac_f32_e32 v21, 0x32a5705f, v4
	v_sub_f32_e32 v10, v10, v22
	v_add_f32_e32 v9, v9, v19
	v_exp_f32_e32 v6, v6
	v_cvt_i32_f32_e32 v20, v20
	v_add_f32_e32 v10, v10, v21
	v_exp_f32_e32 v9, v9
	v_cvt_i32_f32_e32 v22, v22
	v_exp_f32_e32 v10, v10
	v_ldexp_f32 v5, v5, v16
	v_cmp_ngt_f32_e32 vcc, s1, v0
	v_ldexp_f32 v6, v6, v18
	v_cndmask_b32_e32 v5, 0, v5, vcc
	v_cmp_ngt_f32_e32 vcc, s1, v3
	v_ldexp_f32 v9, v9, v20
	v_cndmask_b32_e32 v6, 0, v6, vcc
	;; [unrolled: 3-line block ×3, first 2 shown]
	v_cmp_ngt_f32_e32 vcc, s1, v4
	v_cndmask_b32_e32 v10, 0, v10, vcc
	v_cmp_nlt_f32_e32 vcc, s2, v0
	v_cndmask_b32_e32 v0, v7, v5, vcc
	v_cmp_nlt_f32_e32 vcc, s2, v3
	;; [unrolled: 2-line block ×3, first 2 shown]
	v_cndmask_b32_e32 v5, v7, v9, vcc
	v_fmac_f32_e32 v3, v1, v0
	v_cvt_f16_f32_e32 v0, v0
	v_cvt_f16_f32_e32 v6, v5
	v_cmp_nlt_f32_e32 vcc, s2, v4
	v_cndmask_b32_e32 v4, v7, v10, vcc
	v_fmac_f32_e32 v4, v2, v5
	v_mul_u32_u24_e32 v0, 0x10001, v0
	v_mul_u32_u24_e32 v2, 0x10001, v6
	v_mov_b32_e32 v1, v3
	v_pk_mul_f16 v14, v14, v0
	v_pk_mul_f16 v12, v12, v0
	;; [unrolled: 1-line block ×4, first 2 shown]
	v_mov_b32_e32 v2, v4
	v_cmp_gt_i32_e32 vcc, s26, v24
	s_and_saveexec_b64 s[0:1], vcc
	s_cbranch_execnz .LBB40_15
.LBB40_13:
	s_endpgm
.LBB40_14:
	v_mov_b32_e32 v4, v2
	v_mov_b32_e32 v3, v1
	s_waitcnt vmcnt(1)
	v_cmp_gt_i32_e32 vcc, s26, v24
	s_and_saveexec_b64 s[0:1], vcc
	s_cbranch_execz .LBB40_13
.LBB40_15:
	s_load_dword s6, s[4:5], 0xd4
	v_mov_b32_e32 v5, 1.0
	s_waitcnt lgkmcnt(0)
	s_cmp_lg_u32 s6, 1
	s_cselect_b64 s[0:1], -1, 0
	s_cmp_eq_u32 s6, 1
	s_cselect_b64 s[2:3], -1, 0
	s_and_b64 vcc, exec, s[0:1]
	s_cbranch_vccnz .LBB40_17
; %bb.16:
	v_div_scale_f32 v0, s[4:5], v1, v1, 1.0
	v_div_scale_f32 v5, vcc, 1.0, v1, 1.0
	v_rcp_f32_e32 v6, v0
	v_fma_f32 v7, -v0, v6, 1.0
	v_fmac_f32_e32 v6, v7, v6
	v_mul_f32_e32 v7, v5, v6
	v_fma_f32 v8, -v0, v7, v5
	v_fmac_f32_e32 v7, v8, v6
	v_fma_f32 v0, -v0, v7, v5
	v_div_fmas_f32 v0, v0, v6, v7
	v_div_fixup_f32 v5, v0, v1, 1.0
.LBB40_17:
	s_mul_i32 s33, s33, s26
	v_add_u32_e32 v0, s33, v24
	v_mul_lo_u32 v0, v0, s27
	v_cvt_f32_f16_e32 v1, v14
	v_mov_b32_e32 v15, 0
	v_cvt_f32_f16_sdwa v7, v14 dst_sel:DWORD dst_unused:UNUSED_PAD src0_sel:WORD_1
	v_add_u32_e32 v0, s28, v0
	v_mul_lo_u32 v0, s6, v0
	v_cvt_f32_f16_e32 v8, v12
	v_cvt_f32_f16_sdwa v9, v12 dst_sel:DWORD dst_unused:UNUSED_PAD src0_sel:WORD_1
	v_cmp_eq_u32_e32 vcc, 0, v23
	v_add_u32_e32 v0, s7, v0
	s_waitcnt vmcnt(0)
	v_lshl_add_u32 v14, v0, 7, v25
	v_lshlrev_b64 v[14:15], 2, v[14:15]
	s_and_b64 s[0:1], vcc, s[0:1]
	v_mul_f32_e32 v6, v5, v1
	v_mov_b32_e32 v1, s21
	v_add_co_u32_e32 v14, vcc, s20, v14
	v_mul_f32_e32 v7, v5, v7
	v_mul_f32_e32 v8, v5, v8
	;; [unrolled: 1-line block ×3, first 2 shown]
	v_addc_co_u32_e32 v15, vcc, v1, v15, vcc
	global_store_dwordx4 v[14:15], v[6:9], off
	s_and_saveexec_b64 s[4:5], s[0:1]
	s_cbranch_execz .LBB40_19
; %bb.18:
	v_ashrrev_i32_e32 v1, 31, v0
	v_lshlrev_b64 v[5:6], 3, v[0:1]
	v_mov_b32_e32 v1, s23
	v_add_co_u32_e32 v5, vcc, s22, v5
	v_addc_co_u32_e32 v6, vcc, v1, v6, vcc
	v_mov_b32_e32 v7, v90
	v_mov_b32_e32 v8, v3
	global_store_dwordx2 v[5:6], v[7:8], off
.LBB40_19:
	s_or_b64 exec, exec, s[4:5]
	s_andn2_b64 vcc, exec, s[2:3]
	v_mov_b32_e32 v1, 1.0
	s_cbranch_vccnz .LBB40_21
; %bb.20:
	v_div_scale_f32 v1, s[2:3], v2, v2, 1.0
	v_div_scale_f32 v3, vcc, 1.0, v2, 1.0
	v_rcp_f32_e32 v5, v1
	v_fma_f32 v6, -v1, v5, 1.0
	v_fmac_f32_e32 v5, v6, v5
	v_mul_f32_e32 v6, v3, v5
	v_fma_f32 v7, -v1, v6, v3
	v_fmac_f32_e32 v6, v7, v5
	v_fma_f32 v1, -v1, v6, v3
	v_div_fmas_f32 v1, v1, v5, v6
	v_div_fixup_f32 v1, v1, v2, 1.0
.LBB40_21:
	v_cvt_f32_f16_e32 v5, v13
	v_cvt_f32_f16_sdwa v6, v13 dst_sel:DWORD dst_unused:UNUSED_PAD src0_sel:WORD_1
	v_cvt_f32_f16_e32 v7, v11
	v_cvt_f32_f16_sdwa v8, v11 dst_sel:DWORD dst_unused:UNUSED_PAD src0_sel:WORD_1
	v_add_u32_e32 v0, s6, v0
	v_lshl_add_u32 v2, v0, 7, v25
	v_mov_b32_e32 v3, 0
	v_mul_f32_e32 v5, v1, v5
	v_mul_f32_e32 v6, v1, v6
	;; [unrolled: 1-line block ×4, first 2 shown]
	v_lshlrev_b64 v[1:2], 2, v[2:3]
	v_mov_b32_e32 v3, s21
	v_add_co_u32_e32 v1, vcc, s20, v1
	v_addc_co_u32_e32 v2, vcc, v3, v2, vcc
	global_store_dwordx4 v[1:2], v[5:8], off
	s_and_b64 exec, exec, s[0:1]
	s_cbranch_execz .LBB40_13
; %bb.22:
	v_ashrrev_i32_e32 v1, 31, v0
	v_lshlrev_b64 v[0:1], 3, v[0:1]
	v_mov_b32_e32 v2, s23
	v_add_co_u32_e32 v0, vcc, s22, v0
	v_addc_co_u32_e32 v1, vcc, v2, v1, vcc
	v_mov_b32_e32 v3, v91
	global_store_dwordx2 v[0:1], v[3:4], off
	s_endpgm
	.section	.rodata,"a",@progbits
	.p2align	6, 0x0
	.amdhsa_kernel _ZL15flash_attn_tileILi128ELi128ELi8ELi2ELb0EEvPKcS1_S1_S1_S1_PKiPfP15HIP_vector_typeIfLj2EEffffjfiS5_IjLj3EEiiiiiiiiiiiliiliiiiil
		.amdhsa_group_segment_fixed_size 23552
		.amdhsa_private_segment_fixed_size 20
		.amdhsa_kernarg_size 464
		.amdhsa_user_sgpr_count 6
		.amdhsa_user_sgpr_private_segment_buffer 1
		.amdhsa_user_sgpr_dispatch_ptr 0
		.amdhsa_user_sgpr_queue_ptr 0
		.amdhsa_user_sgpr_kernarg_segment_ptr 1
		.amdhsa_user_sgpr_dispatch_id 0
		.amdhsa_user_sgpr_flat_scratch_init 0
		.amdhsa_user_sgpr_private_segment_size 0
		.amdhsa_uses_dynamic_stack 0
		.amdhsa_system_sgpr_private_segment_wavefront_offset 1
		.amdhsa_system_sgpr_workgroup_id_x 1
		.amdhsa_system_sgpr_workgroup_id_y 1
		.amdhsa_system_sgpr_workgroup_id_z 1
		.amdhsa_system_sgpr_workgroup_info 0
		.amdhsa_system_vgpr_workitem_id 1
		.amdhsa_next_free_vgpr 128
		.amdhsa_next_free_sgpr 98
		.amdhsa_reserve_vcc 1
		.amdhsa_reserve_flat_scratch 0
		.amdhsa_float_round_mode_32 0
		.amdhsa_float_round_mode_16_64 0
		.amdhsa_float_denorm_mode_32 3
		.amdhsa_float_denorm_mode_16_64 3
		.amdhsa_dx10_clamp 1
		.amdhsa_ieee_mode 1
		.amdhsa_fp16_overflow 0
		.amdhsa_exception_fp_ieee_invalid_op 0
		.amdhsa_exception_fp_denorm_src 0
		.amdhsa_exception_fp_ieee_div_zero 0
		.amdhsa_exception_fp_ieee_overflow 0
		.amdhsa_exception_fp_ieee_underflow 0
		.amdhsa_exception_fp_ieee_inexact 0
		.amdhsa_exception_int_div_zero 0
	.end_amdhsa_kernel
	.section	.text._ZL15flash_attn_tileILi128ELi128ELi8ELi2ELb0EEvPKcS1_S1_S1_S1_PKiPfP15HIP_vector_typeIfLj2EEffffjfiS5_IjLj3EEiiiiiiiiiiiliiliiiiil,"axG",@progbits,_ZL15flash_attn_tileILi128ELi128ELi8ELi2ELb0EEvPKcS1_S1_S1_S1_PKiPfP15HIP_vector_typeIfLj2EEffffjfiS5_IjLj3EEiiiiiiiiiiiliiliiiiil,comdat
.Lfunc_end40:
	.size	_ZL15flash_attn_tileILi128ELi128ELi8ELi2ELb0EEvPKcS1_S1_S1_S1_PKiPfP15HIP_vector_typeIfLj2EEffffjfiS5_IjLj3EEiiiiiiiiiiiliiliiiiil, .Lfunc_end40-_ZL15flash_attn_tileILi128ELi128ELi8ELi2ELb0EEvPKcS1_S1_S1_S1_PKiPfP15HIP_vector_typeIfLj2EEffffjfiS5_IjLj3EEiiiiiiiiiiiliiliiiiil
                                        ; -- End function
	.set _ZL15flash_attn_tileILi128ELi128ELi8ELi2ELb0EEvPKcS1_S1_S1_S1_PKiPfP15HIP_vector_typeIfLj2EEffffjfiS5_IjLj3EEiiiiiiiiiiiliiliiiiil.num_vgpr, 128
	.set _ZL15flash_attn_tileILi128ELi128ELi8ELi2ELb0EEvPKcS1_S1_S1_S1_PKiPfP15HIP_vector_typeIfLj2EEffffjfiS5_IjLj3EEiiiiiiiiiiiliiliiiiil.num_agpr, 0
	.set _ZL15flash_attn_tileILi128ELi128ELi8ELi2ELb0EEvPKcS1_S1_S1_S1_PKiPfP15HIP_vector_typeIfLj2EEffffjfiS5_IjLj3EEiiiiiiiiiiiliiliiiiil.numbered_sgpr, 44
	.set _ZL15flash_attn_tileILi128ELi128ELi8ELi2ELb0EEvPKcS1_S1_S1_S1_PKiPfP15HIP_vector_typeIfLj2EEffffjfiS5_IjLj3EEiiiiiiiiiiiliiliiiiil.num_named_barrier, 0
	.set _ZL15flash_attn_tileILi128ELi128ELi8ELi2ELb0EEvPKcS1_S1_S1_S1_PKiPfP15HIP_vector_typeIfLj2EEffffjfiS5_IjLj3EEiiiiiiiiiiiliiliiiiil.private_seg_size, 20
	.set _ZL15flash_attn_tileILi128ELi128ELi8ELi2ELb0EEvPKcS1_S1_S1_S1_PKiPfP15HIP_vector_typeIfLj2EEffffjfiS5_IjLj3EEiiiiiiiiiiiliiliiiiil.uses_vcc, 1
	.set _ZL15flash_attn_tileILi128ELi128ELi8ELi2ELb0EEvPKcS1_S1_S1_S1_PKiPfP15HIP_vector_typeIfLj2EEffffjfiS5_IjLj3EEiiiiiiiiiiiliiliiiiil.uses_flat_scratch, 0
	.set _ZL15flash_attn_tileILi128ELi128ELi8ELi2ELb0EEvPKcS1_S1_S1_S1_PKiPfP15HIP_vector_typeIfLj2EEffffjfiS5_IjLj3EEiiiiiiiiiiiliiliiiiil.has_dyn_sized_stack, 0
	.set _ZL15flash_attn_tileILi128ELi128ELi8ELi2ELb0EEvPKcS1_S1_S1_S1_PKiPfP15HIP_vector_typeIfLj2EEffffjfiS5_IjLj3EEiiiiiiiiiiiliiliiiiil.has_recursion, 0
	.set _ZL15flash_attn_tileILi128ELi128ELi8ELi2ELb0EEvPKcS1_S1_S1_S1_PKiPfP15HIP_vector_typeIfLj2EEffffjfiS5_IjLj3EEiiiiiiiiiiiliiliiiiil.has_indirect_call, 0
	.section	.AMDGPU.csdata,"",@progbits
; Kernel info:
; codeLenInByte = 10872
; TotalNumSgprs: 48
; NumVgprs: 128
; ScratchSize: 20
; MemoryBound: 0
; FloatMode: 240
; IeeeMode: 1
; LDSByteSize: 23552 bytes/workgroup (compile time only)
; SGPRBlocks: 12
; VGPRBlocks: 31
; NumSGPRsForWavesPerEU: 102
; NumVGPRsForWavesPerEU: 128
; Occupancy: 2
; WaveLimiterHint : 1
; COMPUTE_PGM_RSRC2:SCRATCH_EN: 1
; COMPUTE_PGM_RSRC2:USER_SGPR: 6
; COMPUTE_PGM_RSRC2:TRAP_HANDLER: 0
; COMPUTE_PGM_RSRC2:TGID_X_EN: 1
; COMPUTE_PGM_RSRC2:TGID_Y_EN: 1
; COMPUTE_PGM_RSRC2:TGID_Z_EN: 1
; COMPUTE_PGM_RSRC2:TIDIG_COMP_CNT: 1
	.section	.text._ZL33flash_attn_stream_k_fixup_uniformILi128ELi8ELi2EEvPfPK15HIP_vector_typeIfLj2EEiiiiiiS1_IjLj3EES5_S5_,"axG",@progbits,_ZL33flash_attn_stream_k_fixup_uniformILi128ELi8ELi2EEvPfPK15HIP_vector_typeIfLj2EEiiiiiiS1_IjLj3EES5_S5_,comdat
	.globl	_ZL33flash_attn_stream_k_fixup_uniformILi128ELi8ELi2EEvPfPK15HIP_vector_typeIfLj2EEiiiiiiS1_IjLj3EES5_S5_ ; -- Begin function _ZL33flash_attn_stream_k_fixup_uniformILi128ELi8ELi2EEvPfPK15HIP_vector_typeIfLj2EEiiiiiiS1_IjLj3EES5_S5_
	.p2align	8
	.type	_ZL33flash_attn_stream_k_fixup_uniformILi128ELi8ELi2EEvPfPK15HIP_vector_typeIfLj2EEiiiiiiS1_IjLj3EES5_S5_,@function
_ZL33flash_attn_stream_k_fixup_uniformILi128ELi8ELi2EEvPfPK15HIP_vector_typeIfLj2EEiiiiiiS1_IjLj3EES5_S5_: ; @_ZL33flash_attn_stream_k_fixup_uniformILi128ELi8ELi2EEvPfPK15HIP_vector_typeIfLj2EEiiiiiiS1_IjLj3EES5_S5_
; %bb.0:
	s_load_dwordx8 s[12:19], s[4:5], 0x1c
	s_load_dwordx2 s[10:11], s[4:5], 0x10
	s_load_dwordx4 s[0:3], s[4:5], 0x3c
	s_waitcnt lgkmcnt(0)
	s_mul_hi_u32 s9, s15, s6
	s_add_i32 s9, s6, s9
	s_lshr_b32 s9, s9, s16
	s_mul_i32 s15, s9, s17
	s_sub_i32 s15, s6, s15
	s_mul_hi_u32 s16, s15, s18
	s_add_i32 s16, s15, s16
	s_lshr_b32 s16, s16, s19
	s_mul_i32 s0, s16, s0
	s_sub_i32 s0, s15, s0
	s_mul_hi_u32 s1, s0, s1
	s_add_i32 s1, s0, s1
	s_lshr_b32 s1, s1, s2
	s_mul_i32 s2, s1, s3
	s_sub_i32 s17, s0, s2
	s_lshl_b32 s0, s17, 3
	s_lshl_b32 s15, s1, 1
	s_add_i32 s0, s0, s7
	s_cmp_lt_i32 s0, s10
	s_cselect_b64 s[0:1], -1, 0
	s_add_i32 s2, s15, s8
	s_cmp_lt_i32 s2, s13
	s_cselect_b64 s[2:3], -1, 0
	s_and_b64 s[0:1], s[0:1], s[2:3]
	s_andn2_b64 vcc, exec, s[0:1]
	s_cbranch_vccnz .LBB41_6
; %bb.1:
	s_load_dwordx4 s[0:3], s[4:5], 0x0
	s_mul_i32 s4, s9, s10
	s_add_i32 s4, s4, s7
	s_mul_i32 s4, s4, s11
	s_mul_i32 s16, s16, s13
	s_add_i32 s4, s4, s8
	s_add_i32 s4, s4, s16
	s_mul_i32 s5, s11, s17
	s_add_i32 s4, s4, s15
	s_lshl_b32 s5, s5, 10
	s_lshl_b32 s4, s4, 7
	s_add_i32 s5, s5, s4
	v_or_b32_e32 v1, s5, v0
	v_ashrrev_i32_e32 v2, 31, v1
	v_lshlrev_b64 v[1:2], 2, v[1:2]
	s_waitcnt lgkmcnt(0)
	v_mov_b32_e32 v3, s1
	v_add_co_u32_e32 v1, vcc, s0, v1
	v_addc_co_u32_e32 v2, vcc, v3, v2, vcc
	global_load_dword v8, v[1:2], off
	s_mul_i32 s9, s14, s6
	s_lshl_b32 s4, s7, 1
	s_add_i32 s11, s9, s14
	s_add_i32 s0, s4, s8
	s_lshl_b32 s1, s11, 4
	s_add_i32 s0, s0, s1
	s_add_i32 s0, s0, -16
	s_ashr_i32 s1, s0, 31
	s_lshl_b64 s[0:1], s[0:1], 3
	s_add_u32 s0, s2, s0
	s_addc_u32 s1, s3, s1
	s_load_dword s5, s[0:1], 0x4
	s_add_i32 s10, s11, -2
	s_cmp_lt_i32 s10, s9
	s_cbranch_scc1 .LBB41_4
; %bb.2:
	s_lshl_b32 s16, s12, 6
	s_ashr_i32 s17, s16, 31
	s_lshl_b64 s[16:17], s[16:17], 2
	s_add_u32 s10, s2, s16
	s_addc_u32 s13, s3, s17
	s_add_i32 s6, s6, 1
	s_load_dword s0, s[0:1], 0x0
	s_mul_i32 s1, s14, s6
	s_lshl_b32 s7, s7, 8
	s_lshl_b32 s14, s8, 7
	;; [unrolled: 1-line block ×3, first 2 shown]
	s_add_i32 s7, s14, s7
	s_lshl_b32 s1, s1, 4
	s_add_i32 s7, s7, s6
	s_add_i32 s1, s8, s1
	s_lshl_b32 s6, s12, 4
	s_add_i32 s1, s1, s6
	v_or_b32_e32 v0, s7, v0
	s_add_i32 s1, s1, s4
	s_add_i32 s11, s11, -1
	v_add_u32_e32 v3, 0xfffff000, v0
	s_sub_i32 s4, s1, 32
	s_waitcnt lgkmcnt(0)
	v_mov_b32_e32 v7, s5
	v_mov_b32_e32 v6, s0
	v_mov_b32_e32 v0, s13
	s_mov_b32 s6, 0x3fb8aa3b
	s_mov_b32 s7, 0xc2ce8ed0
	;; [unrolled: 1-line block ×3, first 2 shown]
	v_mov_b32_e32 v5, 0x7f800000
	s_mov_b32 s12, 0xc1a00000
.LBB41_3:                               ; =>This Inner Loop Header: Depth=1
	v_ashrrev_i32_e32 v4, 31, v3
	v_lshlrev_b64 v[9:10], 2, v[3:4]
	s_ashr_i32 s5, s4, 31
	v_add_co_u32_e32 v9, vcc, s10, v9
	v_addc_co_u32_e32 v10, vcc, v0, v10, vcc
	global_load_dword v4, v[9:10], off
	s_lshl_b64 s[0:1], s[4:5], 3
	s_add_u32 s0, s2, s0
	s_addc_u32 s1, s3, s1
	s_load_dwordx2 s[14:15], s[0:1], 0x0
	s_waitcnt vmcnt(1)
	v_mov_b32_e32 v9, v8
	v_max_f32_e32 v8, v6, v6
	v_mov_b32_e32 v10, v7
	s_add_i32 s11, s11, -1
	s_waitcnt lgkmcnt(0)
	v_max_f32_e64 v7, s14, s14
	v_max_f32_e32 v7, v8, v7
	v_sub_f32_e32 v11, s14, v7
	v_sub_f32_e32 v8, v6, v7
	v_mul_f32_e32 v12, 0x3fb8aa3b, v11
	v_mov_b32_e32 v6, v7
	v_mul_f32_e32 v7, 0x3fb8aa3b, v8
	v_fma_f32 v15, v11, s6, -v12
	v_rndne_f32_e32 v16, v12
	v_fma_f32 v13, v8, s6, -v7
	v_rndne_f32_e32 v14, v7
	v_fmac_f32_e32 v15, 0x32a5705f, v11
	v_sub_f32_e32 v12, v12, v16
	v_fmac_f32_e32 v13, 0x32a5705f, v8
	v_sub_f32_e32 v7, v7, v14
	v_add_f32_e32 v12, v12, v15
	v_cvt_i32_f32_e32 v16, v16
	v_add_f32_e32 v7, v7, v13
	v_exp_f32_e32 v12, v12
	v_cvt_i32_f32_e32 v14, v14
	v_exp_f32_e32 v7, v7
	v_cmp_ngt_f32_e32 vcc, s7, v11
	v_ldexp_f32 v12, v12, v16
	v_cmp_ngt_f32_e64 s[0:1], s7, v8
	v_ldexp_f32 v7, v7, v14
	v_cndmask_b32_e32 v12, 0, v12, vcc
	v_cmp_nlt_f32_e32 vcc, s8, v11
	v_cndmask_b32_e64 v7, 0, v7, s[0:1]
	v_cmp_nlt_f32_e64 s[0:1], s8, v8
	v_cndmask_b32_e32 v12, v5, v12, vcc
	v_cmp_le_f32_e32 vcc, s12, v11
	v_cndmask_b32_e64 v7, v5, v7, s[0:1]
	v_cmp_le_f32_e64 s[0:1], s12, v8
	v_cndmask_b32_e32 v8, 0, v12, vcc
	s_add_i32 s4, s4, -16
	v_cndmask_b32_e64 v11, 0, v7, s[0:1]
	v_mul_f32_e32 v7, s15, v8
	v_add_u32_e32 v3, 0xfffff800, v3
	s_cmp_le_i32 s11, s9
	v_fmac_f32_e32 v7, v10, v11
	s_waitcnt vmcnt(0)
	v_mul_f32_e32 v8, v4, v8
	v_fmac_f32_e32 v8, v9, v11
	s_cbranch_scc0 .LBB41_3
	s_branch .LBB41_5
.LBB41_4:
	s_waitcnt lgkmcnt(0)
	v_mov_b32_e32 v7, s5
.LBB41_5:
	s_waitcnt vmcnt(0)
	v_div_scale_f32 v0, s[0:1], v7, v7, v8
	v_div_scale_f32 v3, vcc, v8, v7, v8
	v_rcp_f32_e32 v4, v0
	v_fma_f32 v5, -v0, v4, 1.0
	v_fmac_f32_e32 v4, v5, v4
	v_mul_f32_e32 v5, v3, v4
	v_fma_f32 v6, -v0, v5, v3
	v_fmac_f32_e32 v5, v6, v4
	v_fma_f32 v0, -v0, v5, v3
	v_div_fmas_f32 v0, v0, v4, v5
	v_div_fixup_f32 v0, v0, v7, v8
	global_store_dword v[1:2], v0, off
.LBB41_6:
	s_endpgm
	.section	.rodata,"a",@progbits
	.p2align	6, 0x0
	.amdhsa_kernel _ZL33flash_attn_stream_k_fixup_uniformILi128ELi8ELi2EEvPfPK15HIP_vector_typeIfLj2EEiiiiiiS1_IjLj3EES5_S5_
		.amdhsa_group_segment_fixed_size 0
		.amdhsa_private_segment_fixed_size 0
		.amdhsa_kernarg_size 76
		.amdhsa_user_sgpr_count 6
		.amdhsa_user_sgpr_private_segment_buffer 1
		.amdhsa_user_sgpr_dispatch_ptr 0
		.amdhsa_user_sgpr_queue_ptr 0
		.amdhsa_user_sgpr_kernarg_segment_ptr 1
		.amdhsa_user_sgpr_dispatch_id 0
		.amdhsa_user_sgpr_flat_scratch_init 0
		.amdhsa_user_sgpr_private_segment_size 0
		.amdhsa_uses_dynamic_stack 0
		.amdhsa_system_sgpr_private_segment_wavefront_offset 0
		.amdhsa_system_sgpr_workgroup_id_x 1
		.amdhsa_system_sgpr_workgroup_id_y 1
		.amdhsa_system_sgpr_workgroup_id_z 1
		.amdhsa_system_sgpr_workgroup_info 0
		.amdhsa_system_vgpr_workitem_id 0
		.amdhsa_next_free_vgpr 17
		.amdhsa_next_free_sgpr 20
		.amdhsa_reserve_vcc 1
		.amdhsa_reserve_flat_scratch 0
		.amdhsa_float_round_mode_32 0
		.amdhsa_float_round_mode_16_64 0
		.amdhsa_float_denorm_mode_32 3
		.amdhsa_float_denorm_mode_16_64 3
		.amdhsa_dx10_clamp 1
		.amdhsa_ieee_mode 1
		.amdhsa_fp16_overflow 0
		.amdhsa_exception_fp_ieee_invalid_op 0
		.amdhsa_exception_fp_denorm_src 0
		.amdhsa_exception_fp_ieee_div_zero 0
		.amdhsa_exception_fp_ieee_overflow 0
		.amdhsa_exception_fp_ieee_underflow 0
		.amdhsa_exception_fp_ieee_inexact 0
		.amdhsa_exception_int_div_zero 0
	.end_amdhsa_kernel
	.section	.text._ZL33flash_attn_stream_k_fixup_uniformILi128ELi8ELi2EEvPfPK15HIP_vector_typeIfLj2EEiiiiiiS1_IjLj3EES5_S5_,"axG",@progbits,_ZL33flash_attn_stream_k_fixup_uniformILi128ELi8ELi2EEvPfPK15HIP_vector_typeIfLj2EEiiiiiiS1_IjLj3EES5_S5_,comdat
.Lfunc_end41:
	.size	_ZL33flash_attn_stream_k_fixup_uniformILi128ELi8ELi2EEvPfPK15HIP_vector_typeIfLj2EEiiiiiiS1_IjLj3EES5_S5_, .Lfunc_end41-_ZL33flash_attn_stream_k_fixup_uniformILi128ELi8ELi2EEvPfPK15HIP_vector_typeIfLj2EEiiiiiiS1_IjLj3EES5_S5_
                                        ; -- End function
	.set _ZL33flash_attn_stream_k_fixup_uniformILi128ELi8ELi2EEvPfPK15HIP_vector_typeIfLj2EEiiiiiiS1_IjLj3EES5_S5_.num_vgpr, 17
	.set _ZL33flash_attn_stream_k_fixup_uniformILi128ELi8ELi2EEvPfPK15HIP_vector_typeIfLj2EEiiiiiiS1_IjLj3EES5_S5_.num_agpr, 0
	.set _ZL33flash_attn_stream_k_fixup_uniformILi128ELi8ELi2EEvPfPK15HIP_vector_typeIfLj2EEiiiiiiS1_IjLj3EES5_S5_.numbered_sgpr, 20
	.set _ZL33flash_attn_stream_k_fixup_uniformILi128ELi8ELi2EEvPfPK15HIP_vector_typeIfLj2EEiiiiiiS1_IjLj3EES5_S5_.num_named_barrier, 0
	.set _ZL33flash_attn_stream_k_fixup_uniformILi128ELi8ELi2EEvPfPK15HIP_vector_typeIfLj2EEiiiiiiS1_IjLj3EES5_S5_.private_seg_size, 0
	.set _ZL33flash_attn_stream_k_fixup_uniformILi128ELi8ELi2EEvPfPK15HIP_vector_typeIfLj2EEiiiiiiS1_IjLj3EES5_S5_.uses_vcc, 1
	.set _ZL33flash_attn_stream_k_fixup_uniformILi128ELi8ELi2EEvPfPK15HIP_vector_typeIfLj2EEiiiiiiS1_IjLj3EES5_S5_.uses_flat_scratch, 0
	.set _ZL33flash_attn_stream_k_fixup_uniformILi128ELi8ELi2EEvPfPK15HIP_vector_typeIfLj2EEiiiiiiS1_IjLj3EES5_S5_.has_dyn_sized_stack, 0
	.set _ZL33flash_attn_stream_k_fixup_uniformILi128ELi8ELi2EEvPfPK15HIP_vector_typeIfLj2EEiiiiiiS1_IjLj3EES5_S5_.has_recursion, 0
	.set _ZL33flash_attn_stream_k_fixup_uniformILi128ELi8ELi2EEvPfPK15HIP_vector_typeIfLj2EEiiiiiiS1_IjLj3EES5_S5_.has_indirect_call, 0
	.section	.AMDGPU.csdata,"",@progbits
; Kernel info:
; codeLenInByte = 856
; TotalNumSgprs: 24
; NumVgprs: 17
; ScratchSize: 0
; MemoryBound: 0
; FloatMode: 240
; IeeeMode: 1
; LDSByteSize: 0 bytes/workgroup (compile time only)
; SGPRBlocks: 2
; VGPRBlocks: 4
; NumSGPRsForWavesPerEU: 24
; NumVGPRsForWavesPerEU: 17
; Occupancy: 10
; WaveLimiterHint : 0
; COMPUTE_PGM_RSRC2:SCRATCH_EN: 0
; COMPUTE_PGM_RSRC2:USER_SGPR: 6
; COMPUTE_PGM_RSRC2:TRAP_HANDLER: 0
; COMPUTE_PGM_RSRC2:TGID_X_EN: 1
; COMPUTE_PGM_RSRC2:TGID_Y_EN: 1
; COMPUTE_PGM_RSRC2:TGID_Z_EN: 1
; COMPUTE_PGM_RSRC2:TIDIG_COMP_CNT: 0
	.section	.text._ZL33flash_attn_stream_k_fixup_generalILi128ELi8ELi2EEvPfPK15HIP_vector_typeIfLj2EEiiiiS1_IjLj3EES5_S5_S5_,"axG",@progbits,_ZL33flash_attn_stream_k_fixup_generalILi128ELi8ELi2EEvPfPK15HIP_vector_typeIfLj2EEiiiiS1_IjLj3EES5_S5_S5_,comdat
	.globl	_ZL33flash_attn_stream_k_fixup_generalILi128ELi8ELi2EEvPfPK15HIP_vector_typeIfLj2EEiiiiS1_IjLj3EES5_S5_S5_ ; -- Begin function _ZL33flash_attn_stream_k_fixup_generalILi128ELi8ELi2EEvPfPK15HIP_vector_typeIfLj2EEiiiiS1_IjLj3EES5_S5_S5_
	.p2align	8
	.type	_ZL33flash_attn_stream_k_fixup_generalILi128ELi8ELi2EEvPfPK15HIP_vector_typeIfLj2EEiiiiS1_IjLj3EES5_S5_S5_,@function
_ZL33flash_attn_stream_k_fixup_generalILi128ELi8ELi2EEvPfPK15HIP_vector_typeIfLj2EEiiiiS1_IjLj3EES5_S5_S5_: ; @_ZL33flash_attn_stream_k_fixup_generalILi128ELi8ELi2EEvPfPK15HIP_vector_typeIfLj2EEiiiiS1_IjLj3EES5_S5_S5_
; %bb.0:
	s_load_dwordx4 s[0:3], s[4:5], 0x10
	s_load_dword s22, s[4:5], 0x50
	s_mov_b32 s12, 0
	s_waitcnt lgkmcnt(0)
	s_mul_hi_i32 s13, s3, s6
	s_cmp_lg_u64 s[12:13], 0
	s_mul_i32 s9, s3, s6
	s_cbranch_scc0 .LBB42_20
; %bb.1:
	s_add_u32 s10, s22, 0
	s_addc_u32 s11, 0, 0
	s_xor_b64 s[10:11], s[10:11], 0
	v_cvt_f32_u32_e32 v1, s10
	v_cvt_f32_u32_e32 v2, s11
	s_sub_u32 s12, 0, s10
	s_subb_u32 s18, 0, s11
	v_madmk_f32 v1, v2, 0x4f800000, v1
	v_rcp_f32_e32 v1, v1
	v_mul_f32_e32 v1, 0x5f7ffffc, v1
	v_mul_f32_e32 v2, 0x2f800000, v1
	v_trunc_f32_e32 v2, v2
	v_madmk_f32 v1, v2, 0xcf800000, v1
	v_cvt_u32_f32_e32 v2, v2
	v_cvt_u32_f32_e32 v1, v1
	v_readfirstlane_b32 s19, v2
	v_readfirstlane_b32 s14, v1
	s_mul_i32 s15, s12, s19
	s_mul_hi_u32 s21, s12, s14
	s_mul_i32 s20, s18, s14
	s_add_i32 s15, s21, s15
	s_add_i32 s15, s15, s20
	s_mul_i32 s23, s12, s14
	s_mul_i32 s21, s14, s15
	s_mul_hi_u32 s24, s14, s23
	s_mul_hi_u32 s20, s14, s15
	s_add_u32 s21, s24, s21
	s_addc_u32 s20, 0, s20
	s_mul_hi_u32 s25, s19, s23
	s_mul_i32 s23, s19, s23
	s_add_u32 s21, s21, s23
	s_mul_hi_u32 s24, s19, s15
	s_addc_u32 s20, s20, s25
	s_addc_u32 s21, s24, 0
	s_mul_i32 s15, s19, s15
	s_add_u32 s15, s20, s15
	s_addc_u32 s20, 0, s21
	s_add_u32 s21, s14, s15
	s_cselect_b64 s[14:15], -1, 0
	s_cmp_lg_u64 s[14:15], 0
	s_addc_u32 s19, s19, s20
	s_mul_i32 s14, s12, s19
	s_mul_hi_u32 s15, s12, s21
	s_add_i32 s14, s15, s14
	s_mul_i32 s18, s18, s21
	s_add_i32 s14, s14, s18
	s_mul_i32 s12, s12, s21
	s_mul_hi_u32 s18, s19, s12
	s_mul_i32 s20, s19, s12
	s_mul_i32 s24, s21, s14
	s_mul_hi_u32 s12, s21, s12
	s_mul_hi_u32 s23, s21, s14
	s_add_u32 s12, s12, s24
	s_addc_u32 s23, 0, s23
	s_add_u32 s12, s12, s20
	s_mul_hi_u32 s15, s19, s14
	s_addc_u32 s12, s23, s18
	s_addc_u32 s15, s15, 0
	s_mul_i32 s14, s19, s14
	s_add_u32 s12, s12, s14
	s_addc_u32 s18, 0, s15
	s_add_u32 s20, s21, s12
	s_cselect_b64 s[14:15], -1, 0
	s_cmp_lg_u64 s[14:15], 0
	s_addc_u32 s18, s19, s18
	s_ashr_i32 s14, s13, 31
	s_add_u32 s12, s9, s14
	s_mov_b32 s15, s14
	s_addc_u32 s13, s13, s14
	s_xor_b64 s[12:13], s[12:13], s[14:15]
	s_mul_i32 s21, s12, s18
	s_mul_hi_u32 s23, s12, s20
	s_mul_hi_u32 s19, s12, s18
	s_add_u32 s21, s23, s21
	s_addc_u32 s19, 0, s19
	s_mul_hi_u32 s24, s13, s20
	s_mul_i32 s20, s13, s20
	s_add_u32 s20, s21, s20
	s_mul_hi_u32 s23, s13, s18
	s_addc_u32 s19, s19, s24
	s_addc_u32 s20, s23, 0
	s_mul_i32 s18, s13, s18
	s_add_u32 s23, s19, s18
	s_addc_u32 s24, 0, s20
	s_mul_i32 s18, s10, s24
	s_mul_hi_u32 s19, s10, s23
	s_add_i32 s18, s19, s18
	s_mul_i32 s19, s11, s23
	s_add_i32 s25, s18, s19
	s_sub_i32 s20, s13, s25
	s_mul_i32 s18, s10, s23
	s_sub_u32 s12, s12, s18
	s_cselect_b64 s[18:19], -1, 0
	s_cmp_lg_u64 s[18:19], 0
	s_subb_u32 s26, s20, s11
	s_sub_u32 s27, s12, s10
	s_cselect_b64 s[20:21], -1, 0
	s_cmp_lg_u64 s[20:21], 0
	s_subb_u32 s20, s26, 0
	s_cmp_ge_u32 s20, s11
	s_cselect_b32 s21, -1, 0
	s_cmp_ge_u32 s27, s10
	s_cselect_b32 s26, -1, 0
	s_cmp_eq_u32 s20, s11
	s_cselect_b32 s20, s26, s21
	s_add_u32 s21, s23, 1
	s_addc_u32 s26, s24, 0
	s_add_u32 s27, s23, 2
	s_addc_u32 s28, s24, 0
	s_cmp_lg_u32 s20, 0
	s_cselect_b32 s20, s27, s21
	s_cselect_b32 s21, s28, s26
	s_cmp_lg_u64 s[18:19], 0
	s_subb_u32 s13, s13, s25
	s_cmp_ge_u32 s13, s11
	s_cselect_b32 s18, -1, 0
	s_cmp_ge_u32 s12, s10
	s_cselect_b32 s10, -1, 0
	s_cmp_eq_u32 s13, s11
	s_cselect_b32 s10, s10, s18
	s_cmp_lg_u32 s10, 0
	s_cselect_b32 s11, s21, s24
	s_cselect_b32 s10, s20, s23
	s_xor_b64 s[12:13], s[14:15], 0
	s_xor_b64 s[10:11], s[10:11], s[12:13]
	s_sub_u32 s10, s10, s12
	s_load_dwordx4 s[12:15], s[4:5], 0x44
	s_cbranch_execnz .LBB42_3
.LBB42_2:
	v_cvt_f32_u32_e32 v1, s22
	s_sub_i32 s10, 0, s22
	v_rcp_iflag_f32_e32 v1, v1
	v_mul_f32_e32 v1, 0x4f7ffffe, v1
	v_cvt_u32_f32_e32 v1, v1
	v_readfirstlane_b32 s11, v1
	s_mul_i32 s10, s10, s11
	s_mul_hi_u32 s10, s11, s10
	s_add_i32 s11, s11, s10
	s_mul_hi_u32 s10, s9, s11
	s_waitcnt lgkmcnt(0)
	s_mul_i32 s15, s10, s22
	s_sub_i32 s9, s9, s15
	s_add_i32 s11, s10, 1
	s_sub_i32 s15, s9, s22
	s_cmp_ge_u32 s9, s22
	s_cselect_b32 s10, s11, s10
	s_cselect_b32 s9, s15, s9
	s_add_i32 s11, s10, 1
	s_cmp_ge_u32 s9, s22
	s_cselect_b32 s10, s11, s10
.LBB42_3:
	s_add_i32 s9, s6, 1
	s_mul_hi_i32 s21, s3, s9
	s_mov_b32 s20, 0
	s_cmp_lg_u64 s[20:21], 0
	s_mul_i32 s9, s3, s9
	s_cbranch_scc0 .LBB42_21
; %bb.4:
	s_add_u32 s16, s22, 0
	s_addc_u32 s17, 0, 0
	s_xor_b64 s[18:19], s[16:17], 0
	v_cvt_f32_u32_e32 v1, s18
	v_cvt_f32_u32_e32 v2, s19
	s_sub_u32 s11, 0, s18
	s_waitcnt lgkmcnt(0)
	s_subb_u32 s15, 0, s19
	v_madmk_f32 v1, v2, 0x4f800000, v1
	v_rcp_f32_e32 v1, v1
	v_mul_f32_e32 v1, 0x5f7ffffc, v1
	v_mul_f32_e32 v2, 0x2f800000, v1
	v_trunc_f32_e32 v2, v2
	v_madmk_f32 v1, v2, 0xcf800000, v1
	v_cvt_u32_f32_e32 v2, v2
	v_cvt_u32_f32_e32 v1, v1
	v_readfirstlane_b32 s20, v2
	v_readfirstlane_b32 s23, v1
	s_mul_i32 s24, s11, s20
	s_mul_hi_u32 s26, s11, s23
	s_mul_i32 s25, s15, s23
	s_add_i32 s24, s26, s24
	s_add_i32 s24, s24, s25
	s_mul_i32 s27, s11, s23
	s_mul_i32 s26, s23, s24
	s_mul_hi_u32 s28, s23, s27
	s_mul_hi_u32 s25, s23, s24
	s_add_u32 s26, s28, s26
	s_addc_u32 s25, 0, s25
	s_mul_hi_u32 s29, s20, s27
	s_mul_i32 s27, s20, s27
	s_add_u32 s26, s26, s27
	s_mul_hi_u32 s28, s20, s24
	s_addc_u32 s25, s25, s29
	s_addc_u32 s26, s28, 0
	s_mul_i32 s24, s20, s24
	s_add_u32 s24, s25, s24
	s_addc_u32 s26, 0, s26
	s_add_u32 s23, s23, s24
	s_cselect_b64 s[24:25], -1, 0
	s_cmp_lg_u64 s[24:25], 0
	s_addc_u32 s20, s20, s26
	s_mul_i32 s24, s11, s20
	s_mul_hi_u32 s25, s11, s23
	s_add_i32 s24, s25, s24
	s_mul_i32 s15, s15, s23
	s_add_i32 s24, s24, s15
	s_mul_i32 s11, s11, s23
	s_mul_hi_u32 s25, s20, s11
	s_mul_i32 s26, s20, s11
	s_mul_i32 s28, s23, s24
	s_mul_hi_u32 s11, s23, s11
	s_mul_hi_u32 s27, s23, s24
	s_add_u32 s11, s11, s28
	s_addc_u32 s27, 0, s27
	s_add_u32 s11, s11, s26
	s_mul_hi_u32 s15, s20, s24
	s_addc_u32 s11, s27, s25
	s_addc_u32 s15, s15, 0
	s_mul_i32 s24, s20, s24
	s_add_u32 s11, s11, s24
	s_addc_u32 s15, 0, s15
	s_add_u32 s11, s23, s11
	s_cselect_b64 s[24:25], -1, 0
	s_cmp_lg_u64 s[24:25], 0
	s_addc_u32 s15, s20, s15
	s_ashr_i32 s24, s21, 31
	s_add_u32 s20, s9, s24
	s_mov_b32 s25, s24
	s_addc_u32 s21, s21, s24
	s_xor_b64 s[20:21], s[20:21], s[24:25]
	s_mul_i32 s26, s20, s15
	s_mul_hi_u32 s27, s20, s11
	s_mul_hi_u32 s23, s20, s15
	s_add_u32 s26, s27, s26
	s_addc_u32 s23, 0, s23
	s_mul_hi_u32 s28, s21, s11
	s_mul_i32 s11, s21, s11
	s_add_u32 s11, s26, s11
	s_mul_hi_u32 s27, s21, s15
	s_addc_u32 s11, s23, s28
	s_addc_u32 s23, s27, 0
	s_mul_i32 s15, s21, s15
	s_add_u32 s11, s11, s15
	s_addc_u32 s15, 0, s23
	s_mul_i32 s23, s18, s15
	s_mul_hi_u32 s26, s18, s11
	s_add_i32 s23, s26, s23
	s_mul_i32 s26, s19, s11
	s_add_i32 s23, s23, s26
	s_sub_i32 s28, s21, s23
	s_mul_i32 s26, s18, s11
	s_sub_u32 s20, s20, s26
	s_cselect_b64 s[26:27], -1, 0
	s_cmp_lg_u64 s[26:27], 0
	s_subb_u32 s30, s28, s19
	s_sub_u32 s31, s20, s18
	s_cselect_b64 s[28:29], -1, 0
	s_cmp_lg_u64 s[28:29], 0
	s_subb_u32 s28, s30, 0
	s_cmp_ge_u32 s28, s19
	s_cselect_b32 s29, -1, 0
	s_cmp_ge_u32 s31, s18
	s_cselect_b32 s30, -1, 0
	s_cmp_eq_u32 s28, s19
	s_cselect_b32 s28, s30, s29
	s_add_u32 s29, s11, 1
	s_addc_u32 s30, s15, 0
	s_add_u32 s31, s11, 2
	s_addc_u32 s33, s15, 0
	s_cmp_lg_u32 s28, 0
	s_cselect_b32 s28, s31, s29
	s_cselect_b32 s29, s33, s30
	s_cmp_lg_u64 s[26:27], 0
	s_subb_u32 s21, s21, s23
	s_cmp_ge_u32 s21, s19
	s_cselect_b32 s23, -1, 0
	s_cmp_ge_u32 s20, s18
	s_cselect_b32 s18, -1, 0
	s_cmp_eq_u32 s21, s19
	s_cselect_b32 s18, s18, s23
	s_cmp_lg_u32 s18, 0
	s_cselect_b32 s19, s29, s15
	s_cselect_b32 s18, s28, s11
	s_xor_b64 s[20:21], s[24:25], 0
	s_xor_b64 s[18:19], s[18:19], s[20:21]
	s_sub_u32 s18, s18, s20
	s_cbranch_execnz .LBB42_6
.LBB42_5:
	v_cvt_f32_u32_e32 v1, s22
	s_sub_i32 s11, 0, s22
	v_rcp_iflag_f32_e32 v1, v1
	v_mul_f32_e32 v1, 0x4f7ffffe, v1
	v_cvt_u32_f32_e32 v1, v1
	s_waitcnt lgkmcnt(0)
	v_readfirstlane_b32 s15, v1
	s_mul_i32 s11, s11, s15
	s_mul_hi_u32 s11, s15, s11
	s_add_i32 s15, s15, s11
	s_mul_hi_u32 s11, s9, s15
	s_mul_i32 s16, s11, s22
	s_sub_i32 s9, s9, s16
	s_add_i32 s15, s11, 1
	s_sub_i32 s16, s9, s22
	s_cmp_ge_u32 s9, s22
	s_cselect_b32 s11, s15, s11
	s_cselect_b32 s9, s16, s9
	s_add_i32 s15, s11, 1
	s_cmp_ge_u32 s9, s22
	s_cselect_b32 s18, s15, s11
.LBB42_6:
	s_cmp_eq_u32 s10, s18
	s_waitcnt lgkmcnt(0)
	s_mul_hi_u32 s9, s10, s12
	s_cselect_b64 s[16:17], -1, 0
	s_add_i32 s9, s9, s10
	s_lshr_b32 s11, s9, s13
	s_mul_i32 s9, s11, s14
	s_cmp_eq_u32 s9, s10
	s_mul_hi_u32 s9, s18, s12
	s_cselect_b64 s[20:21], -1, 0
	s_add_i32 s9, s9, s18
	s_lshr_b32 s9, s9, s13
	s_cmp_eq_u32 s11, s9
	s_mul_i32 s9, s9, s14
	s_cselect_b64 s[24:25], -1, 0
	s_cmp_lg_u32 s9, s18
	s_cselect_b64 s[18:19], -1, 0
	s_and_b64 s[18:19], s[24:25], s[18:19]
	s_or_b64 s[16:17], s[16:17], s[20:21]
	s_or_b64 s[16:17], s[16:17], s[18:19]
	s_and_b64 vcc, exec, s[16:17]
	s_cbranch_vccnz .LBB42_23
; %bb.7:
	s_load_dwordx8 s[24:31], s[4:5], 0x20
	s_load_dword s15, s[4:5], 0x40
	s_waitcnt lgkmcnt(0)
	s_mul_hi_u32 s9, s10, s24
	s_add_i32 s9, s9, s10
	s_lshr_b32 s9, s9, s25
	s_mul_i32 s16, s9, s26
	s_sub_i32 s16, s10, s16
	s_mul_hi_u32 s17, s16, s27
	s_add_i32 s17, s16, s17
	s_lshr_b32 s23, s17, s28
	s_mul_i32 s17, s23, s29
	s_sub_i32 s16, s16, s17
	;; [unrolled: 5-line block ×3, first 2 shown]
	s_mul_hi_u32 s16, s15, s12
	s_add_i32 s15, s15, s16
	s_lshr_b32 s25, s15, s13
	s_lshl_b32 s15, s25, 3
	s_lshl_b32 s24, s17, 1
	s_add_i32 s15, s15, s7
	s_cmp_lt_i32 s15, s0
	s_cselect_b64 s[16:17], -1, 0
	s_add_i32 s15, s24, s8
	s_cmp_lt_i32 s15, s2
	s_cselect_b64 s[18:19], -1, 0
	s_and_b64 s[16:17], s[16:17], s[18:19]
	s_andn2_b64 vcc, exec, s[16:17]
	s_cbranch_vccnz .LBB42_23
; %bb.8:
	s_load_dwordx4 s[16:19], s[4:5], 0x0
	s_mov_b32 s4, 0
	s_lshl_b32 s15, s7, 1
	s_lshl_b32 s20, s22, 6
	s_mov_b32 s21, s4
	s_add_i32 s15, s15, s8
	s_lshl_b64 s[20:21], s[20:21], 2
	s_waitcnt lgkmcnt(0)
	s_add_u32 s20, s18, s20
	s_mul_i32 s0, s9, s0
	s_addc_u32 s21, s19, s21
	s_add_i32 s0, s0, s7
	s_mul_i32 s0, s0, s1
	s_mul_i32 s23, s23, s2
	s_add_i32 s0, s0, s8
	s_add_i32 s0, s0, s23
	s_mul_i32 s2, s1, s25
	s_add_i32 s0, s0, s24
	s_lshl_b32 s2, s2, 10
	s_lshl_b32 s0, s0, 7
	s_add_i32 s2, s2, s0
	v_or_b32_e32 v1, s2, v0
	v_ashrrev_i32_e32 v2, 31, v1
	v_lshlrev_b64 v[1:2], 2, v[1:2]
	v_mov_b32_e32 v3, s17
	v_add_co_u32_e32 v1, vcc, s16, v1
	v_addc_co_u32_e32 v2, vcc, v3, v2, vcc
	global_load_dword v3, v[1:2], off
	v_cvt_f32_u32_e32 v4, s22
	s_lshl_b32 s0, s6, 4
	s_add_i32 s0, s15, s0
	s_ashr_i32 s1, s0, 31
	s_lshl_b64 s[0:1], s[0:1], 3
	v_rcp_iflag_f32_e32 v4, v4
	s_add_u32 s0, s18, s0
	s_addc_u32 s1, s19, s1
	s_load_dwordx2 s[0:1], s[0:1], 0x0
	v_mul_f32_e32 v4, 0x4f7ffffe, v4
	v_cvt_u32_f32_e32 v4, v4
	s_add_i32 s24, s6, -1
	v_lshl_or_b32 v0, s15, 7, v0
	s_waitcnt lgkmcnt(0)
	v_mov_b32_e32 v6, s1
	v_mov_b32_e32 v7, s0
	s_mov_b32 s2, 0x3fb8aa3b
	s_mov_b32 s16, 0xc2ce8ed0
	;; [unrolled: 1-line block ×4, first 2 shown]
	v_mov_b32_e32 v5, 0x7f800000
	s_mul_hi_i32 s5, s24, s3
	s_cmp_lg_u64 s[4:5], 0
	s_mul_i32 s8, s24, s3
	s_cbranch_scc0 .LBB42_19
.LBB42_9:
	s_add_u32 s0, s22, 0
	s_addc_u32 s1, 0, 0
	s_xor_b64 s[0:1], s[0:1], 0
	v_cvt_f32_u32_e32 v8, s0
	v_cvt_f32_u32_e32 v9, s1
	s_sub_u32 s9, 0, s0
	s_subb_u32 s25, 0, s1
	v_mac_f32_e32 v8, 0x4f800000, v9
	v_rcp_f32_e32 v8, v8
	v_mul_f32_e32 v8, 0x5f7ffffc, v8
	v_mul_f32_e32 v9, 0x2f800000, v8
	v_trunc_f32_e32 v9, v9
	v_mac_f32_e32 v8, 0xcf800000, v9
	v_cvt_u32_f32_e32 v9, v9
	v_cvt_u32_f32_e32 v8, v8
	v_readfirstlane_b32 s26, v9
	v_readfirstlane_b32 s6, v8
	s_mul_i32 s7, s9, s26
	s_mul_hi_u32 s28, s9, s6
	s_mul_i32 s27, s25, s6
	s_add_i32 s7, s28, s7
	s_mul_i32 s29, s9, s6
	s_add_i32 s7, s7, s27
	s_mul_i32 s28, s6, s7
	s_mul_hi_u32 s30, s6, s29
	s_mul_hi_u32 s27, s6, s7
	s_add_u32 s28, s30, s28
	s_addc_u32 s27, 0, s27
	s_mul_hi_u32 s31, s26, s29
	s_mul_i32 s29, s26, s29
	s_add_u32 s28, s28, s29
	s_mul_hi_u32 s30, s26, s7
	s_addc_u32 s27, s27, s31
	s_addc_u32 s28, s30, 0
	s_mul_i32 s7, s26, s7
	s_add_u32 s7, s27, s7
	s_addc_u32 s27, 0, s28
	s_add_u32 s28, s6, s7
	s_cselect_b64 s[6:7], -1, 0
	s_cmp_lg_u64 s[6:7], 0
	s_addc_u32 s26, s26, s27
	s_mul_i32 s6, s9, s26
	s_mul_hi_u32 s7, s9, s28
	s_add_i32 s6, s7, s6
	s_mul_i32 s25, s25, s28
	s_add_i32 s6, s6, s25
	s_mul_i32 s9, s9, s28
	s_mul_hi_u32 s25, s26, s9
	s_mul_i32 s27, s26, s9
	s_mul_i32 s30, s28, s6
	s_mul_hi_u32 s9, s28, s9
	s_mul_hi_u32 s29, s28, s6
	s_add_u32 s9, s9, s30
	s_addc_u32 s29, 0, s29
	s_add_u32 s9, s9, s27
	s_mul_hi_u32 s7, s26, s6
	s_addc_u32 s9, s29, s25
	s_addc_u32 s7, s7, 0
	s_mul_i32 s6, s26, s6
	s_add_u32 s6, s9, s6
	s_addc_u32 s9, 0, s7
	s_add_u32 s25, s28, s6
	s_cselect_b64 s[6:7], -1, 0
	s_cmp_lg_u64 s[6:7], 0
	s_addc_u32 s9, s26, s9
	s_ashr_i32 s6, s5, 31
	s_add_u32 s26, s8, s6
	s_mov_b32 s7, s6
	s_addc_u32 s27, s5, s6
	s_xor_b64 s[26:27], s[26:27], s[6:7]
	s_mul_i32 s28, s26, s9
	s_mul_hi_u32 s29, s26, s25
	s_mul_hi_u32 s5, s26, s9
	s_add_u32 s28, s29, s28
	s_addc_u32 s5, 0, s5
	s_mul_hi_u32 s30, s27, s25
	s_mul_i32 s25, s27, s25
	s_add_u32 s25, s28, s25
	s_mul_hi_u32 s29, s27, s9
	s_addc_u32 s5, s5, s30
	s_addc_u32 s25, s29, 0
	s_mul_i32 s9, s27, s9
	s_add_u32 s5, s5, s9
	s_addc_u32 s9, 0, s25
	s_mul_i32 s25, s0, s9
	s_mul_hi_u32 s28, s0, s5
	s_add_i32 s25, s28, s25
	s_mul_i32 s28, s1, s5
	s_add_i32 s25, s25, s28
	s_sub_i32 s30, s27, s25
	s_mul_i32 s28, s0, s5
	s_sub_u32 s26, s26, s28
	s_cselect_b64 s[28:29], -1, 0
	s_cmp_lg_u64 s[28:29], 0
	s_subb_u32 s33, s30, s1
	s_sub_u32 s34, s26, s0
	s_cselect_b64 s[30:31], -1, 0
	s_cmp_lg_u64 s[30:31], 0
	s_subb_u32 s30, s33, 0
	s_cmp_ge_u32 s30, s1
	s_cselect_b32 s31, -1, 0
	s_cmp_ge_u32 s34, s0
	s_cselect_b32 s33, -1, 0
	s_cmp_eq_u32 s30, s1
	s_cselect_b32 s30, s33, s31
	s_add_u32 s31, s5, 1
	s_addc_u32 s33, s9, 0
	s_add_u32 s34, s5, 2
	s_addc_u32 s35, s9, 0
	s_cmp_lg_u32 s30, 0
	s_cselect_b32 s30, s34, s31
	s_cselect_b32 s31, s35, s33
	s_cmp_lg_u64 s[28:29], 0
	s_subb_u32 s25, s27, s25
	s_cmp_ge_u32 s25, s1
	s_cselect_b32 s27, -1, 0
	s_cmp_ge_u32 s26, s0
	s_cselect_b32 s0, -1, 0
	s_cmp_eq_u32 s25, s1
	s_cselect_b32 s0, s0, s27
	s_cmp_lg_u32 s0, 0
	s_cselect_b32 s1, s31, s9
	s_cselect_b32 s0, s30, s5
	s_xor_b64 s[6:7], s[6:7], 0
	s_xor_b64 s[0:1], s[0:1], s[6:7]
	s_sub_u32 s6, s0, s6
	s_cbranch_execnz .LBB42_11
.LBB42_10:
	s_sub_i32 s0, 0, s22
	v_readfirstlane_b32 s1, v4
	s_mul_i32 s0, s0, s1
	s_mul_hi_u32 s0, s1, s0
	s_add_i32 s1, s1, s0
	s_mul_hi_u32 s0, s8, s1
	s_mul_i32 s5, s0, s22
	s_sub_i32 s5, s8, s5
	s_add_i32 s1, s0, 1
	s_sub_i32 s6, s5, s22
	s_cmp_ge_u32 s5, s22
	s_cselect_b32 s0, s1, s0
	s_cselect_b32 s5, s6, s5
	s_add_i32 s1, s0, 1
	s_cmp_ge_u32 s5, s22
	s_cselect_b32 s6, s1, s0
.LBB42_11:
	s_cmp_lg_u32 s10, s6
	s_mov_b64 s[8:9], -1
                                        ; implicit-def: $sgpr0_sgpr1
                                        ; implicit-def: $vgpr10
                                        ; implicit-def: $vgpr8
                                        ; implicit-def: $vgpr9
                                        ; implicit-def: $sgpr5
                                        ; implicit-def: $sgpr7
	s_cbranch_scc1 .LBB42_14
; %bb.12:
	s_andn2_b64 vcc, exec, s[8:9]
	s_cbranch_vccz .LBB42_17
.LBB42_13:
	s_andn2_b64 vcc, exec, s[0:1]
	s_cbranch_vccnz .LBB42_18
	s_branch .LBB42_22
.LBB42_14:
	s_add_i32 s0, s24, s22
	s_lshl_b32 s0, s0, 4
	s_add_i32 s0, s0, s15
	s_mov_b32 s1, s4
	s_lshl_b64 s[0:1], s[0:1], 3
	s_add_u32 s8, s18, s0
	s_mul_hi_u32 s0, s6, s12
	s_addc_u32 s9, s19, s1
	s_add_i32 s0, s0, s6
	s_lshr_b32 s5, s0, s13
	s_mul_i32 s0, s5, s14
	s_cmp_eq_u32 s0, s6
	s_cselect_b64 s[0:1], -1, 0
	s_cmp_lt_u32 s5, s11
	s_cselect_b64 s[26:27], -1, 0
	s_or_b64 s[26:27], s[26:27], s[0:1]
	s_mov_b64 s[0:1], -1
	s_and_b64 vcc, exec, s[26:27]
	s_mov_b32 s5, s24
	s_mov_b32 s7, s10
	s_cbranch_vccnz .LBB42_16
; %bb.15:
	s_add_i32 s5, s24, -1
	s_mov_b64 s[0:1], 0
	s_mov_b32 s7, s6
.LBB42_16:
	v_lshl_add_u32 v8, s24, 11, v0
	v_ashrrev_i32_e32 v9, 31, v8
	v_lshlrev_b64 v[8:9], 2, v[8:9]
	v_mov_b32_e32 v10, s21
	v_add_co_u32_e32 v8, vcc, s20, v8
	v_addc_co_u32_e32 v9, vcc, v10, v9, vcc
	global_load_dword v10, v[8:9], off
	s_load_dwordx2 s[8:9], s[8:9], 0x0
	v_max_f32_e32 v8, v7, v7
	s_waitcnt lgkmcnt(0)
	v_max_f32_e64 v9, s8, s8
	v_max_f32_e32 v8, v8, v9
	v_sub_f32_e32 v9, v7, v8
	v_sub_f32_e32 v11, s8, v8
	v_mul_f32_e32 v12, 0x3fb8aa3b, v9
	v_mul_f32_e32 v13, 0x3fb8aa3b, v11
	v_fma_f32 v14, v9, s2, -v12
	v_rndne_f32_e32 v15, v12
	v_fma_f32 v16, v11, s2, -v13
	v_rndne_f32_e32 v17, v13
	v_fmac_f32_e32 v14, 0x32a5705f, v9
	v_sub_f32_e32 v12, v12, v15
	v_fmac_f32_e32 v16, 0x32a5705f, v11
	v_sub_f32_e32 v13, v13, v17
	v_add_f32_e32 v12, v12, v14
	v_cvt_i32_f32_e32 v15, v15
	v_add_f32_e32 v13, v13, v16
	v_exp_f32_e32 v12, v12
	v_cvt_i32_f32_e32 v17, v17
	v_exp_f32_e32 v13, v13
	v_cmp_ngt_f32_e32 vcc, s16, v9
	v_ldexp_f32 v12, v12, v15
	v_cndmask_b32_e32 v12, 0, v12, vcc
	v_ldexp_f32 v13, v13, v17
	v_cmp_ngt_f32_e32 vcc, s16, v11
	v_cndmask_b32_e32 v13, 0, v13, vcc
	v_cmp_nlt_f32_e32 vcc, s17, v9
	v_cndmask_b32_e32 v12, v5, v12, vcc
	v_cmp_nlt_f32_e32 vcc, s17, v11
	v_cndmask_b32_e32 v13, v5, v13, vcc
	v_cmp_le_f32_e32 vcc, s23, v9
	v_cndmask_b32_e32 v12, 0, v12, vcc
	v_cmp_le_f32_e32 vcc, s23, v11
	v_cndmask_b32_e32 v11, 0, v13, vcc
	v_mul_f32_e32 v9, s9, v11
	v_fmac_f32_e32 v9, v6, v12
	s_waitcnt vmcnt(0)
	v_mul_f32_e32 v10, v10, v11
	v_fmac_f32_e32 v10, v3, v12
	s_cbranch_execnz .LBB42_13
.LBB42_17:
	s_add_i32 s5, s24, -1
	s_mov_b32 s7, s10
	v_mov_b32_e32 v9, v6
	v_mov_b32_e32 v8, v7
	s_waitcnt vmcnt(0)
	v_mov_b32_e32 v10, v3
	s_cbranch_execz .LBB42_22
.LBB42_18:
	s_mov_b32 s10, s7
	s_mov_b32 s24, s5
	v_mov_b32_e32 v6, v9
	v_mov_b32_e32 v7, v8
	s_waitcnt vmcnt(0)
	v_mov_b32_e32 v3, v10
	s_mul_hi_i32 s5, s24, s3
	s_cmp_lg_u64 s[4:5], 0
	s_mul_i32 s8, s24, s3
	s_cbranch_scc1 .LBB42_9
.LBB42_19:
                                        ; implicit-def: $sgpr6_sgpr7
	s_branch .LBB42_10
.LBB42_20:
                                        ; implicit-def: $sgpr10_sgpr11
	s_load_dwordx4 s[12:15], s[4:5], 0x44
	s_branch .LBB42_2
.LBB42_21:
                                        ; implicit-def: $sgpr18_sgpr19
	s_branch .LBB42_5
.LBB42_22:
	v_div_scale_f32 v0, s[0:1], v9, v9, v10
	s_waitcnt vmcnt(0)
	v_div_scale_f32 v3, vcc, v10, v9, v10
	v_rcp_f32_e32 v4, v0
	v_fma_f32 v5, -v0, v4, 1.0
	v_fmac_f32_e32 v4, v5, v4
	v_mul_f32_e32 v5, v3, v4
	v_fma_f32 v6, -v0, v5, v3
	v_fmac_f32_e32 v5, v6, v4
	v_fma_f32 v0, -v0, v5, v3
	v_div_fmas_f32 v0, v0, v4, v5
	v_div_fixup_f32 v0, v0, v9, v10
	global_store_dword v[1:2], v0, off
.LBB42_23:
	s_endpgm
	.section	.rodata,"a",@progbits
	.p2align	6, 0x0
	.amdhsa_kernel _ZL33flash_attn_stream_k_fixup_generalILi128ELi8ELi2EEvPfPK15HIP_vector_typeIfLj2EEiiiiS1_IjLj3EES5_S5_S5_
		.amdhsa_group_segment_fixed_size 0
		.amdhsa_private_segment_fixed_size 0
		.amdhsa_kernarg_size 336
		.amdhsa_user_sgpr_count 6
		.amdhsa_user_sgpr_private_segment_buffer 1
		.amdhsa_user_sgpr_dispatch_ptr 0
		.amdhsa_user_sgpr_queue_ptr 0
		.amdhsa_user_sgpr_kernarg_segment_ptr 1
		.amdhsa_user_sgpr_dispatch_id 0
		.amdhsa_user_sgpr_flat_scratch_init 0
		.amdhsa_user_sgpr_private_segment_size 0
		.amdhsa_uses_dynamic_stack 0
		.amdhsa_system_sgpr_private_segment_wavefront_offset 0
		.amdhsa_system_sgpr_workgroup_id_x 1
		.amdhsa_system_sgpr_workgroup_id_y 1
		.amdhsa_system_sgpr_workgroup_id_z 1
		.amdhsa_system_sgpr_workgroup_info 0
		.amdhsa_system_vgpr_workitem_id 0
		.amdhsa_next_free_vgpr 18
		.amdhsa_next_free_sgpr 36
		.amdhsa_reserve_vcc 1
		.amdhsa_reserve_flat_scratch 0
		.amdhsa_float_round_mode_32 0
		.amdhsa_float_round_mode_16_64 0
		.amdhsa_float_denorm_mode_32 3
		.amdhsa_float_denorm_mode_16_64 3
		.amdhsa_dx10_clamp 1
		.amdhsa_ieee_mode 1
		.amdhsa_fp16_overflow 0
		.amdhsa_exception_fp_ieee_invalid_op 0
		.amdhsa_exception_fp_denorm_src 0
		.amdhsa_exception_fp_ieee_div_zero 0
		.amdhsa_exception_fp_ieee_overflow 0
		.amdhsa_exception_fp_ieee_underflow 0
		.amdhsa_exception_fp_ieee_inexact 0
		.amdhsa_exception_int_div_zero 0
	.end_amdhsa_kernel
	.section	.text._ZL33flash_attn_stream_k_fixup_generalILi128ELi8ELi2EEvPfPK15HIP_vector_typeIfLj2EEiiiiS1_IjLj3EES5_S5_S5_,"axG",@progbits,_ZL33flash_attn_stream_k_fixup_generalILi128ELi8ELi2EEvPfPK15HIP_vector_typeIfLj2EEiiiiS1_IjLj3EES5_S5_S5_,comdat
.Lfunc_end42:
	.size	_ZL33flash_attn_stream_k_fixup_generalILi128ELi8ELi2EEvPfPK15HIP_vector_typeIfLj2EEiiiiS1_IjLj3EES5_S5_S5_, .Lfunc_end42-_ZL33flash_attn_stream_k_fixup_generalILi128ELi8ELi2EEvPfPK15HIP_vector_typeIfLj2EEiiiiS1_IjLj3EES5_S5_S5_
                                        ; -- End function
	.set _ZL33flash_attn_stream_k_fixup_generalILi128ELi8ELi2EEvPfPK15HIP_vector_typeIfLj2EEiiiiS1_IjLj3EES5_S5_S5_.num_vgpr, 18
	.set _ZL33flash_attn_stream_k_fixup_generalILi128ELi8ELi2EEvPfPK15HIP_vector_typeIfLj2EEiiiiS1_IjLj3EES5_S5_S5_.num_agpr, 0
	.set _ZL33flash_attn_stream_k_fixup_generalILi128ELi8ELi2EEvPfPK15HIP_vector_typeIfLj2EEiiiiS1_IjLj3EES5_S5_S5_.numbered_sgpr, 36
	.set _ZL33flash_attn_stream_k_fixup_generalILi128ELi8ELi2EEvPfPK15HIP_vector_typeIfLj2EEiiiiS1_IjLj3EES5_S5_S5_.num_named_barrier, 0
	.set _ZL33flash_attn_stream_k_fixup_generalILi128ELi8ELi2EEvPfPK15HIP_vector_typeIfLj2EEiiiiS1_IjLj3EES5_S5_S5_.private_seg_size, 0
	.set _ZL33flash_attn_stream_k_fixup_generalILi128ELi8ELi2EEvPfPK15HIP_vector_typeIfLj2EEiiiiS1_IjLj3EES5_S5_S5_.uses_vcc, 1
	.set _ZL33flash_attn_stream_k_fixup_generalILi128ELi8ELi2EEvPfPK15HIP_vector_typeIfLj2EEiiiiS1_IjLj3EES5_S5_S5_.uses_flat_scratch, 0
	.set _ZL33flash_attn_stream_k_fixup_generalILi128ELi8ELi2EEvPfPK15HIP_vector_typeIfLj2EEiiiiS1_IjLj3EES5_S5_S5_.has_dyn_sized_stack, 0
	.set _ZL33flash_attn_stream_k_fixup_generalILi128ELi8ELi2EEvPfPK15HIP_vector_typeIfLj2EEiiiiS1_IjLj3EES5_S5_S5_.has_recursion, 0
	.set _ZL33flash_attn_stream_k_fixup_generalILi128ELi8ELi2EEvPfPK15HIP_vector_typeIfLj2EEiiiiS1_IjLj3EES5_S5_S5_.has_indirect_call, 0
	.section	.AMDGPU.csdata,"",@progbits
; Kernel info:
; codeLenInByte = 2940
; TotalNumSgprs: 40
; NumVgprs: 18
; ScratchSize: 0
; MemoryBound: 0
; FloatMode: 240
; IeeeMode: 1
; LDSByteSize: 0 bytes/workgroup (compile time only)
; SGPRBlocks: 4
; VGPRBlocks: 4
; NumSGPRsForWavesPerEU: 40
; NumVGPRsForWavesPerEU: 18
; Occupancy: 10
; WaveLimiterHint : 0
; COMPUTE_PGM_RSRC2:SCRATCH_EN: 0
; COMPUTE_PGM_RSRC2:USER_SGPR: 6
; COMPUTE_PGM_RSRC2:TRAP_HANDLER: 0
; COMPUTE_PGM_RSRC2:TGID_X_EN: 1
; COMPUTE_PGM_RSRC2:TGID_Y_EN: 1
; COMPUTE_PGM_RSRC2:TGID_Z_EN: 1
; COMPUTE_PGM_RSRC2:TIDIG_COMP_CNT: 0
	.section	.text._ZL15flash_attn_tileILi128ELi128ELi4ELi2ELb0EEvPKcS1_S1_S1_S1_PKiPfP15HIP_vector_typeIfLj2EEffffjfiS5_IjLj3EEiiiiiiiiiiiliiliiiiil,"axG",@progbits,_ZL15flash_attn_tileILi128ELi128ELi4ELi2ELb0EEvPKcS1_S1_S1_S1_PKiPfP15HIP_vector_typeIfLj2EEffffjfiS5_IjLj3EEiiiiiiiiiiiliiliiiiil,comdat
	.globl	_ZL15flash_attn_tileILi128ELi128ELi4ELi2ELb0EEvPKcS1_S1_S1_S1_PKiPfP15HIP_vector_typeIfLj2EEffffjfiS5_IjLj3EEiiiiiiiiiiiliiliiiiil ; -- Begin function _ZL15flash_attn_tileILi128ELi128ELi4ELi2ELb0EEvPKcS1_S1_S1_S1_PKiPfP15HIP_vector_typeIfLj2EEffffjfiS5_IjLj3EEiiiiiiiiiiiliiliiiiil
	.p2align	8
	.type	_ZL15flash_attn_tileILi128ELi128ELi4ELi2ELb0EEvPKcS1_S1_S1_S1_PKiPfP15HIP_vector_typeIfLj2EEffffjfiS5_IjLj3EEiiiiiiiiiiiliiliiiiil,@function
_ZL15flash_attn_tileILi128ELi128ELi4ELi2ELb0EEvPKcS1_S1_S1_S1_PKiPfP15HIP_vector_typeIfLj2EEffffjfiS5_IjLj3EEiiiiiiiiiiiliiliiiiil: ; @_ZL15flash_attn_tileILi128ELi128ELi4ELi2ELb0EEvPKcS1_S1_S1_S1_PKiPfP15HIP_vector_typeIfLj2EEffffjfiS5_IjLj3EEiiiiiiiiiiiliiliiiiil
; %bb.0:
	s_load_dwordx4 s[0:3], s[4:5], 0x5c
	s_load_dwordx2 s[28:29], s[4:5], 0x80
	s_load_dwordx2 s[34:35], s[4:5], 0xb8
	s_mov_b64 s[30:31], 0
	s_waitcnt lgkmcnt(0)
	s_lshr_b32 s9, s3, 31
	s_add_i32 s9, s3, s9
	s_ashr_i32 s9, s9, 1
	v_cvt_f32_u32_e32 v2, s9
	s_sub_i32 s10, 0, s9
	v_rcp_iflag_f32_e32 v2, v2
	v_mul_f32_e32 v2, 0x4f7ffffe, v2
	v_cvt_u32_f32_e32 v2, v2
	v_readfirstlane_b32 s11, v2
	s_mul_i32 s10, s10, s11
	s_mul_hi_u32 s10, s11, s10
	s_add_i32 s11, s11, s10
	s_mul_hi_u32 s10, s8, s11
	s_mul_i32 s11, s10, s9
	s_sub_i32 s11, s8, s11
	s_add_i32 s12, s10, 1
	s_sub_i32 s13, s11, s9
	s_cmp_ge_u32 s11, s9
	s_cselect_b32 s10, s12, s10
	s_cselect_b32 s11, s13, s11
	s_add_i32 s12, s10, 1
	s_cmp_ge_u32 s11, s9
	s_cselect_b32 s33, s12, s10
	s_abs_i32 s9, s29
	v_cvt_f32_u32_e32 v2, s9
	s_lshl_b32 s8, s8, 1
	s_mul_i32 s12, s33, s3
	s_xor_b32 s10, s3, s29
	v_rcp_iflag_f32_e32 v2, v2
	s_sub_i32 s13, 0, s9
	s_sub_i32 s29, s8, s12
	s_abs_i32 s11, s3
	v_mul_f32_e32 v2, 0x4f7ffffe, v2
	v_cvt_u32_f32_e32 v2, v2
	s_ashr_i32 s10, s10, 31
	v_readfirstlane_b32 s8, v2
	s_mul_i32 s13, s13, s8
	s_mul_hi_u32 s12, s8, s13
	s_add_i32 s8, s8, s12
	s_mul_hi_u32 s8, s11, s8
	s_mul_i32 s12, s8, s9
	s_sub_i32 s11, s11, s12
	s_add_i32 s13, s8, 1
	s_sub_i32 s12, s11, s9
	s_cmp_ge_u32 s11, s9
	s_cselect_b32 s8, s13, s8
	s_cselect_b32 s11, s12, s11
	s_add_i32 s12, s8, 1
	s_cmp_ge_u32 s11, s9
	s_cselect_b32 s8, s12, s8
	s_xor_b32 s8, s8, s10
	s_sub_i32 s37, s8, s10
	s_abs_i32 s36, s37
	v_cvt_f32_u32_e32 v2, s36
	s_load_dwordx16 s[8:23], s[4:5], 0x0
	v_rcp_iflag_f32_e32 v2, v2
	s_waitcnt lgkmcnt(0)
	s_cmp_eq_u64 s[14:15], 0
	v_mul_f32_e32 v2, 0x4f7ffffe, v2
	v_cvt_u32_f32_e32 v2, v2
	v_readfirstlane_b32 s38, v2
	s_cbranch_scc1 .LBB43_2
; %bb.1:
	s_abs_i32 s26, s34
	v_cvt_f32_u32_e32 v2, s26
	s_sub_i32 s31, 0, s26
	s_abs_i32 s30, s33
	s_ashr_i32 s27, s33, 31
	v_rcp_iflag_f32_e32 v2, v2
	s_load_dwordx2 s[24:25], s[4:5], 0xc8
	v_mul_f32_e32 v2, 0x4f7ffffe, v2
	v_cvt_u32_f32_e32 v2, v2
	v_readfirstlane_b32 s34, v2
	s_mul_i32 s31, s31, s34
	s_mul_hi_u32 s31, s34, s31
	s_add_i32 s34, s34, s31
	s_mul_hi_u32 s31, s30, s34
	s_mul_i32 s31, s31, s26
	s_sub_i32 s30, s30, s31
	s_sub_i32 s31, s30, s26
	s_cmp_ge_u32 s30, s26
	s_cselect_b32 s30, s31, s30
	s_sub_i32 s31, s30, s26
	s_cmp_ge_u32 s30, s26
	s_cselect_b32 s26, s31, s30
	s_xor_b32 s26, s26, s27
	s_sub_i32 s26, s26, s27
	s_ashr_i32 s27, s26, 31
	s_waitcnt lgkmcnt(0)
	s_mul_hi_u32 s30, s24, s26
	s_mul_i32 s27, s24, s27
	s_mul_i32 s25, s25, s26
	s_add_i32 s27, s30, s27
	s_add_i32 s27, s27, s25
	s_mul_i32 s24, s24, s26
	s_add_u32 s30, s14, s24
	s_addc_u32 s31, s15, s27
.LBB43_2:
	v_lshrrev_b32_e32 v2, 1, v1
	s_load_dwordx4 s[24:27], s[4:5], 0x70
	v_lshl_add_u32 v25, s6, 2, v2
	v_mul_hi_u32 v2, s0, v25
	v_and_b32_e32 v24, 1, v1
	v_lshlrev_b32_e32 v23, 3, v0
	s_waitcnt lgkmcnt(0)
	s_mul_i32 s0, s33, s26
	v_add_u32_e32 v2, v25, v2
	s_ashr_i32 s15, s0, 31
	v_lshrrev_b32_e32 v2, s1, v2
	s_mul_i32 s14, s29, s25
	s_add_u32 s0, s8, s0
	v_mul_lo_u32 v2, v2, s2
	s_addc_u32 s8, s9, s15
	s_ashr_i32 s9, s14, 31
	s_add_u32 s14, s0, s14
	s_addc_u32 s15, s8, s9
	s_ashr_i32 s1, s25, 31
	s_mov_b32 s0, s25
	s_ashr_i32 s25, s24, 31
	v_sub_u32_e32 v2, v25, v2
	s_lshr_b64 s[8:9], s[24:25], 2
	v_mad_u64_u32 v[3:4], s[8:9], s8, v2, 0
	s_lshr_b64 s[8:9], s[0:1], 2
	s_lshr_b32 s0, s1, 2
	v_mul_lo_u32 v6, s0, v24
	s_lshr_b32 s0, s25, 2
	v_mad_u64_u32 v[4:5], s[0:1], s0, v2, v[4:5]
	v_mul_lo_u32 v5, s8, v24
	v_mov_b32_e32 v7, s15
	v_lshlrev_b64 v[3:4], 2, v[3:4]
	s_load_dword s0, s[4:5], 0x40
	v_lshlrev_b64 v[5:6], 2, v[5:6]
	s_cmp_eq_u64 s[18:19], 0
	v_add_co_u32_e32 v5, vcc, s14, v5
	v_addc_co_u32_e32 v6, vcc, v7, v6, vcc
	v_add_co_u32_e32 v3, vcc, v5, v3
	v_addc_co_u32_e32 v4, vcc, v6, v4, vcc
	v_lshlrev_b32_e32 v5, 4, v0
	v_add_co_u32_e32 v3, vcc, v3, v5
	v_addc_co_u32_e32 v4, vcc, 0, v4, vcc
	global_load_dwordx4 v[3:6], v[3:4], off
	v_mov_b32_e32 v7, 0x4400
	v_lshl_add_u32 v27, v1, 8, v7
	v_add_u32_e32 v7, v27, v23
	s_waitcnt vmcnt(0) lgkmcnt(0)
	v_fma_mixlo_f16 v3, s0, v3, 0
	v_fma_mixlo_f16 v4, s0, v4, 0
	;; [unrolled: 1-line block ×4, first 2 shown]
	v_lshlrev_b32_e32 v4, 16, v4
	v_and_b32_e32 v3, 0xffff, v3
	v_lshlrev_b32_e32 v6, 16, v6
	v_and_b32_e32 v5, 0xffff, v5
	v_or_b32_e32 v3, v4, v3
	v_or3_b32 v4, v6, v5, 0
	v_or3_b32 v3, 0, 0, v3
	ds_write_b64 v7, v[3:4]
	s_waitcnt lgkmcnt(0)
	s_barrier
	s_cbranch_scc1 .LBB43_4
; %bb.3:
	s_load_dword s0, s[4:5], 0xd0
	s_mov_b32 s1, 0
	s_waitcnt lgkmcnt(0)
	s_mul_i32 s0, s0, s33
	s_add_i32 s0, s0, s6
	s_lshl_b64 s[0:1], s[0:1], 2
	s_add_u32 s0, s18, s0
	s_addc_u32 s1, s19, s1
	s_load_dword s28, s[0:1], 0x0
.LBB43_4:
	s_lshl_b32 s6, s7, 6
	s_waitcnt lgkmcnt(0)
	s_cmp_lt_i32 s6, s28
	v_mbcnt_lo_u32_b32 v3, -1, 0
	s_cbranch_scc1 .LBB43_7
; %bb.5:
	v_mbcnt_hi_u32_b32 v28, -1, v3
	v_and_b32_e32 v4, 0x60, v28
	v_add_u32_e32 v29, 32, v4
	v_xor_b32_e32 v34, 16, v28
	v_xor_b32_e32 v33, 8, v28
	;; [unrolled: 1-line block ×5, first 2 shown]
	v_lshlrev_b32_e32 v26, 2, v0
	s_cbranch_execz .LBB43_8
; %bb.6:
	v_mov_b32_e32 v58, 0
	v_mov_b32_e32 v41, 0
	;; [unrolled: 1-line block ×4, first 2 shown]
	s_branch .LBB43_10
.LBB43_7:
                                        ; implicit-def: $vgpr28
                                        ; implicit-def: $vgpr29
                                        ; implicit-def: $vgpr34
                                        ; implicit-def: $vgpr33
                                        ; implicit-def: $vgpr32
                                        ; implicit-def: $vgpr31
                                        ; implicit-def: $vgpr30
	v_lshlrev_b32_e32 v26, 2, v0
.LBB43_8:
	s_sub_i32 s0, 0, s36
	s_mul_i32 s0, s0, s38
	s_mul_hi_u32 s0, s38, s0
	s_add_i32 s38, s38, s0
	s_load_dwordx2 s[0:1], s[4:5], 0x8c
	s_load_dwordx4 s[24:27], s[4:5], 0x98
	s_abs_i32 s18, s29
	s_mul_hi_u32 s19, s18, s38
	s_ashr_i32 s34, s29, 31
	s_waitcnt lgkmcnt(0)
	s_ashr_i32 s9, s0, 2
	s_ashr_i32 s0, s33, 31
	;; [unrolled: 1-line block ×4, first 2 shown]
	s_mul_hi_u32 s35, s24, s33
	s_mul_i32 s38, s24, s0
	s_add_i32 s35, s35, s38
	s_mul_i32 s25, s25, s33
	s_ashr_i32 s37, s37, 31
	s_add_i32 s35, s35, s25
	s_mul_i32 s24, s24, s33
	s_add_u32 s10, s10, s24
	s_mul_i32 s25, s19, s36
	s_addc_u32 s11, s11, s35
	s_sub_i32 s18, s18, s25
	s_xor_b32 s24, s34, s37
	s_add_i32 s25, s19, 1
	s_sub_i32 s34, s18, s36
	s_cmp_ge_u32 s18, s36
	s_cselect_b32 s19, s25, s19
	s_cselect_b32 s18, s34, s18
	s_add_i32 s25, s19, 1
	s_cmp_ge_u32 s18, s36
	s_load_dwordx2 s[14:15], s[4:5], 0xa8
	s_cselect_b32 s18, s25, s19
	s_xor_b32 s18, s18, s24
	s_sub_i32 s18, s18, s24
	s_mul_i32 s1, s18, s1
	s_ashr_i32 s19, s1, 31
	s_add_u32 s10, s10, s1
	s_waitcnt lgkmcnt(0)
	s_mul_hi_u32 s1, s14, s33
	s_mul_i32 s0, s14, s0
	s_addc_u32 s11, s11, s19
	s_add_i32 s0, s1, s0
	s_mul_i32 s1, s15, s33
	s_add_i32 s0, s0, s1
	s_mul_i32 s1, s14, s33
	v_lshrrev_b32_e32 v4, 4, v0
	s_add_u32 s1, s12, s1
	s_mul_i32 s18, s18, s27
	v_lshl_add_u32 v4, v1, 1, v4
	s_addc_u32 s0, s13, s0
	s_ashr_i32 s13, s18, 31
	v_mul_lo_u32 v7, s9, v4
	s_add_u32 s12, s1, s18
	v_and_b32_e32 v17, 60, v26
	s_addc_u32 s13, s0, s13
	v_lshlrev_b32_e32 v16, 2, v17
	s_movk_i32 s0, 0x110
	v_mad_u32_u24 v35, v4, s0, v16
	s_lshl_b32 s0, s9, 4
	v_add_u32_e32 v9, s0, v7
	v_mul_lo_u32 v15, s8, v4
	v_add_u32_e32 v11, s0, v9
	v_add_u32_e32 v13, s0, v11
	v_mad_u64_u32 v[5:6], s[0:1], v2, s26, v[0:1]
	v_mov_b32_e32 v2, 0x4c00
	s_lshl_b32 s0, s8, 4
	v_lshl_add_u32 v40, v1, 7, v2
	v_add_u32_e32 v1, s0, v15
	v_add_u32_e32 v18, s0, v1
	v_add_u32_e32 v20, s0, v18
	v_ashrrev_i32_e32 v8, 31, v7
	v_ashrrev_i32_e32 v10, 31, v9
	v_ashrrev_i32_e32 v12, 31, v11
	v_ashrrev_i32_e32 v14, 31, v13
	v_lshl_or_b32 v43, v4, 8, v16
	v_ashrrev_i32_e32 v16, 31, v15
	v_ashrrev_i32_e32 v2, 31, v1
	;; [unrolled: 1-line block ×4, first 2 shown]
	v_mbcnt_hi_u32_b32 v28, -1, v3
	s_add_u32 s0, s4, 0xd0
	v_lshlrev_b64 v[6:7], 2, v[7:8]
	v_lshlrev_b32_e32 v47, 2, v17
	v_lshlrev_b64 v[8:9], 2, v[9:10]
	v_lshlrev_b64 v[10:11], 2, v[11:12]
	;; [unrolled: 1-line block ×3, first 2 shown]
	v_and_b32_e32 v3, 0x60, v28
	v_lshlrev_b64 v[14:15], 2, v[15:16]
	v_lshlrev_b64 v[16:17], 2, v[1:2]
	;; [unrolled: 1-line block ×4, first 2 shown]
	v_mov_b32_e32 v57, 0
	v_add_u32_e32 v36, 0x1100, v35
	v_add_u32_e32 v37, 0x2200, v35
	;; [unrolled: 1-line block ×3, first 2 shown]
	v_mul_u32_u24_e32 v39, 0x110, v0
	v_lshl_add_u32 v42, v0, 1, v40
	v_add_u32_e32 v44, 0x1000, v43
	v_add_u32_e32 v45, 0x2000, v43
	;; [unrolled: 1-line block ×3, first 2 shown]
	s_addc_u32 s1, s5, 0
	v_mov_b32_e32 v22, 0xfeffffff
	v_add_u32_e32 v29, 32, v3
	v_xor_b32_e32 v34, 16, v28
	v_xor_b32_e32 v33, 8, v28
	;; [unrolled: 1-line block ×5, first 2 shown]
	v_mov_b32_e32 v48, s31
	s_mov_b32 s14, 0x3fb8aa3b
	s_mov_b32 s15, 0xc2ce8ed0
	;; [unrolled: 1-line block ×3, first 2 shown]
	v_mov_b32_e32 v49, 0x7f800000
	s_mov_b32 s19, 0x10001
	v_add_u32_e32 v50, 0x800, v23
	v_add_u32_e32 v51, 0x1000, v23
	;; [unrolled: 1-line block ×7, first 2 shown]
	v_mov_b32_e32 v58, 0
	v_mov_b32_e32 v41, 0
.LBB43_9:                               ; =>This Inner Loop Header: Depth=1
	s_mul_hi_i32 s25, s6, s9
	s_mul_i32 s24, s6, s9
	s_lshl_b64 s[24:25], s[24:25], 2
	s_add_u32 s24, s10, s24
	s_addc_u32 s25, s11, s25
	v_add_co_u32_e32 v2, vcc, s24, v6
	v_mov_b32_e32 v3, s25
	v_addc_co_u32_e32 v3, vcc, v3, v7, vcc
	v_add_co_u32_e32 v2, vcc, v2, v47
	v_addc_co_u32_e32 v3, vcc, 0, v3, vcc
	global_load_dwordx4 v[59:62], v[2:3], off
	v_add_co_u32_e32 v2, vcc, s24, v8
	v_mov_b32_e32 v3, s25
	v_addc_co_u32_e32 v3, vcc, v3, v9, vcc
	v_add_co_u32_e32 v2, vcc, v2, v47
	v_addc_co_u32_e32 v3, vcc, 0, v3, vcc
	v_mov_b32_e32 v1, v22
	s_waitcnt vmcnt(0)
	ds_write_b128 v35, v[59:62]
	global_load_dwordx4 v[59:62], v[2:3], off
	v_add_co_u32_e32 v2, vcc, s24, v10
	v_mov_b32_e32 v3, s25
	v_addc_co_u32_e32 v3, vcc, v3, v11, vcc
	v_add_co_u32_e32 v2, vcc, v2, v47
	v_addc_co_u32_e32 v3, vcc, 0, v3, vcc
	s_waitcnt vmcnt(0)
	ds_write_b128 v36, v[59:62]
	global_load_dwordx4 v[59:62], v[2:3], off
	v_add_co_u32_e32 v2, vcc, s24, v12
	v_mov_b32_e32 v3, s25
	v_addc_co_u32_e32 v3, vcc, v3, v13, vcc
	v_add_co_u32_e32 v2, vcc, v2, v47
	v_addc_co_u32_e32 v3, vcc, 0, v3, vcc
	v_cmp_lt_i32_e32 vcc, v34, v29
	v_cndmask_b32_e32 v4, v28, v34, vcc
	v_cmp_lt_i32_e32 vcc, v33, v29
	v_cndmask_b32_e32 v22, v28, v33, vcc
	v_cmp_lt_i32_e32 vcc, v32, v29
	v_lshlrev_b32_e32 v4, 2, v4
	v_lshlrev_b32_e32 v22, 2, v22
	s_mul_hi_i32 s25, s6, s8
	s_mul_i32 s24, s6, s8
	s_lshl_b64 s[24:25], s[24:25], 2
	s_add_u32 s24, s12, s24
	s_addc_u32 s25, s13, s25
	s_waitcnt vmcnt(0)
	ds_write_b128 v37, v[59:62]
	global_load_dwordx4 v[59:62], v[2:3], off
	v_mov_b32_e32 v2, 0
	v_mov_b32_e32 v3, 0
	s_waitcnt vmcnt(0)
	ds_write_b128 v38, v[59:62]
	s_waitcnt lgkmcnt(0)
	s_barrier
	ds_read_b128 v[59:62], v39
	ds_read_b128 v[63:66], v39 offset:8704
	ds_read_b128 v[67:70], v27
	s_waitcnt lgkmcnt(0)
	;;#ASMSTART
	v_dot2_f32_f16 v2, v59, v67, v2
	;;#ASMEND
	;;#ASMSTART
	v_dot2_f32_f16 v2, v60, v68, v2
	;;#ASMEND
	;;#ASMSTART
	v_dot2_f32_f16 v2, v61, v69, v2
	;;#ASMEND
	;;#ASMSTART
	v_dot2_f32_f16 v2, v62, v70, v2
	;;#ASMEND
	;;#ASMSTART
	v_dot2_f32_f16 v3, v63, v67, v3
	;;#ASMEND
	;;#ASMSTART
	v_dot2_f32_f16 v3, v64, v68, v3
	;;#ASMEND
	;;#ASMSTART
	v_dot2_f32_f16 v3, v65, v69, v3
	;;#ASMEND
	;;#ASMSTART
	v_dot2_f32_f16 v3, v66, v70, v3
	;;#ASMEND
	ds_read_b128 v[59:62], v39 offset:16
	ds_read_b128 v[63:66], v39 offset:8720
	ds_read_b128 v[67:70], v27 offset:16
	s_waitcnt lgkmcnt(0)
	;;#ASMSTART
	v_dot2_f32_f16 v2, v59, v67, v2
	;;#ASMEND
	;;#ASMSTART
	v_dot2_f32_f16 v2, v60, v68, v2
	;;#ASMEND
	;;#ASMSTART
	v_dot2_f32_f16 v2, v61, v69, v2
	;;#ASMEND
	;;#ASMSTART
	v_dot2_f32_f16 v2, v62, v70, v2
	;;#ASMEND
	;;#ASMSTART
	v_dot2_f32_f16 v3, v63, v67, v3
	;;#ASMEND
	;;#ASMSTART
	v_dot2_f32_f16 v3, v64, v68, v3
	;;#ASMEND
	;;#ASMSTART
	v_dot2_f32_f16 v3, v65, v69, v3
	;;#ASMEND
	;;#ASMSTART
	v_dot2_f32_f16 v3, v66, v70, v3
	;;#ASMEND
	ds_read_b128 v[59:62], v39 offset:32
	ds_read_b128 v[63:66], v39 offset:8736
	ds_read_b128 v[67:70], v27 offset:32
	;; [unrolled: 28-line block ×15, first 2 shown]
	s_waitcnt lgkmcnt(0)
	;;#ASMSTART
	v_dot2_f32_f16 v2, v59, v67, v2
	;;#ASMEND
	v_add_u32_e32 v59, s6, v5
	;;#ASMSTART
	v_dot2_f32_f16 v2, v60, v68, v2
	;;#ASMEND
	v_ashrrev_i32_e32 v60, 31, v59
	;;#ASMSTART
	v_dot2_f32_f16 v2, v61, v69, v2
	;;#ASMEND
	v_cndmask_b32_e32 v61, v28, v32, vcc
	v_cmp_lt_i32_e32 vcc, v31, v29
	v_lshlrev_b64 v[59:60], 1, v[59:60]
	;;#ASMSTART
	v_dot2_f32_f16 v2, v62, v70, v2
	;;#ASMEND
	;;#ASMSTART
	v_dot2_f32_f16 v3, v63, v67, v3
	;;#ASMEND
	v_cndmask_b32_e32 v62, v28, v31, vcc
	v_cmp_lt_i32_e32 vcc, v30, v29
	;;#ASMSTART
	v_dot2_f32_f16 v3, v64, v68, v3
	;;#ASMEND
	v_cndmask_b32_e32 v63, v28, v30, vcc
	v_add_co_u32_e32 v59, vcc, s30, v59
	;;#ASMSTART
	v_dot2_f32_f16 v3, v65, v69, v3
	;;#ASMEND
	v_addc_co_u32_e32 v60, vcc, v48, v60, vcc
	;;#ASMSTART
	v_dot2_f32_f16 v3, v66, v70, v3
	;;#ASMEND
	global_load_ushort v64, v[59:60], off
	s_waitcnt vmcnt(0)
	v_cvt_f32_f16_e32 v64, v64
	global_load_ushort v59, v[59:60], off offset:64
	v_lshlrev_b32_e32 v60, 2, v61
	v_lshlrev_b32_e32 v61, 2, v62
	v_add_f32_e32 v2, v2, v64
	v_add_f32_e32 v64, 0x40051340, v2
	v_lshlrev_b32_e32 v62, 2, v63
	s_waitcnt vmcnt(0)
	s_barrier
	v_cvt_f32_f16_e32 v59, v59
	v_add_f32_e32 v3, v3, v59
	v_add_f32_e32 v59, 0x40051340, v3
	v_max3_f32 v59, v1, v64, v59
	ds_bpermute_b32 v4, v4, v59
	s_waitcnt lgkmcnt(0)
	v_max_f32_e32 v4, v4, v4
	v_max_f32_e32 v4, v59, v4
	ds_bpermute_b32 v22, v22, v4
	s_waitcnt lgkmcnt(0)
	v_max_f32_e32 v22, v22, v22
	v_max_f32_e32 v4, v4, v22
	;; [unrolled: 4-line block ×5, first 2 shown]
	v_sub_f32_e32 v2, v2, v22
	v_mul_f32_e32 v4, 0x3fb8aa3b, v2
	v_fma_f32 v59, v2, s14, -v4
	v_rndne_f32_e32 v60, v4
	v_fmac_f32_e32 v59, 0x32a5705f, v2
	v_sub_f32_e32 v4, v4, v60
	v_add_f32_e32 v4, v4, v59
	v_exp_f32_e32 v4, v4
	v_cvt_i32_f32_e32 v59, v60
	v_sub_f32_e32 v3, v3, v22
	v_cmp_ngt_f32_e32 vcc, s15, v2
	v_sub_f32_e32 v1, v1, v22
	v_ldexp_f32 v4, v4, v59
	v_mul_f32_e32 v59, 0x3fb8aa3b, v3
	v_fma_f32 v60, v3, s14, -v59
	v_rndne_f32_e32 v61, v59
	v_fmac_f32_e32 v60, 0x32a5705f, v3
	v_sub_f32_e32 v59, v59, v61
	v_add_f32_e32 v59, v59, v60
	v_exp_f32_e32 v59, v59
	v_cvt_i32_f32_e32 v60, v61
	v_cndmask_b32_e32 v4, 0, v4, vcc
	v_cmp_nlt_f32_e32 vcc, s18, v2
	v_cndmask_b32_e32 v2, v49, v4, vcc
	v_ldexp_f32 v59, v59, v60
	v_cmp_ngt_f32_e32 vcc, s15, v3
	v_cndmask_b32_e32 v59, 0, v59, vcc
	v_cmp_nlt_f32_e32 vcc, s18, v3
	v_cndmask_b32_e32 v3, v49, v59, vcc
	v_mul_f32_e32 v59, 0x3fb8aa3b, v1
	v_fma_f32 v60, v1, s14, -v59
	v_rndne_f32_e32 v61, v59
	v_fmac_f32_e32 v60, 0x32a5705f, v1
	v_sub_f32_e32 v59, v59, v61
	v_add_f32_e32 v59, v59, v60
	v_exp_f32_e32 v59, v59
	v_cvt_i32_f32_e32 v60, v61
	v_cmp_ngt_f32_e32 vcc, s15, v1
	v_cvt_f16_f32_e32 v4, v2
	v_add_f32_e32 v2, v2, v3
	v_ldexp_f32 v59, v59, v60
	v_cndmask_b32_e32 v59, 0, v59, vcc
	v_cmp_nlt_f32_e32 vcc, s18, v1
	v_cndmask_b32_e32 v1, v49, v59, vcc
	v_mov_b32_e32 v59, v41
	v_mov_b32_e32 v41, v2
	v_fmac_f32_e32 v41, v59, v1
	v_cvt_f16_f32_e32 v1, v1
	v_mov_b32_e32 v2, s25
	v_cvt_f16_f32_e32 v3, v3
	ds_write_b16 v42, v4
	ds_write_b16 v42, v3 offset:64
	v_mul_u32_u24_e32 v59, 0x10001, v1
	v_add_co_u32_e32 v1, vcc, s24, v14
	v_addc_co_u32_e32 v2, vcc, v2, v15, vcc
	v_add_co_u32_e32 v1, vcc, v1, v47
	v_addc_co_u32_e32 v2, vcc, 0, v2, vcc
	v_add_co_u32_e32 v3, vcc, s24, v16
	v_mov_b32_e32 v4, s25
	v_addc_co_u32_e32 v4, vcc, v4, v17, vcc
	v_add_co_u32_e32 v60, vcc, v3, v47
	v_addc_co_u32_e32 v61, vcc, 0, v4, vcc
	v_add_co_u32_e32 v3, vcc, s24, v18
	v_mov_b32_e32 v4, s25
	;; [unrolled: 5-line block ×3, first 2 shown]
	v_addc_co_u32_e32 v4, vcc, v4, v21, vcc
	v_add_co_u32_e32 v64, vcc, v3, v47
	v_addc_co_u32_e32 v65, vcc, 0, v4, vcc
	global_load_dwordx4 v[1:4], v[1:2], off
	s_waitcnt vmcnt(0)
	ds_write_b128 v43, v[1:4]
	global_load_dwordx4 v[1:4], v[60:61], off
	s_waitcnt vmcnt(0)
	ds_write_b128 v44, v[1:4]
	;; [unrolled: 3-line block ×4, first 2 shown]
	s_waitcnt lgkmcnt(0)
	s_barrier
	ds_read2_b64 v[60:63], v23 offset1:32
	ds_read_b128 v[64:67], v40
	ds_read_b128 v[68:71], v40 offset:16
	ds_read_b128 v[72:75], v40 offset:32
	;; [unrolled: 1-line block ×3, first 2 shown]
	s_waitcnt lgkmcnt(3)
	v_mul_u32_u24_sdwa v76, v64, s19 dst_sel:DWORD dst_unused:UNUSED_PAD src0_sel:WORD_0 src1_sel:DWORD
	v_pk_mul_f16 v60, v60, v76
	v_pk_fma_f16 v57, v57, v59, v60
	v_pk_mul_f16 v60, v61, v76
	v_pk_fma_f16 v58, v58, v59, v60
	v_mul_u32_u24_sdwa v59, v64, s19 dst_sel:DWORD dst_unused:UNUSED_PAD src0_sel:WORD_1 src1_sel:DWORD
	v_pk_fma_f16 v61, v62, v59, v57
	v_pk_fma_f16 v62, v63, v59, v58
	ds_read2_b64 v[57:60], v23 offset0:64 offset1:96
	v_mul_u32_u24_sdwa v63, v65, s19 dst_sel:DWORD dst_unused:UNUSED_PAD src0_sel:WORD_0 src1_sel:DWORD
	s_waitcnt lgkmcnt(0)
	v_pk_fma_f16 v57, v57, v63, v61
	v_pk_fma_f16 v58, v58, v63, v62
	v_mul_u32_u24_sdwa v61, v65, s19 dst_sel:DWORD dst_unused:UNUSED_PAD src0_sel:WORD_1 src1_sel:DWORD
	v_pk_fma_f16 v62, v59, v61, v57
	v_pk_fma_f16 v61, v60, v61, v58
	ds_read2_b64 v[57:60], v23 offset0:128 offset1:160
	v_mul_u32_u24_sdwa v63, v66, s19 dst_sel:DWORD dst_unused:UNUSED_PAD src0_sel:WORD_0 src1_sel:DWORD
	s_waitcnt lgkmcnt(0)
	v_pk_fma_f16 v57, v57, v63, v62
	;; [unrolled: 8-line block ×3, first 2 shown]
	v_pk_fma_f16 v58, v58, v63, v61
	v_mul_u32_u24_sdwa v61, v67, s19 dst_sel:DWORD dst_unused:UNUSED_PAD src0_sel:WORD_1 src1_sel:DWORD
	v_pk_fma_f16 v62, v59, v61, v57
	v_pk_fma_f16 v61, v60, v61, v58
	ds_read2_b64 v[57:60], v50 offset1:32
	v_mul_u32_u24_sdwa v63, v68, s19 dst_sel:DWORD dst_unused:UNUSED_PAD src0_sel:WORD_0 src1_sel:DWORD
	s_waitcnt lgkmcnt(0)
	v_pk_fma_f16 v57, v57, v63, v62
	v_pk_fma_f16 v58, v58, v63, v61
	v_mul_u32_u24_sdwa v61, v68, s19 dst_sel:DWORD dst_unused:UNUSED_PAD src0_sel:WORD_1 src1_sel:DWORD
	v_pk_fma_f16 v62, v59, v61, v57
	v_pk_fma_f16 v61, v60, v61, v58
	ds_read2_b64 v[57:60], v50 offset0:64 offset1:96
	v_mul_u32_u24_sdwa v63, v69, s19 dst_sel:DWORD dst_unused:UNUSED_PAD src0_sel:WORD_0 src1_sel:DWORD
	s_waitcnt lgkmcnt(0)
	v_pk_fma_f16 v57, v57, v63, v62
	v_pk_fma_f16 v58, v58, v63, v61
	v_mul_u32_u24_sdwa v61, v69, s19 dst_sel:DWORD dst_unused:UNUSED_PAD src0_sel:WORD_1 src1_sel:DWORD
	v_pk_fma_f16 v62, v59, v61, v57
	v_pk_fma_f16 v61, v60, v61, v58
	ds_read2_b64 v[57:60], v50 offset0:128 offset1:160
	;; [unrolled: 8-line block ×3, first 2 shown]
	v_mul_u32_u24_sdwa v63, v71, s19 dst_sel:DWORD dst_unused:UNUSED_PAD src0_sel:WORD_0 src1_sel:DWORD
	s_waitcnt lgkmcnt(0)
	v_pk_fma_f16 v57, v57, v63, v62
	v_pk_fma_f16 v58, v58, v63, v61
	v_mul_u32_u24_sdwa v61, v71, s19 dst_sel:DWORD dst_unused:UNUSED_PAD src0_sel:WORD_1 src1_sel:DWORD
	v_pk_fma_f16 v62, v59, v61, v57
	v_pk_fma_f16 v61, v60, v61, v58
	ds_read2_b64 v[57:60], v51 offset1:32
	v_mul_u32_u24_sdwa v63, v72, s19 dst_sel:DWORD dst_unused:UNUSED_PAD src0_sel:WORD_0 src1_sel:DWORD
	s_waitcnt lgkmcnt(0)
	v_pk_fma_f16 v57, v57, v63, v62
	v_pk_fma_f16 v58, v58, v63, v61
	v_mul_u32_u24_sdwa v61, v72, s19 dst_sel:DWORD dst_unused:UNUSED_PAD src0_sel:WORD_1 src1_sel:DWORD
	v_pk_fma_f16 v62, v59, v61, v57
	v_pk_fma_f16 v61, v60, v61, v58
	ds_read2_b64 v[57:60], v51 offset0:64 offset1:96
	v_mul_u32_u24_sdwa v63, v73, s19 dst_sel:DWORD dst_unused:UNUSED_PAD src0_sel:WORD_0 src1_sel:DWORD
	s_waitcnt lgkmcnt(0)
	v_pk_fma_f16 v57, v57, v63, v62
	v_pk_fma_f16 v58, v58, v63, v61
	v_mul_u32_u24_sdwa v61, v73, s19 dst_sel:DWORD dst_unused:UNUSED_PAD src0_sel:WORD_1 src1_sel:DWORD
	v_pk_fma_f16 v62, v59, v61, v57
	v_pk_fma_f16 v61, v60, v61, v58
	ds_read2_b64 v[57:60], v51 offset0:128 offset1:160
	;; [unrolled: 8-line block ×3, first 2 shown]
	v_mul_u32_u24_sdwa v63, v75, s19 dst_sel:DWORD dst_unused:UNUSED_PAD src0_sel:WORD_0 src1_sel:DWORD
	s_waitcnt lgkmcnt(0)
	v_pk_fma_f16 v57, v57, v63, v62
	v_pk_fma_f16 v58, v58, v63, v61
	v_mul_u32_u24_sdwa v61, v75, s19 dst_sel:DWORD dst_unused:UNUSED_PAD src0_sel:WORD_1 src1_sel:DWORD
	v_pk_fma_f16 v62, v59, v61, v57
	v_pk_fma_f16 v61, v60, v61, v58
	ds_read2_b64 v[57:60], v52 offset1:32
	v_mul_u32_u24_sdwa v63, v1, s19 dst_sel:DWORD dst_unused:UNUSED_PAD src0_sel:WORD_0 src1_sel:DWORD
	v_mul_u32_u24_sdwa v1, v1, s19 dst_sel:DWORD dst_unused:UNUSED_PAD src0_sel:WORD_1 src1_sel:DWORD
	s_waitcnt lgkmcnt(0)
	v_pk_fma_f16 v57, v57, v63, v62
	v_pk_fma_f16 v58, v58, v63, v61
	v_pk_fma_f16 v61, v59, v1, v57
	v_pk_fma_f16 v1, v60, v1, v58
	ds_read2_b64 v[57:60], v52 offset0:64 offset1:96
	v_mul_u32_u24_sdwa v62, v2, s19 dst_sel:DWORD dst_unused:UNUSED_PAD src0_sel:WORD_0 src1_sel:DWORD
	v_mul_u32_u24_sdwa v2, v2, s19 dst_sel:DWORD dst_unused:UNUSED_PAD src0_sel:WORD_1 src1_sel:DWORD
	s_waitcnt lgkmcnt(0)
	v_pk_fma_f16 v57, v57, v62, v61
	v_pk_fma_f16 v1, v58, v62, v1
	v_pk_fma_f16 v61, v59, v2, v57
	v_pk_fma_f16 v1, v60, v2, v1
	ds_read2_b64 v[57:60], v52 offset0:128 offset1:160
	v_mul_u32_u24_sdwa v2, v3, s19 dst_sel:DWORD dst_unused:UNUSED_PAD src0_sel:WORD_0 src1_sel:DWORD
	s_waitcnt lgkmcnt(0)
	v_pk_fma_f16 v57, v57, v2, v61
	v_pk_fma_f16 v1, v58, v2, v1
	v_mul_u32_u24_sdwa v2, v3, s19 dst_sel:DWORD dst_unused:UNUSED_PAD src0_sel:WORD_1 src1_sel:DWORD
	v_pk_fma_f16 v3, v59, v2, v57
	v_pk_fma_f16 v1, v60, v2, v1
	ds_read2_b64 v[57:60], v52 offset0:192 offset1:224
	v_mul_u32_u24_sdwa v2, v4, s19 dst_sel:DWORD dst_unused:UNUSED_PAD src0_sel:WORD_0 src1_sel:DWORD
	s_waitcnt lgkmcnt(0)
	v_pk_fma_f16 v3, v57, v2, v3
	v_pk_fma_f16 v1, v58, v2, v1
	v_mul_u32_u24_sdwa v2, v4, s19 dst_sel:DWORD dst_unused:UNUSED_PAD src0_sel:WORD_1 src1_sel:DWORD
	v_pk_fma_f16 v61, v59, v2, v3
	v_pk_fma_f16 v62, v60, v2, v1
	ds_read2_b64 v[1:4], v53 offset1:32
	ds_read_b128 v[57:60], v40 offset:64
	s_waitcnt lgkmcnt(0)
	v_mul_u32_u24_sdwa v63, v57, s19 dst_sel:DWORD dst_unused:UNUSED_PAD src0_sel:WORD_0 src1_sel:DWORD
	v_pk_fma_f16 v1, v1, v63, v61
	v_pk_fma_f16 v2, v2, v63, v62
	v_mul_u32_u24_sdwa v57, v57, s19 dst_sel:DWORD dst_unused:UNUSED_PAD src0_sel:WORD_1 src1_sel:DWORD
	v_pk_fma_f16 v61, v3, v57, v1
	v_pk_fma_f16 v57, v4, v57, v2
	ds_read2_b64 v[1:4], v53 offset0:64 offset1:96
	v_mul_u32_u24_sdwa v62, v58, s19 dst_sel:DWORD dst_unused:UNUSED_PAD src0_sel:WORD_0 src1_sel:DWORD
	s_waitcnt lgkmcnt(0)
	v_pk_fma_f16 v1, v1, v62, v61
	v_pk_fma_f16 v2, v2, v62, v57
	v_mul_u32_u24_sdwa v57, v58, s19 dst_sel:DWORD dst_unused:UNUSED_PAD src0_sel:WORD_1 src1_sel:DWORD
	v_pk_fma_f16 v58, v3, v57, v1
	v_pk_fma_f16 v57, v4, v57, v2
	ds_read2_b64 v[1:4], v53 offset0:128 offset1:160
	v_mul_u32_u24_sdwa v61, v59, s19 dst_sel:DWORD dst_unused:UNUSED_PAD src0_sel:WORD_0 src1_sel:DWORD
	s_waitcnt lgkmcnt(0)
	v_pk_fma_f16 v1, v1, v61, v58
	v_pk_fma_f16 v2, v2, v61, v57
	v_mul_u32_u24_sdwa v57, v59, s19 dst_sel:DWORD dst_unused:UNUSED_PAD src0_sel:WORD_1 src1_sel:DWORD
	v_pk_fma_f16 v58, v3, v57, v1
	v_pk_fma_f16 v57, v4, v57, v2
	ds_read2_b64 v[1:4], v53 offset0:192 offset1:224
	v_mul_u32_u24_sdwa v59, v60, s19 dst_sel:DWORD dst_unused:UNUSED_PAD src0_sel:WORD_0 src1_sel:DWORD
	s_waitcnt lgkmcnt(0)
	v_pk_fma_f16 v1, v1, v59, v58
	v_pk_fma_f16 v2, v2, v59, v57
	v_mul_u32_u24_sdwa v57, v60, s19 dst_sel:DWORD dst_unused:UNUSED_PAD src0_sel:WORD_1 src1_sel:DWORD
	v_pk_fma_f16 v61, v3, v57, v1
	v_pk_fma_f16 v62, v4, v57, v2
	ds_read2_b64 v[1:4], v54 offset1:32
	ds_read_b128 v[57:60], v40 offset:80
	s_waitcnt lgkmcnt(0)
	v_mul_u32_u24_sdwa v63, v57, s19 dst_sel:DWORD dst_unused:UNUSED_PAD src0_sel:WORD_0 src1_sel:DWORD
	v_pk_fma_f16 v1, v1, v63, v61
	v_pk_fma_f16 v2, v2, v63, v62
	v_mul_u32_u24_sdwa v57, v57, s19 dst_sel:DWORD dst_unused:UNUSED_PAD src0_sel:WORD_1 src1_sel:DWORD
	v_pk_fma_f16 v61, v3, v57, v1
	v_pk_fma_f16 v57, v4, v57, v2
	ds_read2_b64 v[1:4], v54 offset0:64 offset1:96
	v_mul_u32_u24_sdwa v62, v58, s19 dst_sel:DWORD dst_unused:UNUSED_PAD src0_sel:WORD_0 src1_sel:DWORD
	s_waitcnt lgkmcnt(0)
	v_pk_fma_f16 v1, v1, v62, v61
	v_pk_fma_f16 v2, v2, v62, v57
	v_mul_u32_u24_sdwa v57, v58, s19 dst_sel:DWORD dst_unused:UNUSED_PAD src0_sel:WORD_1 src1_sel:DWORD
	v_pk_fma_f16 v58, v3, v57, v1
	v_pk_fma_f16 v57, v4, v57, v2
	;; [unrolled: 33-line block ×4, first 2 shown]
	ds_read2_b64 v[1:4], v56 offset0:128 offset1:160
	v_mul_u32_u24_sdwa v61, v59, s19 dst_sel:DWORD dst_unused:UNUSED_PAD src0_sel:WORD_0 src1_sel:DWORD
	s_waitcnt lgkmcnt(0)
	v_pk_fma_f16 v1, v1, v61, v58
	v_pk_fma_f16 v2, v2, v61, v57
	v_mul_u32_u24_sdwa v57, v59, s19 dst_sel:DWORD dst_unused:UNUSED_PAD src0_sel:WORD_1 src1_sel:DWORD
	v_pk_fma_f16 v58, v3, v57, v1
	v_pk_fma_f16 v57, v4, v57, v2
	ds_read2_b64 v[1:4], v56 offset0:192 offset1:224
	s_waitcnt lgkmcnt(0)
	s_barrier
	s_load_dword s24, s[0:1], 0x4
	v_mul_u32_u24_sdwa v59, v60, s19 dst_sel:DWORD dst_unused:UNUSED_PAD src0_sel:WORD_0 src1_sel:DWORD
	v_pk_fma_f16 v1, v1, v59, v58
	v_pk_fma_f16 v2, v2, v59, v57
	v_mul_u32_u24_sdwa v58, v60, s19 dst_sel:DWORD dst_unused:UNUSED_PAD src0_sel:WORD_1 src1_sel:DWORD
	s_waitcnt lgkmcnt(0)
	s_lshl_b32 s24, s24, 6
	s_add_i32 s6, s24, s6
	v_pk_fma_f16 v57, v3, v58, v1
	v_pk_fma_f16 v58, v4, v58, v2
	s_cmp_ge_i32 s6, s28
	s_cbranch_scc0 .LBB43_9
.LBB43_10:
	v_cmp_lt_i32_e32 vcc, v34, v29
	v_cndmask_b32_e32 v1, v28, v34, vcc
	v_lshlrev_b32_e32 v1, 2, v1
	ds_bpermute_b32 v1, v1, v41
	v_cmp_lt_i32_e32 vcc, v33, v29
	v_cndmask_b32_e32 v2, v28, v33, vcc
	v_lshlrev_b32_e32 v2, 2, v2
	v_cmp_lt_i32_e32 vcc, v32, v29
	s_waitcnt lgkmcnt(0)
	v_add_f32_e32 v1, v41, v1
	ds_bpermute_b32 v2, v2, v1
	v_cndmask_b32_e32 v3, v28, v32, vcc
	v_lshlrev_b32_e32 v3, 2, v3
	v_cmp_lt_i32_e32 vcc, v31, v29
	s_cmp_lg_u64 s[16:17], 0
	s_waitcnt lgkmcnt(0)
	v_add_f32_e32 v1, v1, v2
	ds_bpermute_b32 v2, v3, v1
	v_cndmask_b32_e32 v3, v28, v31, vcc
	v_lshlrev_b32_e32 v3, 2, v3
	v_cmp_lt_i32_e32 vcc, v30, v29
	s_cselect_b64 s[0:1], -1, 0
	s_waitcnt lgkmcnt(0)
	v_add_f32_e32 v1, v1, v2
	ds_bpermute_b32 v2, v3, v1
	v_cndmask_b32_e32 v3, v28, v30, vcc
	v_lshlrev_b32_e32 v3, 2, v3
	s_cmp_eq_u32 s7, 0
	s_cselect_b64 s[8:9], -1, 0
	s_waitcnt lgkmcnt(0)
	v_add_f32_e32 v1, v1, v2
	ds_bpermute_b32 v2, v3, v1
	s_and_b64 s[0:1], s[8:9], s[0:1]
	s_and_b64 vcc, exec, s[0:1]
	s_waitcnt lgkmcnt(0)
	v_add_f32_e32 v23, v1, v2
	s_cbranch_vccz .LBB43_12
; %bb.11:
	v_add_u32_e32 v1, s29, v24
	v_ashrrev_i32_e32 v2, 31, v1
	v_lshlrev_b64 v[1:2], 2, v[1:2]
	v_mov_b32_e32 v3, s17
	v_add_co_u32_e32 v1, vcc, s16, v1
	v_addc_co_u32_e32 v2, vcc, v3, v2, vcc
	global_load_dword v1, v[1:2], off
	v_max_f32_e32 v2, v22, v22
	s_mov_b32 s0, 0x3fb8aa3b
	s_mov_b32 s1, 0xc2ce8ed0
	s_waitcnt vmcnt(0)
	v_max_f32_e32 v3, v1, v1
	v_max_f32_e32 v2, v2, v3
	v_sub_f32_e32 v3, v22, v2
	v_sub_f32_e32 v1, v1, v2
	v_mul_f32_e32 v4, 0x3fb8aa3b, v3
	v_mul_f32_e32 v5, 0x3fb8aa3b, v1
	v_fma_f32 v6, v3, s0, -v4
	v_rndne_f32_e32 v7, v4
	v_fma_f32 v8, v1, s0, -v5
	v_rndne_f32_e32 v9, v5
	v_fmac_f32_e32 v6, 0x32a5705f, v3
	v_sub_f32_e32 v4, v4, v7
	v_fmac_f32_e32 v8, 0x32a5705f, v1
	v_sub_f32_e32 v5, v5, v9
	v_add_f32_e32 v4, v4, v6
	v_cvt_i32_f32_e32 v7, v7
	v_add_f32_e32 v5, v5, v8
	v_exp_f32_e32 v4, v4
	v_cvt_i32_f32_e32 v9, v9
	v_exp_f32_e32 v5, v5
	v_cmp_ngt_f32_e32 vcc, s1, v3
	v_ldexp_f32 v4, v4, v7
	s_mov_b32 s0, 0x42b17218
	v_ldexp_f32 v5, v5, v9
	v_cndmask_b32_e32 v4, 0, v4, vcc
	v_cmp_ngt_f32_e32 vcc, s1, v1
	v_mov_b32_e32 v6, 0x7f800000
	v_cndmask_b32_e32 v5, 0, v5, vcc
	v_cmp_nlt_f32_e32 vcc, s0, v3
	v_cndmask_b32_e32 v3, v6, v4, vcc
	v_cvt_f16_f32_e32 v4, v3
	v_cmp_nlt_f32_e32 vcc, s0, v1
	v_cndmask_b32_e32 v1, v6, v5, vcc
	v_fmac_f32_e32 v1, v23, v3
	v_mov_b32_e32 v23, v1
	v_mul_u32_u24_e32 v1, 0x10001, v4
	v_pk_mul_f16 v57, v57, v1
	v_pk_mul_f16 v58, v58, v1
	v_mov_b32_e32 v22, v2
.LBB43_12:
	v_cmp_gt_i32_e32 vcc, s2, v25
	s_and_saveexec_b64 s[0:1], vcc
	s_cbranch_execz .LBB43_15
; %bb.13:
	v_div_scale_f32 v1, s[0:1], v23, v23, 1.0
	v_div_scale_f32 v3, vcc, 1.0, v23, 1.0
	s_mul_i32 s33, s33, s2
	v_add_u32_e32 v5, s33, v25
	s_load_dword s0, s[4:5], 0xd4
	v_mul_lo_u32 v5, v5, s3
	v_mov_b32_e32 v2, 0
	v_mov_b32_e32 v6, s21
	v_cvt_f32_f16_sdwa v9, v58 dst_sel:DWORD dst_unused:UNUSED_PAD src0_sel:WORD_1
	s_waitcnt lgkmcnt(0)
	s_cmp_lg_u32 s0, 1
	v_rcp_f32_e32 v4, v1
	v_fma_f32 v7, -v1, v4, 1.0
	v_fmac_f32_e32 v4, v7, v4
	v_mul_f32_e32 v7, v3, v4
	v_fma_f32 v8, -v1, v7, v3
	v_fmac_f32_e32 v7, v8, v4
	v_fma_f32 v1, -v1, v7, v3
	v_div_fmas_f32 v3, v1, v4, v7
	v_cmp_eq_u32_e32 vcc, 0, v0
	v_add3_u32 v0, s29, v24, v5
	v_mul_lo_u32 v0, s0, v0
	v_cvt_f32_f16_e32 v4, v57
	v_cvt_f32_f16_sdwa v7, v57 dst_sel:DWORD dst_unused:UNUSED_PAD src0_sel:WORD_1
	v_cvt_f32_f16_e32 v8, v58
	v_add_u32_e32 v0, s7, v0
	v_lshl_add_u32 v1, v0, 7, v26
	v_lshlrev_b64 v[1:2], 2, v[1:2]
	v_add_co_u32_e64 v5, s[0:1], s20, v1
	v_addc_co_u32_e64 v6, s[0:1], v6, v2, s[0:1]
	s_cselect_b64 s[0:1], -1, 0
	v_div_fixup_f32 v1, v3, v23, 1.0
	v_cndmask_b32_e64 v10, v1, 1.0, s[0:1]
	s_and_b64 s[0:1], vcc, s[0:1]
	v_mul_f32_e32 v1, v10, v4
	v_mul_f32_e32 v2, v10, v7
	v_mul_f32_e32 v3, v10, v8
	v_mul_f32_e32 v4, v10, v9
	global_store_dwordx4 v[5:6], v[1:4], off
	s_and_b64 exec, exec, s[0:1]
	s_cbranch_execz .LBB43_15
; %bb.14:
	v_ashrrev_i32_e32 v1, 31, v0
	v_lshlrev_b64 v[0:1], 3, v[0:1]
	v_mov_b32_e32 v2, s23
	v_add_co_u32_e32 v0, vcc, s22, v0
	v_addc_co_u32_e32 v1, vcc, v2, v1, vcc
	global_store_dwordx2 v[0:1], v[22:23], off
.LBB43_15:
	s_endpgm
	.section	.rodata,"a",@progbits
	.p2align	6, 0x0
	.amdhsa_kernel _ZL15flash_attn_tileILi128ELi128ELi4ELi2ELb0EEvPKcS1_S1_S1_S1_PKiPfP15HIP_vector_typeIfLj2EEffffjfiS5_IjLj3EEiiiiiiiiiiiliiliiiiil
		.amdhsa_group_segment_fixed_size 20480
		.amdhsa_private_segment_fixed_size 0
		.amdhsa_kernarg_size 464
		.amdhsa_user_sgpr_count 6
		.amdhsa_user_sgpr_private_segment_buffer 1
		.amdhsa_user_sgpr_dispatch_ptr 0
		.amdhsa_user_sgpr_queue_ptr 0
		.amdhsa_user_sgpr_kernarg_segment_ptr 1
		.amdhsa_user_sgpr_dispatch_id 0
		.amdhsa_user_sgpr_flat_scratch_init 0
		.amdhsa_user_sgpr_private_segment_size 0
		.amdhsa_uses_dynamic_stack 0
		.amdhsa_system_sgpr_private_segment_wavefront_offset 0
		.amdhsa_system_sgpr_workgroup_id_x 1
		.amdhsa_system_sgpr_workgroup_id_y 1
		.amdhsa_system_sgpr_workgroup_id_z 1
		.amdhsa_system_sgpr_workgroup_info 0
		.amdhsa_system_vgpr_workitem_id 1
		.amdhsa_next_free_vgpr 77
		.amdhsa_next_free_sgpr 98
		.amdhsa_reserve_vcc 1
		.amdhsa_reserve_flat_scratch 0
		.amdhsa_float_round_mode_32 0
		.amdhsa_float_round_mode_16_64 0
		.amdhsa_float_denorm_mode_32 3
		.amdhsa_float_denorm_mode_16_64 3
		.amdhsa_dx10_clamp 1
		.amdhsa_ieee_mode 1
		.amdhsa_fp16_overflow 0
		.amdhsa_exception_fp_ieee_invalid_op 0
		.amdhsa_exception_fp_denorm_src 0
		.amdhsa_exception_fp_ieee_div_zero 0
		.amdhsa_exception_fp_ieee_overflow 0
		.amdhsa_exception_fp_ieee_underflow 0
		.amdhsa_exception_fp_ieee_inexact 0
		.amdhsa_exception_int_div_zero 0
	.end_amdhsa_kernel
	.section	.text._ZL15flash_attn_tileILi128ELi128ELi4ELi2ELb0EEvPKcS1_S1_S1_S1_PKiPfP15HIP_vector_typeIfLj2EEffffjfiS5_IjLj3EEiiiiiiiiiiiliiliiiiil,"axG",@progbits,_ZL15flash_attn_tileILi128ELi128ELi4ELi2ELb0EEvPKcS1_S1_S1_S1_PKiPfP15HIP_vector_typeIfLj2EEffffjfiS5_IjLj3EEiiiiiiiiiiiliiliiiiil,comdat
.Lfunc_end43:
	.size	_ZL15flash_attn_tileILi128ELi128ELi4ELi2ELb0EEvPKcS1_S1_S1_S1_PKiPfP15HIP_vector_typeIfLj2EEffffjfiS5_IjLj3EEiiiiiiiiiiiliiliiiiil, .Lfunc_end43-_ZL15flash_attn_tileILi128ELi128ELi4ELi2ELb0EEvPKcS1_S1_S1_S1_PKiPfP15HIP_vector_typeIfLj2EEffffjfiS5_IjLj3EEiiiiiiiiiiiliiliiiiil
                                        ; -- End function
	.set _ZL15flash_attn_tileILi128ELi128ELi4ELi2ELb0EEvPKcS1_S1_S1_S1_PKiPfP15HIP_vector_typeIfLj2EEffffjfiS5_IjLj3EEiiiiiiiiiiiliiliiiiil.num_vgpr, 77
	.set _ZL15flash_attn_tileILi128ELi128ELi4ELi2ELb0EEvPKcS1_S1_S1_S1_PKiPfP15HIP_vector_typeIfLj2EEffffjfiS5_IjLj3EEiiiiiiiiiiiliiliiiiil.num_agpr, 0
	.set _ZL15flash_attn_tileILi128ELi128ELi4ELi2ELb0EEvPKcS1_S1_S1_S1_PKiPfP15HIP_vector_typeIfLj2EEffffjfiS5_IjLj3EEiiiiiiiiiiiliiliiiiil.numbered_sgpr, 39
	.set _ZL15flash_attn_tileILi128ELi128ELi4ELi2ELb0EEvPKcS1_S1_S1_S1_PKiPfP15HIP_vector_typeIfLj2EEffffjfiS5_IjLj3EEiiiiiiiiiiiliiliiiiil.num_named_barrier, 0
	.set _ZL15flash_attn_tileILi128ELi128ELi4ELi2ELb0EEvPKcS1_S1_S1_S1_PKiPfP15HIP_vector_typeIfLj2EEffffjfiS5_IjLj3EEiiiiiiiiiiiliiliiiiil.private_seg_size, 0
	.set _ZL15flash_attn_tileILi128ELi128ELi4ELi2ELb0EEvPKcS1_S1_S1_S1_PKiPfP15HIP_vector_typeIfLj2EEffffjfiS5_IjLj3EEiiiiiiiiiiiliiliiiiil.uses_vcc, 1
	.set _ZL15flash_attn_tileILi128ELi128ELi4ELi2ELb0EEvPKcS1_S1_S1_S1_PKiPfP15HIP_vector_typeIfLj2EEffffjfiS5_IjLj3EEiiiiiiiiiiiliiliiiiil.uses_flat_scratch, 0
	.set _ZL15flash_attn_tileILi128ELi128ELi4ELi2ELb0EEvPKcS1_S1_S1_S1_PKiPfP15HIP_vector_typeIfLj2EEffffjfiS5_IjLj3EEiiiiiiiiiiiliiliiiiil.has_dyn_sized_stack, 0
	.set _ZL15flash_attn_tileILi128ELi128ELi4ELi2ELb0EEvPKcS1_S1_S1_S1_PKiPfP15HIP_vector_typeIfLj2EEffffjfiS5_IjLj3EEiiiiiiiiiiiliiliiiiil.has_recursion, 0
	.set _ZL15flash_attn_tileILi128ELi128ELi4ELi2ELb0EEvPKcS1_S1_S1_S1_PKiPfP15HIP_vector_typeIfLj2EEffffjfiS5_IjLj3EEiiiiiiiiiiiliiliiiiil.has_indirect_call, 0
	.section	.AMDGPU.csdata,"",@progbits
; Kernel info:
; codeLenInByte = 6736
; TotalNumSgprs: 43
; NumVgprs: 77
; ScratchSize: 0
; MemoryBound: 0
; FloatMode: 240
; IeeeMode: 1
; LDSByteSize: 20480 bytes/workgroup (compile time only)
; SGPRBlocks: 12
; VGPRBlocks: 19
; NumSGPRsForWavesPerEU: 102
; NumVGPRsForWavesPerEU: 77
; Occupancy: 3
; WaveLimiterHint : 1
; COMPUTE_PGM_RSRC2:SCRATCH_EN: 0
; COMPUTE_PGM_RSRC2:USER_SGPR: 6
; COMPUTE_PGM_RSRC2:TRAP_HANDLER: 0
; COMPUTE_PGM_RSRC2:TGID_X_EN: 1
; COMPUTE_PGM_RSRC2:TGID_Y_EN: 1
; COMPUTE_PGM_RSRC2:TGID_Z_EN: 1
; COMPUTE_PGM_RSRC2:TIDIG_COMP_CNT: 1
	.section	.text._ZL33flash_attn_stream_k_fixup_uniformILi128ELi4ELi2EEvPfPK15HIP_vector_typeIfLj2EEiiiiiiS1_IjLj3EES5_S5_,"axG",@progbits,_ZL33flash_attn_stream_k_fixup_uniformILi128ELi4ELi2EEvPfPK15HIP_vector_typeIfLj2EEiiiiiiS1_IjLj3EES5_S5_,comdat
	.globl	_ZL33flash_attn_stream_k_fixup_uniformILi128ELi4ELi2EEvPfPK15HIP_vector_typeIfLj2EEiiiiiiS1_IjLj3EES5_S5_ ; -- Begin function _ZL33flash_attn_stream_k_fixup_uniformILi128ELi4ELi2EEvPfPK15HIP_vector_typeIfLj2EEiiiiiiS1_IjLj3EES5_S5_
	.p2align	8
	.type	_ZL33flash_attn_stream_k_fixup_uniformILi128ELi4ELi2EEvPfPK15HIP_vector_typeIfLj2EEiiiiiiS1_IjLj3EES5_S5_,@function
_ZL33flash_attn_stream_k_fixup_uniformILi128ELi4ELi2EEvPfPK15HIP_vector_typeIfLj2EEiiiiiiS1_IjLj3EES5_S5_: ; @_ZL33flash_attn_stream_k_fixup_uniformILi128ELi4ELi2EEvPfPK15HIP_vector_typeIfLj2EEiiiiiiS1_IjLj3EES5_S5_
; %bb.0:
	s_load_dwordx8 s[12:19], s[4:5], 0x1c
	s_load_dwordx2 s[10:11], s[4:5], 0x10
	s_load_dwordx4 s[0:3], s[4:5], 0x3c
	s_waitcnt lgkmcnt(0)
	s_mul_hi_u32 s9, s15, s6
	s_add_i32 s9, s6, s9
	s_lshr_b32 s9, s9, s16
	s_mul_i32 s15, s9, s17
	s_sub_i32 s15, s6, s15
	s_mul_hi_u32 s16, s15, s18
	s_add_i32 s16, s15, s16
	s_lshr_b32 s16, s16, s19
	s_mul_i32 s0, s16, s0
	s_sub_i32 s0, s15, s0
	;; [unrolled: 5-line block ×3, first 2 shown]
	s_lshl_b32 s0, s17, 2
	s_lshl_b32 s15, s1, 1
	s_add_i32 s0, s0, s7
	s_cmp_lt_i32 s0, s10
	s_cselect_b64 s[0:1], -1, 0
	s_add_i32 s2, s15, s8
	s_cmp_lt_i32 s2, s13
	s_cselect_b64 s[2:3], -1, 0
	s_and_b64 s[0:1], s[0:1], s[2:3]
	s_andn2_b64 vcc, exec, s[0:1]
	s_cbranch_vccnz .LBB44_6
; %bb.1:
	s_load_dwordx4 s[0:3], s[4:5], 0x0
	s_mul_i32 s4, s9, s10
	s_add_i32 s4, s4, s7
	s_mul_i32 s4, s4, s11
	s_mul_i32 s16, s16, s13
	s_add_i32 s4, s4, s8
	s_add_i32 s4, s4, s16
	s_mul_i32 s5, s11, s17
	s_add_i32 s4, s4, s15
	s_lshl_b32 s5, s5, 9
	s_lshl_b32 s4, s4, 7
	s_add_i32 s5, s5, s4
	v_or_b32_e32 v1, s5, v0
	v_ashrrev_i32_e32 v2, 31, v1
	v_lshlrev_b64 v[1:2], 2, v[1:2]
	s_waitcnt lgkmcnt(0)
	v_mov_b32_e32 v3, s1
	v_add_co_u32_e32 v1, vcc, s0, v1
	v_addc_co_u32_e32 v2, vcc, v3, v2, vcc
	global_load_dword v8, v[1:2], off
	s_mul_i32 s9, s14, s6
	s_lshl_b32 s4, s7, 1
	s_add_i32 s11, s9, s14
	s_add_i32 s0, s4, s8
	s_lshl_b32 s1, s11, 3
	s_add_i32 s0, s0, s1
	s_add_i32 s0, s0, -8
	s_ashr_i32 s1, s0, 31
	s_lshl_b64 s[0:1], s[0:1], 3
	s_add_u32 s0, s2, s0
	s_addc_u32 s1, s3, s1
	s_load_dword s5, s[0:1], 0x4
	s_add_i32 s10, s11, -2
	s_cmp_lt_i32 s10, s9
	s_cbranch_scc1 .LBB44_4
; %bb.2:
	s_lshl_b32 s16, s12, 5
	s_ashr_i32 s17, s16, 31
	s_lshl_b64 s[16:17], s[16:17], 2
	s_add_u32 s10, s2, s16
	s_addc_u32 s13, s3, s17
	s_add_i32 s6, s6, 1
	s_load_dword s0, s[0:1], 0x0
	s_mul_i32 s1, s14, s6
	s_lshl_b32 s7, s7, 8
	s_lshl_b32 s14, s8, 7
	s_lshl_b32 s6, s1, 10
	s_add_i32 s7, s14, s7
	s_lshl_b32 s1, s1, 3
	s_add_i32 s7, s7, s6
	s_add_i32 s1, s8, s1
	s_lshl_b32 s6, s12, 3
	s_add_i32 s1, s1, s6
	v_or_b32_e32 v0, s7, v0
	s_add_i32 s1, s1, s4
	s_add_i32 s11, s11, -1
	v_add_u32_e32 v3, 0xfffff800, v0
	s_add_i32 s4, s1, -16
	s_waitcnt lgkmcnt(0)
	v_mov_b32_e32 v7, s5
	v_mov_b32_e32 v6, s0
	;; [unrolled: 1-line block ×3, first 2 shown]
	s_mov_b32 s6, 0x3fb8aa3b
	s_mov_b32 s7, 0xc2ce8ed0
	;; [unrolled: 1-line block ×3, first 2 shown]
	v_mov_b32_e32 v5, 0x7f800000
	s_mov_b32 s12, 0xc1a00000
.LBB44_3:                               ; =>This Inner Loop Header: Depth=1
	v_ashrrev_i32_e32 v4, 31, v3
	v_lshlrev_b64 v[9:10], 2, v[3:4]
	s_ashr_i32 s5, s4, 31
	v_add_co_u32_e32 v9, vcc, s10, v9
	v_addc_co_u32_e32 v10, vcc, v0, v10, vcc
	global_load_dword v4, v[9:10], off
	s_lshl_b64 s[0:1], s[4:5], 3
	s_add_u32 s0, s2, s0
	s_addc_u32 s1, s3, s1
	s_load_dwordx2 s[14:15], s[0:1], 0x0
	s_waitcnt vmcnt(1)
	v_mov_b32_e32 v9, v8
	v_max_f32_e32 v8, v6, v6
	v_mov_b32_e32 v10, v7
	s_add_i32 s11, s11, -1
	s_waitcnt lgkmcnt(0)
	v_max_f32_e64 v7, s14, s14
	v_max_f32_e32 v7, v8, v7
	v_sub_f32_e32 v11, s14, v7
	v_sub_f32_e32 v8, v6, v7
	v_mul_f32_e32 v12, 0x3fb8aa3b, v11
	v_mov_b32_e32 v6, v7
	v_mul_f32_e32 v7, 0x3fb8aa3b, v8
	v_fma_f32 v15, v11, s6, -v12
	v_rndne_f32_e32 v16, v12
	v_fma_f32 v13, v8, s6, -v7
	v_rndne_f32_e32 v14, v7
	v_fmac_f32_e32 v15, 0x32a5705f, v11
	v_sub_f32_e32 v12, v12, v16
	v_fmac_f32_e32 v13, 0x32a5705f, v8
	v_sub_f32_e32 v7, v7, v14
	v_add_f32_e32 v12, v12, v15
	v_cvt_i32_f32_e32 v16, v16
	v_add_f32_e32 v7, v7, v13
	v_exp_f32_e32 v12, v12
	v_cvt_i32_f32_e32 v14, v14
	v_exp_f32_e32 v7, v7
	v_cmp_ngt_f32_e32 vcc, s7, v11
	v_ldexp_f32 v12, v12, v16
	v_cmp_ngt_f32_e64 s[0:1], s7, v8
	v_ldexp_f32 v7, v7, v14
	v_cndmask_b32_e32 v12, 0, v12, vcc
	v_cmp_nlt_f32_e32 vcc, s8, v11
	v_cndmask_b32_e64 v7, 0, v7, s[0:1]
	v_cmp_nlt_f32_e64 s[0:1], s8, v8
	v_cndmask_b32_e32 v12, v5, v12, vcc
	v_cmp_le_f32_e32 vcc, s12, v11
	v_cndmask_b32_e64 v7, v5, v7, s[0:1]
	v_cmp_le_f32_e64 s[0:1], s12, v8
	v_cndmask_b32_e32 v8, 0, v12, vcc
	s_add_i32 s4, s4, -8
	v_cndmask_b32_e64 v11, 0, v7, s[0:1]
	v_mul_f32_e32 v7, s15, v8
	v_add_u32_e32 v3, 0xfffffc00, v3
	s_cmp_le_i32 s11, s9
	v_fmac_f32_e32 v7, v10, v11
	s_waitcnt vmcnt(0)
	v_mul_f32_e32 v8, v4, v8
	v_fmac_f32_e32 v8, v9, v11
	s_cbranch_scc0 .LBB44_3
	s_branch .LBB44_5
.LBB44_4:
	s_waitcnt lgkmcnt(0)
	v_mov_b32_e32 v7, s5
.LBB44_5:
	s_waitcnt vmcnt(0)
	v_div_scale_f32 v0, s[0:1], v7, v7, v8
	v_div_scale_f32 v3, vcc, v8, v7, v8
	v_rcp_f32_e32 v4, v0
	v_fma_f32 v5, -v0, v4, 1.0
	v_fmac_f32_e32 v4, v5, v4
	v_mul_f32_e32 v5, v3, v4
	v_fma_f32 v6, -v0, v5, v3
	v_fmac_f32_e32 v5, v6, v4
	v_fma_f32 v0, -v0, v5, v3
	v_div_fmas_f32 v0, v0, v4, v5
	v_div_fixup_f32 v0, v0, v7, v8
	global_store_dword v[1:2], v0, off
.LBB44_6:
	s_endpgm
	.section	.rodata,"a",@progbits
	.p2align	6, 0x0
	.amdhsa_kernel _ZL33flash_attn_stream_k_fixup_uniformILi128ELi4ELi2EEvPfPK15HIP_vector_typeIfLj2EEiiiiiiS1_IjLj3EES5_S5_
		.amdhsa_group_segment_fixed_size 0
		.amdhsa_private_segment_fixed_size 0
		.amdhsa_kernarg_size 76
		.amdhsa_user_sgpr_count 6
		.amdhsa_user_sgpr_private_segment_buffer 1
		.amdhsa_user_sgpr_dispatch_ptr 0
		.amdhsa_user_sgpr_queue_ptr 0
		.amdhsa_user_sgpr_kernarg_segment_ptr 1
		.amdhsa_user_sgpr_dispatch_id 0
		.amdhsa_user_sgpr_flat_scratch_init 0
		.amdhsa_user_sgpr_private_segment_size 0
		.amdhsa_uses_dynamic_stack 0
		.amdhsa_system_sgpr_private_segment_wavefront_offset 0
		.amdhsa_system_sgpr_workgroup_id_x 1
		.amdhsa_system_sgpr_workgroup_id_y 1
		.amdhsa_system_sgpr_workgroup_id_z 1
		.amdhsa_system_sgpr_workgroup_info 0
		.amdhsa_system_vgpr_workitem_id 0
		.amdhsa_next_free_vgpr 17
		.amdhsa_next_free_sgpr 20
		.amdhsa_reserve_vcc 1
		.amdhsa_reserve_flat_scratch 0
		.amdhsa_float_round_mode_32 0
		.amdhsa_float_round_mode_16_64 0
		.amdhsa_float_denorm_mode_32 3
		.amdhsa_float_denorm_mode_16_64 3
		.amdhsa_dx10_clamp 1
		.amdhsa_ieee_mode 1
		.amdhsa_fp16_overflow 0
		.amdhsa_exception_fp_ieee_invalid_op 0
		.amdhsa_exception_fp_denorm_src 0
		.amdhsa_exception_fp_ieee_div_zero 0
		.amdhsa_exception_fp_ieee_overflow 0
		.amdhsa_exception_fp_ieee_underflow 0
		.amdhsa_exception_fp_ieee_inexact 0
		.amdhsa_exception_int_div_zero 0
	.end_amdhsa_kernel
	.section	.text._ZL33flash_attn_stream_k_fixup_uniformILi128ELi4ELi2EEvPfPK15HIP_vector_typeIfLj2EEiiiiiiS1_IjLj3EES5_S5_,"axG",@progbits,_ZL33flash_attn_stream_k_fixup_uniformILi128ELi4ELi2EEvPfPK15HIP_vector_typeIfLj2EEiiiiiiS1_IjLj3EES5_S5_,comdat
.Lfunc_end44:
	.size	_ZL33flash_attn_stream_k_fixup_uniformILi128ELi4ELi2EEvPfPK15HIP_vector_typeIfLj2EEiiiiiiS1_IjLj3EES5_S5_, .Lfunc_end44-_ZL33flash_attn_stream_k_fixup_uniformILi128ELi4ELi2EEvPfPK15HIP_vector_typeIfLj2EEiiiiiiS1_IjLj3EES5_S5_
                                        ; -- End function
	.set _ZL33flash_attn_stream_k_fixup_uniformILi128ELi4ELi2EEvPfPK15HIP_vector_typeIfLj2EEiiiiiiS1_IjLj3EES5_S5_.num_vgpr, 17
	.set _ZL33flash_attn_stream_k_fixup_uniformILi128ELi4ELi2EEvPfPK15HIP_vector_typeIfLj2EEiiiiiiS1_IjLj3EES5_S5_.num_agpr, 0
	.set _ZL33flash_attn_stream_k_fixup_uniformILi128ELi4ELi2EEvPfPK15HIP_vector_typeIfLj2EEiiiiiiS1_IjLj3EES5_S5_.numbered_sgpr, 20
	.set _ZL33flash_attn_stream_k_fixup_uniformILi128ELi4ELi2EEvPfPK15HIP_vector_typeIfLj2EEiiiiiiS1_IjLj3EES5_S5_.num_named_barrier, 0
	.set _ZL33flash_attn_stream_k_fixup_uniformILi128ELi4ELi2EEvPfPK15HIP_vector_typeIfLj2EEiiiiiiS1_IjLj3EES5_S5_.private_seg_size, 0
	.set _ZL33flash_attn_stream_k_fixup_uniformILi128ELi4ELi2EEvPfPK15HIP_vector_typeIfLj2EEiiiiiiS1_IjLj3EES5_S5_.uses_vcc, 1
	.set _ZL33flash_attn_stream_k_fixup_uniformILi128ELi4ELi2EEvPfPK15HIP_vector_typeIfLj2EEiiiiiiS1_IjLj3EES5_S5_.uses_flat_scratch, 0
	.set _ZL33flash_attn_stream_k_fixup_uniformILi128ELi4ELi2EEvPfPK15HIP_vector_typeIfLj2EEiiiiiiS1_IjLj3EES5_S5_.has_dyn_sized_stack, 0
	.set _ZL33flash_attn_stream_k_fixup_uniformILi128ELi4ELi2EEvPfPK15HIP_vector_typeIfLj2EEiiiiiiS1_IjLj3EES5_S5_.has_recursion, 0
	.set _ZL33flash_attn_stream_k_fixup_uniformILi128ELi4ELi2EEvPfPK15HIP_vector_typeIfLj2EEiiiiiiS1_IjLj3EES5_S5_.has_indirect_call, 0
	.section	.AMDGPU.csdata,"",@progbits
; Kernel info:
; codeLenInByte = 856
; TotalNumSgprs: 24
; NumVgprs: 17
; ScratchSize: 0
; MemoryBound: 0
; FloatMode: 240
; IeeeMode: 1
; LDSByteSize: 0 bytes/workgroup (compile time only)
; SGPRBlocks: 2
; VGPRBlocks: 4
; NumSGPRsForWavesPerEU: 24
; NumVGPRsForWavesPerEU: 17
; Occupancy: 10
; WaveLimiterHint : 0
; COMPUTE_PGM_RSRC2:SCRATCH_EN: 0
; COMPUTE_PGM_RSRC2:USER_SGPR: 6
; COMPUTE_PGM_RSRC2:TRAP_HANDLER: 0
; COMPUTE_PGM_RSRC2:TGID_X_EN: 1
; COMPUTE_PGM_RSRC2:TGID_Y_EN: 1
; COMPUTE_PGM_RSRC2:TGID_Z_EN: 1
; COMPUTE_PGM_RSRC2:TIDIG_COMP_CNT: 0
	.section	.text._ZL33flash_attn_stream_k_fixup_generalILi128ELi4ELi2EEvPfPK15HIP_vector_typeIfLj2EEiiiiS1_IjLj3EES5_S5_S5_,"axG",@progbits,_ZL33flash_attn_stream_k_fixup_generalILi128ELi4ELi2EEvPfPK15HIP_vector_typeIfLj2EEiiiiS1_IjLj3EES5_S5_S5_,comdat
	.globl	_ZL33flash_attn_stream_k_fixup_generalILi128ELi4ELi2EEvPfPK15HIP_vector_typeIfLj2EEiiiiS1_IjLj3EES5_S5_S5_ ; -- Begin function _ZL33flash_attn_stream_k_fixup_generalILi128ELi4ELi2EEvPfPK15HIP_vector_typeIfLj2EEiiiiS1_IjLj3EES5_S5_S5_
	.p2align	8
	.type	_ZL33flash_attn_stream_k_fixup_generalILi128ELi4ELi2EEvPfPK15HIP_vector_typeIfLj2EEiiiiS1_IjLj3EES5_S5_S5_,@function
_ZL33flash_attn_stream_k_fixup_generalILi128ELi4ELi2EEvPfPK15HIP_vector_typeIfLj2EEiiiiS1_IjLj3EES5_S5_S5_: ; @_ZL33flash_attn_stream_k_fixup_generalILi128ELi4ELi2EEvPfPK15HIP_vector_typeIfLj2EEiiiiS1_IjLj3EES5_S5_S5_
; %bb.0:
	s_load_dwordx4 s[0:3], s[4:5], 0x10
	s_load_dword s22, s[4:5], 0x50
	s_mov_b32 s12, 0
	s_waitcnt lgkmcnt(0)
	s_mul_hi_i32 s13, s3, s6
	s_cmp_lg_u64 s[12:13], 0
	s_mul_i32 s9, s3, s6
	s_cbranch_scc0 .LBB45_20
; %bb.1:
	s_add_u32 s10, s22, 0
	s_addc_u32 s11, 0, 0
	s_xor_b64 s[10:11], s[10:11], 0
	v_cvt_f32_u32_e32 v1, s10
	v_cvt_f32_u32_e32 v2, s11
	s_sub_u32 s12, 0, s10
	s_subb_u32 s18, 0, s11
	v_madmk_f32 v1, v2, 0x4f800000, v1
	v_rcp_f32_e32 v1, v1
	v_mul_f32_e32 v1, 0x5f7ffffc, v1
	v_mul_f32_e32 v2, 0x2f800000, v1
	v_trunc_f32_e32 v2, v2
	v_madmk_f32 v1, v2, 0xcf800000, v1
	v_cvt_u32_f32_e32 v2, v2
	v_cvt_u32_f32_e32 v1, v1
	v_readfirstlane_b32 s19, v2
	v_readfirstlane_b32 s14, v1
	s_mul_i32 s15, s12, s19
	s_mul_hi_u32 s21, s12, s14
	s_mul_i32 s20, s18, s14
	s_add_i32 s15, s21, s15
	s_add_i32 s15, s15, s20
	s_mul_i32 s23, s12, s14
	s_mul_i32 s21, s14, s15
	s_mul_hi_u32 s24, s14, s23
	s_mul_hi_u32 s20, s14, s15
	s_add_u32 s21, s24, s21
	s_addc_u32 s20, 0, s20
	s_mul_hi_u32 s25, s19, s23
	s_mul_i32 s23, s19, s23
	s_add_u32 s21, s21, s23
	s_mul_hi_u32 s24, s19, s15
	s_addc_u32 s20, s20, s25
	s_addc_u32 s21, s24, 0
	s_mul_i32 s15, s19, s15
	s_add_u32 s15, s20, s15
	s_addc_u32 s20, 0, s21
	s_add_u32 s21, s14, s15
	s_cselect_b64 s[14:15], -1, 0
	s_cmp_lg_u64 s[14:15], 0
	s_addc_u32 s19, s19, s20
	s_mul_i32 s14, s12, s19
	s_mul_hi_u32 s15, s12, s21
	s_add_i32 s14, s15, s14
	s_mul_i32 s18, s18, s21
	s_add_i32 s14, s14, s18
	s_mul_i32 s12, s12, s21
	s_mul_hi_u32 s18, s19, s12
	s_mul_i32 s20, s19, s12
	s_mul_i32 s24, s21, s14
	s_mul_hi_u32 s12, s21, s12
	s_mul_hi_u32 s23, s21, s14
	s_add_u32 s12, s12, s24
	s_addc_u32 s23, 0, s23
	s_add_u32 s12, s12, s20
	s_mul_hi_u32 s15, s19, s14
	s_addc_u32 s12, s23, s18
	s_addc_u32 s15, s15, 0
	s_mul_i32 s14, s19, s14
	s_add_u32 s12, s12, s14
	s_addc_u32 s18, 0, s15
	s_add_u32 s20, s21, s12
	s_cselect_b64 s[14:15], -1, 0
	s_cmp_lg_u64 s[14:15], 0
	s_addc_u32 s18, s19, s18
	s_ashr_i32 s14, s13, 31
	s_add_u32 s12, s9, s14
	s_mov_b32 s15, s14
	s_addc_u32 s13, s13, s14
	s_xor_b64 s[12:13], s[12:13], s[14:15]
	s_mul_i32 s21, s12, s18
	s_mul_hi_u32 s23, s12, s20
	s_mul_hi_u32 s19, s12, s18
	s_add_u32 s21, s23, s21
	s_addc_u32 s19, 0, s19
	s_mul_hi_u32 s24, s13, s20
	s_mul_i32 s20, s13, s20
	s_add_u32 s20, s21, s20
	s_mul_hi_u32 s23, s13, s18
	s_addc_u32 s19, s19, s24
	s_addc_u32 s20, s23, 0
	s_mul_i32 s18, s13, s18
	s_add_u32 s23, s19, s18
	s_addc_u32 s24, 0, s20
	s_mul_i32 s18, s10, s24
	s_mul_hi_u32 s19, s10, s23
	s_add_i32 s18, s19, s18
	s_mul_i32 s19, s11, s23
	s_add_i32 s25, s18, s19
	s_sub_i32 s20, s13, s25
	s_mul_i32 s18, s10, s23
	s_sub_u32 s12, s12, s18
	s_cselect_b64 s[18:19], -1, 0
	s_cmp_lg_u64 s[18:19], 0
	s_subb_u32 s26, s20, s11
	s_sub_u32 s27, s12, s10
	s_cselect_b64 s[20:21], -1, 0
	s_cmp_lg_u64 s[20:21], 0
	s_subb_u32 s20, s26, 0
	s_cmp_ge_u32 s20, s11
	s_cselect_b32 s21, -1, 0
	s_cmp_ge_u32 s27, s10
	s_cselect_b32 s26, -1, 0
	s_cmp_eq_u32 s20, s11
	s_cselect_b32 s20, s26, s21
	s_add_u32 s21, s23, 1
	s_addc_u32 s26, s24, 0
	s_add_u32 s27, s23, 2
	s_addc_u32 s28, s24, 0
	s_cmp_lg_u32 s20, 0
	s_cselect_b32 s20, s27, s21
	s_cselect_b32 s21, s28, s26
	s_cmp_lg_u64 s[18:19], 0
	s_subb_u32 s13, s13, s25
	s_cmp_ge_u32 s13, s11
	s_cselect_b32 s18, -1, 0
	s_cmp_ge_u32 s12, s10
	s_cselect_b32 s10, -1, 0
	s_cmp_eq_u32 s13, s11
	s_cselect_b32 s10, s10, s18
	s_cmp_lg_u32 s10, 0
	s_cselect_b32 s11, s21, s24
	s_cselect_b32 s10, s20, s23
	s_xor_b64 s[12:13], s[14:15], 0
	s_xor_b64 s[10:11], s[10:11], s[12:13]
	s_sub_u32 s10, s10, s12
	s_load_dwordx4 s[12:15], s[4:5], 0x44
	s_cbranch_execnz .LBB45_3
.LBB45_2:
	v_cvt_f32_u32_e32 v1, s22
	s_sub_i32 s10, 0, s22
	v_rcp_iflag_f32_e32 v1, v1
	v_mul_f32_e32 v1, 0x4f7ffffe, v1
	v_cvt_u32_f32_e32 v1, v1
	v_readfirstlane_b32 s11, v1
	s_mul_i32 s10, s10, s11
	s_mul_hi_u32 s10, s11, s10
	s_add_i32 s11, s11, s10
	s_mul_hi_u32 s10, s9, s11
	s_waitcnt lgkmcnt(0)
	s_mul_i32 s15, s10, s22
	s_sub_i32 s9, s9, s15
	s_add_i32 s11, s10, 1
	s_sub_i32 s15, s9, s22
	s_cmp_ge_u32 s9, s22
	s_cselect_b32 s10, s11, s10
	s_cselect_b32 s9, s15, s9
	s_add_i32 s11, s10, 1
	s_cmp_ge_u32 s9, s22
	s_cselect_b32 s10, s11, s10
.LBB45_3:
	s_add_i32 s9, s6, 1
	s_mul_hi_i32 s21, s3, s9
	s_mov_b32 s20, 0
	s_cmp_lg_u64 s[20:21], 0
	s_mul_i32 s9, s3, s9
	s_cbranch_scc0 .LBB45_21
; %bb.4:
	s_add_u32 s16, s22, 0
	s_addc_u32 s17, 0, 0
	s_xor_b64 s[18:19], s[16:17], 0
	v_cvt_f32_u32_e32 v1, s18
	v_cvt_f32_u32_e32 v2, s19
	s_sub_u32 s11, 0, s18
	s_waitcnt lgkmcnt(0)
	s_subb_u32 s15, 0, s19
	v_madmk_f32 v1, v2, 0x4f800000, v1
	v_rcp_f32_e32 v1, v1
	v_mul_f32_e32 v1, 0x5f7ffffc, v1
	v_mul_f32_e32 v2, 0x2f800000, v1
	v_trunc_f32_e32 v2, v2
	v_madmk_f32 v1, v2, 0xcf800000, v1
	v_cvt_u32_f32_e32 v2, v2
	v_cvt_u32_f32_e32 v1, v1
	v_readfirstlane_b32 s20, v2
	v_readfirstlane_b32 s23, v1
	s_mul_i32 s24, s11, s20
	s_mul_hi_u32 s26, s11, s23
	s_mul_i32 s25, s15, s23
	s_add_i32 s24, s26, s24
	s_add_i32 s24, s24, s25
	s_mul_i32 s27, s11, s23
	s_mul_i32 s26, s23, s24
	s_mul_hi_u32 s28, s23, s27
	s_mul_hi_u32 s25, s23, s24
	s_add_u32 s26, s28, s26
	s_addc_u32 s25, 0, s25
	s_mul_hi_u32 s29, s20, s27
	s_mul_i32 s27, s20, s27
	s_add_u32 s26, s26, s27
	s_mul_hi_u32 s28, s20, s24
	s_addc_u32 s25, s25, s29
	s_addc_u32 s26, s28, 0
	s_mul_i32 s24, s20, s24
	s_add_u32 s24, s25, s24
	s_addc_u32 s26, 0, s26
	s_add_u32 s23, s23, s24
	s_cselect_b64 s[24:25], -1, 0
	s_cmp_lg_u64 s[24:25], 0
	s_addc_u32 s20, s20, s26
	s_mul_i32 s24, s11, s20
	s_mul_hi_u32 s25, s11, s23
	s_add_i32 s24, s25, s24
	s_mul_i32 s15, s15, s23
	s_add_i32 s24, s24, s15
	s_mul_i32 s11, s11, s23
	s_mul_hi_u32 s25, s20, s11
	s_mul_i32 s26, s20, s11
	s_mul_i32 s28, s23, s24
	s_mul_hi_u32 s11, s23, s11
	s_mul_hi_u32 s27, s23, s24
	s_add_u32 s11, s11, s28
	s_addc_u32 s27, 0, s27
	s_add_u32 s11, s11, s26
	s_mul_hi_u32 s15, s20, s24
	s_addc_u32 s11, s27, s25
	s_addc_u32 s15, s15, 0
	s_mul_i32 s24, s20, s24
	s_add_u32 s11, s11, s24
	s_addc_u32 s15, 0, s15
	s_add_u32 s11, s23, s11
	s_cselect_b64 s[24:25], -1, 0
	s_cmp_lg_u64 s[24:25], 0
	s_addc_u32 s15, s20, s15
	s_ashr_i32 s24, s21, 31
	s_add_u32 s20, s9, s24
	s_mov_b32 s25, s24
	s_addc_u32 s21, s21, s24
	s_xor_b64 s[20:21], s[20:21], s[24:25]
	s_mul_i32 s26, s20, s15
	s_mul_hi_u32 s27, s20, s11
	s_mul_hi_u32 s23, s20, s15
	s_add_u32 s26, s27, s26
	s_addc_u32 s23, 0, s23
	s_mul_hi_u32 s28, s21, s11
	s_mul_i32 s11, s21, s11
	s_add_u32 s11, s26, s11
	s_mul_hi_u32 s27, s21, s15
	s_addc_u32 s11, s23, s28
	s_addc_u32 s23, s27, 0
	s_mul_i32 s15, s21, s15
	s_add_u32 s11, s11, s15
	s_addc_u32 s15, 0, s23
	s_mul_i32 s23, s18, s15
	s_mul_hi_u32 s26, s18, s11
	s_add_i32 s23, s26, s23
	s_mul_i32 s26, s19, s11
	s_add_i32 s23, s23, s26
	s_sub_i32 s28, s21, s23
	s_mul_i32 s26, s18, s11
	s_sub_u32 s20, s20, s26
	s_cselect_b64 s[26:27], -1, 0
	s_cmp_lg_u64 s[26:27], 0
	s_subb_u32 s30, s28, s19
	s_sub_u32 s31, s20, s18
	s_cselect_b64 s[28:29], -1, 0
	s_cmp_lg_u64 s[28:29], 0
	s_subb_u32 s28, s30, 0
	s_cmp_ge_u32 s28, s19
	s_cselect_b32 s29, -1, 0
	s_cmp_ge_u32 s31, s18
	s_cselect_b32 s30, -1, 0
	s_cmp_eq_u32 s28, s19
	s_cselect_b32 s28, s30, s29
	s_add_u32 s29, s11, 1
	s_addc_u32 s30, s15, 0
	s_add_u32 s31, s11, 2
	s_addc_u32 s33, s15, 0
	s_cmp_lg_u32 s28, 0
	s_cselect_b32 s28, s31, s29
	s_cselect_b32 s29, s33, s30
	s_cmp_lg_u64 s[26:27], 0
	s_subb_u32 s21, s21, s23
	s_cmp_ge_u32 s21, s19
	s_cselect_b32 s23, -1, 0
	s_cmp_ge_u32 s20, s18
	s_cselect_b32 s18, -1, 0
	s_cmp_eq_u32 s21, s19
	s_cselect_b32 s18, s18, s23
	s_cmp_lg_u32 s18, 0
	s_cselect_b32 s19, s29, s15
	s_cselect_b32 s18, s28, s11
	s_xor_b64 s[20:21], s[24:25], 0
	s_xor_b64 s[18:19], s[18:19], s[20:21]
	s_sub_u32 s18, s18, s20
	s_cbranch_execnz .LBB45_6
.LBB45_5:
	v_cvt_f32_u32_e32 v1, s22
	s_sub_i32 s11, 0, s22
	v_rcp_iflag_f32_e32 v1, v1
	v_mul_f32_e32 v1, 0x4f7ffffe, v1
	v_cvt_u32_f32_e32 v1, v1
	s_waitcnt lgkmcnt(0)
	v_readfirstlane_b32 s15, v1
	s_mul_i32 s11, s11, s15
	s_mul_hi_u32 s11, s15, s11
	s_add_i32 s15, s15, s11
	s_mul_hi_u32 s11, s9, s15
	s_mul_i32 s16, s11, s22
	s_sub_i32 s9, s9, s16
	s_add_i32 s15, s11, 1
	s_sub_i32 s16, s9, s22
	s_cmp_ge_u32 s9, s22
	s_cselect_b32 s11, s15, s11
	s_cselect_b32 s9, s16, s9
	s_add_i32 s15, s11, 1
	s_cmp_ge_u32 s9, s22
	s_cselect_b32 s18, s15, s11
.LBB45_6:
	s_cmp_eq_u32 s10, s18
	s_waitcnt lgkmcnt(0)
	s_mul_hi_u32 s9, s10, s12
	s_cselect_b64 s[16:17], -1, 0
	s_add_i32 s9, s9, s10
	s_lshr_b32 s11, s9, s13
	s_mul_i32 s9, s11, s14
	s_cmp_eq_u32 s9, s10
	s_mul_hi_u32 s9, s18, s12
	s_cselect_b64 s[20:21], -1, 0
	s_add_i32 s9, s9, s18
	s_lshr_b32 s9, s9, s13
	s_cmp_eq_u32 s11, s9
	s_mul_i32 s9, s9, s14
	s_cselect_b64 s[24:25], -1, 0
	s_cmp_lg_u32 s9, s18
	s_cselect_b64 s[18:19], -1, 0
	s_and_b64 s[18:19], s[24:25], s[18:19]
	s_or_b64 s[16:17], s[16:17], s[20:21]
	s_or_b64 s[16:17], s[16:17], s[18:19]
	s_and_b64 vcc, exec, s[16:17]
	s_cbranch_vccnz .LBB45_23
; %bb.7:
	s_load_dwordx8 s[24:31], s[4:5], 0x20
	s_load_dword s15, s[4:5], 0x40
	s_waitcnt lgkmcnt(0)
	s_mul_hi_u32 s9, s10, s24
	s_add_i32 s9, s9, s10
	s_lshr_b32 s9, s9, s25
	s_mul_i32 s16, s9, s26
	s_sub_i32 s16, s10, s16
	s_mul_hi_u32 s17, s16, s27
	s_add_i32 s17, s16, s17
	s_lshr_b32 s23, s17, s28
	s_mul_i32 s17, s23, s29
	s_sub_i32 s16, s16, s17
	;; [unrolled: 5-line block ×3, first 2 shown]
	s_mul_hi_u32 s16, s15, s12
	s_add_i32 s15, s15, s16
	s_lshr_b32 s25, s15, s13
	s_lshl_b32 s15, s25, 2
	s_lshl_b32 s24, s17, 1
	s_add_i32 s15, s15, s7
	s_cmp_lt_i32 s15, s0
	s_cselect_b64 s[16:17], -1, 0
	s_add_i32 s15, s24, s8
	s_cmp_lt_i32 s15, s2
	s_cselect_b64 s[18:19], -1, 0
	s_and_b64 s[16:17], s[16:17], s[18:19]
	s_andn2_b64 vcc, exec, s[16:17]
	s_cbranch_vccnz .LBB45_23
; %bb.8:
	s_load_dwordx4 s[16:19], s[4:5], 0x0
	s_mov_b32 s4, 0
	s_lshl_b32 s15, s7, 1
	s_lshl_b32 s20, s22, 5
	s_mov_b32 s21, s4
	s_add_i32 s15, s15, s8
	s_lshl_b64 s[20:21], s[20:21], 2
	s_waitcnt lgkmcnt(0)
	s_add_u32 s20, s18, s20
	s_mul_i32 s0, s9, s0
	s_addc_u32 s21, s19, s21
	s_add_i32 s0, s0, s7
	s_mul_i32 s0, s0, s1
	s_mul_i32 s23, s23, s2
	s_add_i32 s0, s0, s8
	s_add_i32 s0, s0, s23
	s_mul_i32 s2, s1, s25
	s_add_i32 s0, s0, s24
	s_lshl_b32 s2, s2, 9
	s_lshl_b32 s0, s0, 7
	s_add_i32 s2, s2, s0
	v_or_b32_e32 v1, s2, v0
	v_ashrrev_i32_e32 v2, 31, v1
	v_lshlrev_b64 v[1:2], 2, v[1:2]
	v_mov_b32_e32 v3, s17
	v_add_co_u32_e32 v1, vcc, s16, v1
	v_addc_co_u32_e32 v2, vcc, v3, v2, vcc
	global_load_dword v3, v[1:2], off
	v_cvt_f32_u32_e32 v4, s22
	s_lshl_b32 s0, s6, 3
	s_add_i32 s0, s15, s0
	s_ashr_i32 s1, s0, 31
	s_lshl_b64 s[0:1], s[0:1], 3
	v_rcp_iflag_f32_e32 v4, v4
	s_add_u32 s0, s18, s0
	s_addc_u32 s1, s19, s1
	s_load_dwordx2 s[0:1], s[0:1], 0x0
	v_mul_f32_e32 v4, 0x4f7ffffe, v4
	v_cvt_u32_f32_e32 v4, v4
	s_add_i32 s24, s6, -1
	v_lshl_or_b32 v0, s15, 7, v0
	s_waitcnt lgkmcnt(0)
	v_mov_b32_e32 v6, s1
	v_mov_b32_e32 v7, s0
	s_mov_b32 s2, 0x3fb8aa3b
	s_mov_b32 s16, 0xc2ce8ed0
	;; [unrolled: 1-line block ×4, first 2 shown]
	v_mov_b32_e32 v5, 0x7f800000
	s_mul_hi_i32 s5, s24, s3
	s_cmp_lg_u64 s[4:5], 0
	s_mul_i32 s8, s24, s3
	s_cbranch_scc0 .LBB45_19
.LBB45_9:
	s_add_u32 s0, s22, 0
	s_addc_u32 s1, 0, 0
	s_xor_b64 s[0:1], s[0:1], 0
	v_cvt_f32_u32_e32 v8, s0
	v_cvt_f32_u32_e32 v9, s1
	s_sub_u32 s9, 0, s0
	s_subb_u32 s25, 0, s1
	v_mac_f32_e32 v8, 0x4f800000, v9
	v_rcp_f32_e32 v8, v8
	v_mul_f32_e32 v8, 0x5f7ffffc, v8
	v_mul_f32_e32 v9, 0x2f800000, v8
	v_trunc_f32_e32 v9, v9
	v_mac_f32_e32 v8, 0xcf800000, v9
	v_cvt_u32_f32_e32 v9, v9
	v_cvt_u32_f32_e32 v8, v8
	v_readfirstlane_b32 s26, v9
	v_readfirstlane_b32 s6, v8
	s_mul_i32 s7, s9, s26
	s_mul_hi_u32 s28, s9, s6
	s_mul_i32 s27, s25, s6
	s_add_i32 s7, s28, s7
	s_mul_i32 s29, s9, s6
	s_add_i32 s7, s7, s27
	s_mul_i32 s28, s6, s7
	s_mul_hi_u32 s30, s6, s29
	s_mul_hi_u32 s27, s6, s7
	s_add_u32 s28, s30, s28
	s_addc_u32 s27, 0, s27
	s_mul_hi_u32 s31, s26, s29
	s_mul_i32 s29, s26, s29
	s_add_u32 s28, s28, s29
	s_mul_hi_u32 s30, s26, s7
	s_addc_u32 s27, s27, s31
	s_addc_u32 s28, s30, 0
	s_mul_i32 s7, s26, s7
	s_add_u32 s7, s27, s7
	s_addc_u32 s27, 0, s28
	s_add_u32 s28, s6, s7
	s_cselect_b64 s[6:7], -1, 0
	s_cmp_lg_u64 s[6:7], 0
	s_addc_u32 s26, s26, s27
	s_mul_i32 s6, s9, s26
	s_mul_hi_u32 s7, s9, s28
	s_add_i32 s6, s7, s6
	s_mul_i32 s25, s25, s28
	s_add_i32 s6, s6, s25
	s_mul_i32 s9, s9, s28
	s_mul_hi_u32 s25, s26, s9
	s_mul_i32 s27, s26, s9
	s_mul_i32 s30, s28, s6
	s_mul_hi_u32 s9, s28, s9
	s_mul_hi_u32 s29, s28, s6
	s_add_u32 s9, s9, s30
	s_addc_u32 s29, 0, s29
	s_add_u32 s9, s9, s27
	s_mul_hi_u32 s7, s26, s6
	s_addc_u32 s9, s29, s25
	s_addc_u32 s7, s7, 0
	s_mul_i32 s6, s26, s6
	s_add_u32 s6, s9, s6
	s_addc_u32 s9, 0, s7
	s_add_u32 s25, s28, s6
	s_cselect_b64 s[6:7], -1, 0
	s_cmp_lg_u64 s[6:7], 0
	s_addc_u32 s9, s26, s9
	s_ashr_i32 s6, s5, 31
	s_add_u32 s26, s8, s6
	s_mov_b32 s7, s6
	s_addc_u32 s27, s5, s6
	s_xor_b64 s[26:27], s[26:27], s[6:7]
	s_mul_i32 s28, s26, s9
	s_mul_hi_u32 s29, s26, s25
	s_mul_hi_u32 s5, s26, s9
	s_add_u32 s28, s29, s28
	s_addc_u32 s5, 0, s5
	s_mul_hi_u32 s30, s27, s25
	s_mul_i32 s25, s27, s25
	s_add_u32 s25, s28, s25
	s_mul_hi_u32 s29, s27, s9
	s_addc_u32 s5, s5, s30
	s_addc_u32 s25, s29, 0
	s_mul_i32 s9, s27, s9
	s_add_u32 s5, s5, s9
	s_addc_u32 s9, 0, s25
	s_mul_i32 s25, s0, s9
	s_mul_hi_u32 s28, s0, s5
	s_add_i32 s25, s28, s25
	s_mul_i32 s28, s1, s5
	s_add_i32 s25, s25, s28
	s_sub_i32 s30, s27, s25
	s_mul_i32 s28, s0, s5
	s_sub_u32 s26, s26, s28
	s_cselect_b64 s[28:29], -1, 0
	s_cmp_lg_u64 s[28:29], 0
	s_subb_u32 s33, s30, s1
	s_sub_u32 s34, s26, s0
	s_cselect_b64 s[30:31], -1, 0
	s_cmp_lg_u64 s[30:31], 0
	s_subb_u32 s30, s33, 0
	s_cmp_ge_u32 s30, s1
	s_cselect_b32 s31, -1, 0
	s_cmp_ge_u32 s34, s0
	s_cselect_b32 s33, -1, 0
	s_cmp_eq_u32 s30, s1
	s_cselect_b32 s30, s33, s31
	s_add_u32 s31, s5, 1
	s_addc_u32 s33, s9, 0
	s_add_u32 s34, s5, 2
	s_addc_u32 s35, s9, 0
	s_cmp_lg_u32 s30, 0
	s_cselect_b32 s30, s34, s31
	s_cselect_b32 s31, s35, s33
	s_cmp_lg_u64 s[28:29], 0
	s_subb_u32 s25, s27, s25
	s_cmp_ge_u32 s25, s1
	s_cselect_b32 s27, -1, 0
	s_cmp_ge_u32 s26, s0
	s_cselect_b32 s0, -1, 0
	s_cmp_eq_u32 s25, s1
	s_cselect_b32 s0, s0, s27
	s_cmp_lg_u32 s0, 0
	s_cselect_b32 s1, s31, s9
	s_cselect_b32 s0, s30, s5
	s_xor_b64 s[6:7], s[6:7], 0
	s_xor_b64 s[0:1], s[0:1], s[6:7]
	s_sub_u32 s6, s0, s6
	s_cbranch_execnz .LBB45_11
.LBB45_10:
	s_sub_i32 s0, 0, s22
	v_readfirstlane_b32 s1, v4
	s_mul_i32 s0, s0, s1
	s_mul_hi_u32 s0, s1, s0
	s_add_i32 s1, s1, s0
	s_mul_hi_u32 s0, s8, s1
	s_mul_i32 s5, s0, s22
	s_sub_i32 s5, s8, s5
	s_add_i32 s1, s0, 1
	s_sub_i32 s6, s5, s22
	s_cmp_ge_u32 s5, s22
	s_cselect_b32 s0, s1, s0
	s_cselect_b32 s5, s6, s5
	s_add_i32 s1, s0, 1
	s_cmp_ge_u32 s5, s22
	s_cselect_b32 s6, s1, s0
.LBB45_11:
	s_cmp_lg_u32 s10, s6
	s_mov_b64 s[8:9], -1
                                        ; implicit-def: $sgpr0_sgpr1
                                        ; implicit-def: $vgpr10
                                        ; implicit-def: $vgpr8
                                        ; implicit-def: $vgpr9
                                        ; implicit-def: $sgpr5
                                        ; implicit-def: $sgpr7
	s_cbranch_scc1 .LBB45_14
; %bb.12:
	s_andn2_b64 vcc, exec, s[8:9]
	s_cbranch_vccz .LBB45_17
.LBB45_13:
	s_andn2_b64 vcc, exec, s[0:1]
	s_cbranch_vccnz .LBB45_18
	s_branch .LBB45_22
.LBB45_14:
	s_add_i32 s0, s24, s22
	s_lshl_b32 s0, s0, 3
	s_add_i32 s0, s0, s15
	s_mov_b32 s1, s4
	s_lshl_b64 s[0:1], s[0:1], 3
	s_add_u32 s8, s18, s0
	s_mul_hi_u32 s0, s6, s12
	s_addc_u32 s9, s19, s1
	s_add_i32 s0, s0, s6
	s_lshr_b32 s5, s0, s13
	s_mul_i32 s0, s5, s14
	s_cmp_eq_u32 s0, s6
	s_cselect_b64 s[0:1], -1, 0
	s_cmp_lt_u32 s5, s11
	s_cselect_b64 s[26:27], -1, 0
	s_or_b64 s[26:27], s[26:27], s[0:1]
	s_mov_b64 s[0:1], -1
	s_and_b64 vcc, exec, s[26:27]
	s_mov_b32 s5, s24
	s_mov_b32 s7, s10
	s_cbranch_vccnz .LBB45_16
; %bb.15:
	s_add_i32 s5, s24, -1
	s_mov_b64 s[0:1], 0
	s_mov_b32 s7, s6
.LBB45_16:
	v_lshl_add_u32 v8, s24, 10, v0
	v_ashrrev_i32_e32 v9, 31, v8
	v_lshlrev_b64 v[8:9], 2, v[8:9]
	v_mov_b32_e32 v10, s21
	v_add_co_u32_e32 v8, vcc, s20, v8
	v_addc_co_u32_e32 v9, vcc, v10, v9, vcc
	global_load_dword v10, v[8:9], off
	s_load_dwordx2 s[8:9], s[8:9], 0x0
	v_max_f32_e32 v8, v7, v7
	s_waitcnt lgkmcnt(0)
	v_max_f32_e64 v9, s8, s8
	v_max_f32_e32 v8, v8, v9
	v_sub_f32_e32 v9, v7, v8
	v_sub_f32_e32 v11, s8, v8
	v_mul_f32_e32 v12, 0x3fb8aa3b, v9
	v_mul_f32_e32 v13, 0x3fb8aa3b, v11
	v_fma_f32 v14, v9, s2, -v12
	v_rndne_f32_e32 v15, v12
	v_fma_f32 v16, v11, s2, -v13
	v_rndne_f32_e32 v17, v13
	v_fmac_f32_e32 v14, 0x32a5705f, v9
	v_sub_f32_e32 v12, v12, v15
	v_fmac_f32_e32 v16, 0x32a5705f, v11
	v_sub_f32_e32 v13, v13, v17
	v_add_f32_e32 v12, v12, v14
	v_cvt_i32_f32_e32 v15, v15
	v_add_f32_e32 v13, v13, v16
	v_exp_f32_e32 v12, v12
	v_cvt_i32_f32_e32 v17, v17
	v_exp_f32_e32 v13, v13
	v_cmp_ngt_f32_e32 vcc, s16, v9
	v_ldexp_f32 v12, v12, v15
	v_cndmask_b32_e32 v12, 0, v12, vcc
	v_ldexp_f32 v13, v13, v17
	v_cmp_ngt_f32_e32 vcc, s16, v11
	v_cndmask_b32_e32 v13, 0, v13, vcc
	v_cmp_nlt_f32_e32 vcc, s17, v9
	v_cndmask_b32_e32 v12, v5, v12, vcc
	v_cmp_nlt_f32_e32 vcc, s17, v11
	v_cndmask_b32_e32 v13, v5, v13, vcc
	v_cmp_le_f32_e32 vcc, s23, v9
	v_cndmask_b32_e32 v12, 0, v12, vcc
	v_cmp_le_f32_e32 vcc, s23, v11
	v_cndmask_b32_e32 v11, 0, v13, vcc
	v_mul_f32_e32 v9, s9, v11
	v_fmac_f32_e32 v9, v6, v12
	s_waitcnt vmcnt(0)
	v_mul_f32_e32 v10, v10, v11
	v_fmac_f32_e32 v10, v3, v12
	s_cbranch_execnz .LBB45_13
.LBB45_17:
	s_add_i32 s5, s24, -1
	s_mov_b32 s7, s10
	v_mov_b32_e32 v9, v6
	v_mov_b32_e32 v8, v7
	s_waitcnt vmcnt(0)
	v_mov_b32_e32 v10, v3
	s_cbranch_execz .LBB45_22
.LBB45_18:
	s_mov_b32 s10, s7
	s_mov_b32 s24, s5
	v_mov_b32_e32 v6, v9
	v_mov_b32_e32 v7, v8
	s_waitcnt vmcnt(0)
	v_mov_b32_e32 v3, v10
	s_mul_hi_i32 s5, s24, s3
	s_cmp_lg_u64 s[4:5], 0
	s_mul_i32 s8, s24, s3
	s_cbranch_scc1 .LBB45_9
.LBB45_19:
                                        ; implicit-def: $sgpr6_sgpr7
	s_branch .LBB45_10
.LBB45_20:
                                        ; implicit-def: $sgpr10_sgpr11
	s_load_dwordx4 s[12:15], s[4:5], 0x44
	s_branch .LBB45_2
.LBB45_21:
                                        ; implicit-def: $sgpr18_sgpr19
	s_branch .LBB45_5
.LBB45_22:
	v_div_scale_f32 v0, s[0:1], v9, v9, v10
	s_waitcnt vmcnt(0)
	v_div_scale_f32 v3, vcc, v10, v9, v10
	v_rcp_f32_e32 v4, v0
	v_fma_f32 v5, -v0, v4, 1.0
	v_fmac_f32_e32 v4, v5, v4
	v_mul_f32_e32 v5, v3, v4
	v_fma_f32 v6, -v0, v5, v3
	v_fmac_f32_e32 v5, v6, v4
	v_fma_f32 v0, -v0, v5, v3
	v_div_fmas_f32 v0, v0, v4, v5
	v_div_fixup_f32 v0, v0, v9, v10
	global_store_dword v[1:2], v0, off
.LBB45_23:
	s_endpgm
	.section	.rodata,"a",@progbits
	.p2align	6, 0x0
	.amdhsa_kernel _ZL33flash_attn_stream_k_fixup_generalILi128ELi4ELi2EEvPfPK15HIP_vector_typeIfLj2EEiiiiS1_IjLj3EES5_S5_S5_
		.amdhsa_group_segment_fixed_size 0
		.amdhsa_private_segment_fixed_size 0
		.amdhsa_kernarg_size 336
		.amdhsa_user_sgpr_count 6
		.amdhsa_user_sgpr_private_segment_buffer 1
		.amdhsa_user_sgpr_dispatch_ptr 0
		.amdhsa_user_sgpr_queue_ptr 0
		.amdhsa_user_sgpr_kernarg_segment_ptr 1
		.amdhsa_user_sgpr_dispatch_id 0
		.amdhsa_user_sgpr_flat_scratch_init 0
		.amdhsa_user_sgpr_private_segment_size 0
		.amdhsa_uses_dynamic_stack 0
		.amdhsa_system_sgpr_private_segment_wavefront_offset 0
		.amdhsa_system_sgpr_workgroup_id_x 1
		.amdhsa_system_sgpr_workgroup_id_y 1
		.amdhsa_system_sgpr_workgroup_id_z 1
		.amdhsa_system_sgpr_workgroup_info 0
		.amdhsa_system_vgpr_workitem_id 0
		.amdhsa_next_free_vgpr 18
		.amdhsa_next_free_sgpr 36
		.amdhsa_reserve_vcc 1
		.amdhsa_reserve_flat_scratch 0
		.amdhsa_float_round_mode_32 0
		.amdhsa_float_round_mode_16_64 0
		.amdhsa_float_denorm_mode_32 3
		.amdhsa_float_denorm_mode_16_64 3
		.amdhsa_dx10_clamp 1
		.amdhsa_ieee_mode 1
		.amdhsa_fp16_overflow 0
		.amdhsa_exception_fp_ieee_invalid_op 0
		.amdhsa_exception_fp_denorm_src 0
		.amdhsa_exception_fp_ieee_div_zero 0
		.amdhsa_exception_fp_ieee_overflow 0
		.amdhsa_exception_fp_ieee_underflow 0
		.amdhsa_exception_fp_ieee_inexact 0
		.amdhsa_exception_int_div_zero 0
	.end_amdhsa_kernel
	.section	.text._ZL33flash_attn_stream_k_fixup_generalILi128ELi4ELi2EEvPfPK15HIP_vector_typeIfLj2EEiiiiS1_IjLj3EES5_S5_S5_,"axG",@progbits,_ZL33flash_attn_stream_k_fixup_generalILi128ELi4ELi2EEvPfPK15HIP_vector_typeIfLj2EEiiiiS1_IjLj3EES5_S5_S5_,comdat
.Lfunc_end45:
	.size	_ZL33flash_attn_stream_k_fixup_generalILi128ELi4ELi2EEvPfPK15HIP_vector_typeIfLj2EEiiiiS1_IjLj3EES5_S5_S5_, .Lfunc_end45-_ZL33flash_attn_stream_k_fixup_generalILi128ELi4ELi2EEvPfPK15HIP_vector_typeIfLj2EEiiiiS1_IjLj3EES5_S5_S5_
                                        ; -- End function
	.set _ZL33flash_attn_stream_k_fixup_generalILi128ELi4ELi2EEvPfPK15HIP_vector_typeIfLj2EEiiiiS1_IjLj3EES5_S5_S5_.num_vgpr, 18
	.set _ZL33flash_attn_stream_k_fixup_generalILi128ELi4ELi2EEvPfPK15HIP_vector_typeIfLj2EEiiiiS1_IjLj3EES5_S5_S5_.num_agpr, 0
	.set _ZL33flash_attn_stream_k_fixup_generalILi128ELi4ELi2EEvPfPK15HIP_vector_typeIfLj2EEiiiiS1_IjLj3EES5_S5_S5_.numbered_sgpr, 36
	.set _ZL33flash_attn_stream_k_fixup_generalILi128ELi4ELi2EEvPfPK15HIP_vector_typeIfLj2EEiiiiS1_IjLj3EES5_S5_S5_.num_named_barrier, 0
	.set _ZL33flash_attn_stream_k_fixup_generalILi128ELi4ELi2EEvPfPK15HIP_vector_typeIfLj2EEiiiiS1_IjLj3EES5_S5_S5_.private_seg_size, 0
	.set _ZL33flash_attn_stream_k_fixup_generalILi128ELi4ELi2EEvPfPK15HIP_vector_typeIfLj2EEiiiiS1_IjLj3EES5_S5_S5_.uses_vcc, 1
	.set _ZL33flash_attn_stream_k_fixup_generalILi128ELi4ELi2EEvPfPK15HIP_vector_typeIfLj2EEiiiiS1_IjLj3EES5_S5_S5_.uses_flat_scratch, 0
	.set _ZL33flash_attn_stream_k_fixup_generalILi128ELi4ELi2EEvPfPK15HIP_vector_typeIfLj2EEiiiiS1_IjLj3EES5_S5_S5_.has_dyn_sized_stack, 0
	.set _ZL33flash_attn_stream_k_fixup_generalILi128ELi4ELi2EEvPfPK15HIP_vector_typeIfLj2EEiiiiS1_IjLj3EES5_S5_S5_.has_recursion, 0
	.set _ZL33flash_attn_stream_k_fixup_generalILi128ELi4ELi2EEvPfPK15HIP_vector_typeIfLj2EEiiiiS1_IjLj3EES5_S5_S5_.has_indirect_call, 0
	.section	.AMDGPU.csdata,"",@progbits
; Kernel info:
; codeLenInByte = 2940
; TotalNumSgprs: 40
; NumVgprs: 18
; ScratchSize: 0
; MemoryBound: 0
; FloatMode: 240
; IeeeMode: 1
; LDSByteSize: 0 bytes/workgroup (compile time only)
; SGPRBlocks: 4
; VGPRBlocks: 4
; NumSGPRsForWavesPerEU: 40
; NumVGPRsForWavesPerEU: 18
; Occupancy: 10
; WaveLimiterHint : 0
; COMPUTE_PGM_RSRC2:SCRATCH_EN: 0
; COMPUTE_PGM_RSRC2:USER_SGPR: 6
; COMPUTE_PGM_RSRC2:TRAP_HANDLER: 0
; COMPUTE_PGM_RSRC2:TGID_X_EN: 1
; COMPUTE_PGM_RSRC2:TGID_Y_EN: 1
; COMPUTE_PGM_RSRC2:TGID_Z_EN: 1
; COMPUTE_PGM_RSRC2:TIDIG_COMP_CNT: 0
	.section	.text._ZL15flash_attn_tileILi128ELi128ELi2ELi2ELb0EEvPKcS1_S1_S1_S1_PKiPfP15HIP_vector_typeIfLj2EEffffjfiS5_IjLj3EEiiiiiiiiiiiliiliiiiil,"axG",@progbits,_ZL15flash_attn_tileILi128ELi128ELi2ELi2ELb0EEvPKcS1_S1_S1_S1_PKiPfP15HIP_vector_typeIfLj2EEffffjfiS5_IjLj3EEiiiiiiiiiiiliiliiiiil,comdat
	.globl	_ZL15flash_attn_tileILi128ELi128ELi2ELi2ELb0EEvPKcS1_S1_S1_S1_PKiPfP15HIP_vector_typeIfLj2EEffffjfiS5_IjLj3EEiiiiiiiiiiiliiliiiiil ; -- Begin function _ZL15flash_attn_tileILi128ELi128ELi2ELi2ELb0EEvPKcS1_S1_S1_S1_PKiPfP15HIP_vector_typeIfLj2EEffffjfiS5_IjLj3EEiiiiiiiiiiiliiliiiiil
	.p2align	8
	.type	_ZL15flash_attn_tileILi128ELi128ELi2ELi2ELb0EEvPKcS1_S1_S1_S1_PKiPfP15HIP_vector_typeIfLj2EEffffjfiS5_IjLj3EEiiiiiiiiiiiliiliiiiil,@function
_ZL15flash_attn_tileILi128ELi128ELi2ELi2ELb0EEvPKcS1_S1_S1_S1_PKiPfP15HIP_vector_typeIfLj2EEffffjfiS5_IjLj3EEiiiiiiiiiiiliiliiiiil: ; @_ZL15flash_attn_tileILi128ELi128ELi2ELi2ELb0EEvPKcS1_S1_S1_S1_PKiPfP15HIP_vector_typeIfLj2EEffffjfiS5_IjLj3EEiiiiiiiiiiiliiliiiiil
; %bb.0:
	s_load_dwordx4 s[28:31], s[4:5], 0x5c
	s_load_dwordx2 s[34:35], s[4:5], 0x80
	s_mov_b64 s[50:51], s[2:3]
	s_mov_b64 s[48:49], s[0:1]
	s_add_u32 s48, s48, s9
	s_addc_u32 s49, s49, 0
	s_waitcnt lgkmcnt(0)
	s_lshr_b32 s0, s31, 31
	s_add_i32 s0, s31, s0
	s_ashr_i32 s0, s0, 1
	v_cvt_f32_u32_e32 v2, s0
	s_sub_i32 s1, 0, s0
	s_load_dwordx16 s[12:27], s[4:5], 0x0
	v_mov_b32_e32 v26, v0
	v_rcp_iflag_f32_e32 v2, v2
	s_mov_b64 s[36:37], 0
	v_mul_f32_e32 v2, 0x4f7ffffe, v2
	v_cvt_u32_f32_e32 v2, v2
	v_readfirstlane_b32 s2, v2
	s_mul_i32 s1, s1, s2
	s_mul_hi_u32 s1, s2, s1
	s_add_i32 s2, s2, s1
	s_mul_hi_u32 s1, s8, s2
	s_mul_i32 s2, s1, s0
	s_sub_i32 s2, s8, s2
	s_add_i32 s3, s1, 1
	s_sub_i32 s9, s2, s0
	s_cmp_ge_u32 s2, s0
	s_cselect_b32 s1, s3, s1
	s_cselect_b32 s2, s9, s2
	s_add_i32 s3, s1, 1
	s_cmp_ge_u32 s2, s0
	s_cselect_b32 s38, s3, s1
	s_abs_i32 s0, s35
	v_cvt_f32_u32_e32 v2, s0
	s_lshl_b32 s1, s8, 1
	s_mul_i32 s8, s38, s31
	s_sub_i32 s9, 0, s0
	v_rcp_iflag_f32_e32 v2, v2
	s_sub_i32 s33, s1, s8
	s_abs_i32 s3, s31
	s_xor_b32 s2, s31, s35
	v_mul_f32_e32 v2, 0x4f7ffffe, v2
	v_cvt_u32_f32_e32 v2, v2
	s_ashr_i32 s2, s2, 31
	v_readfirstlane_b32 s1, v2
	s_mul_i32 s9, s9, s1
	s_mul_hi_u32 s8, s1, s9
	s_add_i32 s1, s1, s8
	s_mul_hi_u32 s1, s3, s1
	s_mul_i32 s8, s1, s0
	s_sub_i32 s3, s3, s8
	s_add_i32 s9, s1, 1
	s_sub_i32 s8, s3, s0
	s_cmp_ge_u32 s3, s0
	s_cselect_b32 s1, s9, s1
	s_cselect_b32 s3, s8, s3
	s_add_i32 s8, s1, 1
	s_cmp_ge_u32 s3, s0
	s_cselect_b32 s0, s8, s1
	s_xor_b32 s0, s0, s2
	s_sub_i32 s11, s0, s2
	s_abs_i32 s10, s11
	v_cvt_f32_u32_e32 v2, s10
	s_load_dwordx2 s[8:9], s[4:5], 0xb8
	s_waitcnt lgkmcnt(0)
	s_cmp_eq_u64 s[18:19], 0
	v_rcp_iflag_f32_e32 v2, v2
	v_mul_f32_e32 v2, 0x4f7ffffe, v2
	v_cvt_u32_f32_e32 v2, v2
	v_readfirstlane_b32 s35, v2
	s_cbranch_scc1 .LBB46_2
; %bb.1:
	s_abs_i32 s2, s8
	v_cvt_f32_u32_e32 v2, s2
	s_sub_i32 s36, 0, s2
	s_abs_i32 s8, s38
	s_ashr_i32 s3, s38, 31
	v_rcp_iflag_f32_e32 v2, v2
	s_load_dwordx2 s[0:1], s[4:5], 0xc8
	v_mul_f32_e32 v2, 0x4f7ffffe, v2
	v_cvt_u32_f32_e32 v2, v2
	v_readfirstlane_b32 s37, v2
	s_mul_i32 s36, s36, s37
	s_mul_hi_u32 s36, s37, s36
	s_add_i32 s37, s37, s36
	s_mul_hi_u32 s36, s8, s37
	s_mul_i32 s36, s36, s2
	s_sub_i32 s8, s8, s36
	s_sub_i32 s36, s8, s2
	s_cmp_ge_u32 s8, s2
	s_cselect_b32 s8, s36, s8
	s_sub_i32 s36, s8, s2
	s_cmp_ge_u32 s8, s2
	s_cselect_b32 s2, s36, s8
	s_xor_b32 s2, s2, s3
	s_sub_i32 s2, s2, s3
	s_ashr_i32 s3, s2, 31
	s_waitcnt lgkmcnt(0)
	s_mul_hi_u32 s8, s0, s2
	s_mul_i32 s3, s0, s3
	s_mul_i32 s1, s1, s2
	s_add_i32 s3, s8, s3
	s_add_i32 s3, s3, s1
	s_mul_i32 s0, s0, s2
	s_add_u32 s36, s18, s0
	s_addc_u32 s37, s19, s3
.LBB46_2:
	v_lshrrev_b32_e32 v2, 1, v1
	s_load_dwordx4 s[0:3], s[4:5], 0x70
	v_lshl_add_u32 v10, s6, 1, v2
	v_mul_hi_u32 v2, s28, v10
	v_and_b32_e32 v9, 1, v1
	v_lshlrev_b32_e32 v39, 3, v26
	s_waitcnt lgkmcnt(0)
	s_mul_i32 s2, s38, s2
	v_add_u32_e32 v2, v10, v2
	s_ashr_i32 s8, s2, 31
	v_lshrrev_b32_e32 v2, s29, v2
	s_mul_i32 s3, s33, s1
	s_add_u32 s2, s12, s2
	v_mul_lo_u32 v2, v2, s30
	s_addc_u32 s8, s13, s8
	s_ashr_i32 s12, s3, 31
	s_add_u32 s18, s2, s3
	s_addc_u32 s8, s8, s12
	s_ashr_i32 s3, s1, 31
	s_mov_b32 s2, s1
	s_ashr_i32 s1, s0, 31
	v_sub_u32_e32 v2, v10, v2
	s_lshr_b64 s[12:13], s[0:1], 2
	v_mad_u64_u32 v[3:4], s[12:13], s12, v2, 0
	s_lshr_b32 s0, s3, 2
	v_mul_lo_u32 v6, s0, v9
	s_lshr_b32 s0, s1, 2
	s_lshr_b64 s[12:13], s[2:3], 2
	v_mad_u64_u32 v[4:5], s[0:1], s0, v2, v[4:5]
	v_mul_lo_u32 v5, s12, v9
	v_mov_b32_e32 v7, s8
	v_lshlrev_b64 v[3:4], 2, v[3:4]
	s_load_dword s0, s[4:5], 0x40
	v_lshlrev_b64 v[5:6], 2, v[5:6]
	s_cmp_eq_u64 s[22:23], 0
	v_add_co_u32_e32 v5, vcc, s18, v5
	v_addc_co_u32_e32 v6, vcc, v7, v6, vcc
	v_add_co_u32_e32 v3, vcc, v5, v3
	v_addc_co_u32_e32 v4, vcc, v6, v4, vcc
	v_lshlrev_b32_e32 v5, 4, v26
	v_add_co_u32_e32 v3, vcc, v3, v5
	v_addc_co_u32_e32 v4, vcc, 0, v4, vcc
	global_load_dwordx4 v[3:6], v[3:4], off
	v_mov_b32_e32 v7, 0x4400
	v_lshl_add_u32 v43, v1, 8, v7
	v_add_u32_e32 v7, v43, v39
	s_waitcnt vmcnt(0) lgkmcnt(0)
	v_fma_mixlo_f16 v3, s0, v3, 0
	v_fma_mixlo_f16 v4, s0, v4, 0
	;; [unrolled: 1-line block ×4, first 2 shown]
	v_lshlrev_b32_e32 v4, 16, v4
	v_and_b32_e32 v3, 0xffff, v3
	v_lshlrev_b32_e32 v6, 16, v6
	v_and_b32_e32 v5, 0xffff, v5
	v_or_b32_e32 v3, v4, v3
	v_or3_b32 v4, v6, v5, 0
	v_or3_b32 v3, 0, 0, v3
	ds_write_b64 v7, v[3:4]
	s_waitcnt lgkmcnt(0)
	s_barrier
	s_cbranch_scc1 .LBB46_4
; %bb.3:
	s_load_dword s0, s[4:5], 0xd0
	s_mov_b32 s1, 0
	s_waitcnt lgkmcnt(0)
	s_mul_i32 s0, s0, s38
	s_add_i32 s0, s0, s6
	s_lshl_b64 s[0:1], s[0:1], 2
	s_add_u32 s0, s22, s0
	s_addc_u32 s1, s23, s1
	s_load_dword s34, s[0:1], 0x0
.LBB46_4:
	s_lshl_b32 s6, s7, 6
	s_waitcnt lgkmcnt(0)
	s_cmp_lt_i32 s6, s34
	v_mbcnt_lo_u32_b32 v3, -1, 0
	s_cbranch_scc1 .LBB46_7
; %bb.5:
	v_mbcnt_hi_u32_b32 v44, -1, v3
	v_and_b32_e32 v4, 0x60, v44
	v_add_u32_e32 v47, 32, v4
	v_xor_b32_e32 v58, 16, v44
	v_xor_b32_e32 v55, 8, v44
	;; [unrolled: 1-line block ×5, first 2 shown]
	v_lshlrev_b32_e32 v11, 2, v26
	s_cbranch_execz .LBB46_8
; %bb.6:
	v_mov_b32_e32 v81, 0
	v_mov_b32_e32 v82, 0
	;; [unrolled: 1-line block ×4, first 2 shown]
	s_branch .LBB46_11
.LBB46_7:
                                        ; implicit-def: $vgpr44
                                        ; implicit-def: $vgpr47
                                        ; implicit-def: $vgpr58
                                        ; implicit-def: $vgpr55
                                        ; implicit-def: $vgpr53
                                        ; implicit-def: $vgpr52
                                        ; implicit-def: $vgpr50
	v_lshlrev_b32_e32 v11, 2, v26
.LBB46_8:
	s_sub_i32 s0, 0, s10
	s_mul_i32 s0, s0, s35
	buffer_store_dword v10, off, s[48:51], 0 offset:12 ; 4-byte Folded Spill
	buffer_store_dword v9, off, s[48:51], 0 offset:8 ; 4-byte Folded Spill
	s_mul_hi_u32 s0, s35, s0
	s_add_i32 s35, s35, s0
	s_load_dwordx2 s[12:13], s[4:5], 0x8c
	s_load_dwordx4 s[0:3], s[4:5], 0x98
	s_abs_i32 s8, s33
	s_mul_hi_u32 s28, s8, s35
	s_ashr_i32 s29, s33, 31
	s_waitcnt lgkmcnt(0)
	s_ashr_i32 s23, s12, 2
	s_ashr_i32 s22, s2, 2
	;; [unrolled: 1-line block ×4, first 2 shown]
	s_mul_hi_u32 s12, s0, s38
	s_mul_i32 s35, s0, s9
	s_add_i32 s12, s12, s35
	s_mul_i32 s1, s1, s38
	s_ashr_i32 s11, s11, 31
	s_add_i32 s12, s12, s1
	s_mul_i32 s0, s0, s38
	s_add_u32 s0, s14, s0
	s_addc_u32 s1, s15, s12
	s_mul_i32 s12, s28, s10
	s_sub_i32 s8, s8, s12
	s_xor_b32 s11, s29, s11
	s_add_i32 s12, s28, 1
	s_sub_i32 s14, s8, s10
	s_cmp_ge_u32 s8, s10
	s_cselect_b32 s12, s12, s28
	s_cselect_b32 s8, s14, s8
	s_add_i32 s14, s12, 1
	s_cmp_ge_u32 s8, s10
	s_cselect_b32 s8, s14, s12
	s_load_dwordx2 s[18:19], s[4:5], 0xa8
	s_xor_b32 s8, s8, s11
	s_sub_i32 s8, s8, s11
	s_mul_i32 s10, s8, s13
	s_ashr_i32 s11, s10, 31
	s_add_u32 s28, s0, s10
	s_addc_u32 s29, s1, s11
	s_waitcnt lgkmcnt(0)
	s_mul_hi_u32 s0, s18, s38
	s_mul_i32 s1, s18, s9
	s_add_i32 s0, s0, s1
	s_mul_i32 s1, s19, s38
	s_add_i32 s0, s0, s1
	s_mul_i32 s1, s18, s38
	v_lshrrev_b32_e32 v4, 4, v26
	s_add_u32 s1, s16, s1
	s_mul_i32 s8, s8, s3
	v_lshl_add_u32 v4, v1, 1, v4
	s_addc_u32 s0, s17, s0
	s_ashr_i32 s3, s8, 31
	v_mul_lo_u32 v7, s23, v4
	s_add_u32 s35, s1, s8
	v_and_b32_e32 v25, 60, v11
	s_addc_u32 s39, s0, s3
	v_lshlrev_b32_e32 v24, 2, v25
	s_movk_i32 s0, 0x110
	v_mad_u32_u24 v45, v4, s0, v24
	s_lshl_b32 s0, s23, 3
	v_add_u32_e32 v9, s0, v7
	buffer_store_dword v11, off, s[48:51], 0 offset:16 ; 4-byte Folded Spill
	v_add_u32_e32 v11, s0, v9
	v_add_u32_e32 v13, s0, v11
	;; [unrolled: 1-line block ×5, first 2 shown]
	v_mul_lo_u32 v23, s22, v4
	v_add_u32_e32 v21, s0, v19
	v_mad_u64_u32 v[5:6], s[0:1], v2, s2, v[26:27]
	v_mov_b32_e32 v2, 0x4800
	v_lshl_add_u32 v60, v1, 7, v2
	v_mov_b32_e32 v1, v26
	buffer_store_dword v1, off, s[48:51], 0 ; 4-byte Folded Spill
	s_nop 0
	buffer_store_dword v2, off, s[48:51], 0 offset:4 ; 4-byte Folded Spill
	s_lshl_b32 s0, s22, 3
	v_add_u32_e32 v1, s0, v23
	v_mul_u32_u24_e32 v59, 0x110, v26
	v_lshl_add_u32 v61, v26, 1, v60
	v_add_u32_e32 v26, s0, v1
	v_add_u32_e32 v28, s0, v26
	;; [unrolled: 1-line block ×6, first 2 shown]
	v_ashrrev_i32_e32 v8, 31, v7
	v_ashrrev_i32_e32 v10, 31, v9
	;; [unrolled: 1-line block ×8, first 2 shown]
	v_lshl_or_b32 v62, v4, 8, v24
	v_ashrrev_i32_e32 v24, 31, v23
	v_ashrrev_i32_e32 v2, 31, v1
	;; [unrolled: 1-line block ×8, first 2 shown]
	v_mbcnt_hi_u32_b32 v44, -1, v3
	s_add_u32 s18, s4, 0xd0
	v_lshlrev_b64 v[6:7], 2, v[7:8]
	v_lshlrev_b32_e32 v70, 2, v25
	v_lshlrev_b64 v[8:9], 2, v[9:10]
	v_lshlrev_b64 v[10:11], 2, v[11:12]
	;; [unrolled: 1-line block ×15, first 2 shown]
	v_and_b32_e32 v1, 0x60, v44
	v_mov_b32_e32 v80, 0
	v_add_u32_e32 v0, 0x880, v45
	v_add_u32_e32 v48, 0x1100, v45
	;; [unrolled: 1-line block ×14, first 2 shown]
	s_addc_u32 s19, s5, 0
	v_mov_b32_e32 v38, 0xfeffffff
	s_mov_b32 s40, 0x3fb8aa3b
	s_mov_b32 s41, 0xc2ce8ed0
	;; [unrolled: 1-line block ×4, first 2 shown]
	v_add_u32_e32 v47, 32, v1
	v_xor_b32_e32 v58, 16, v44
	v_xor_b32_e32 v55, 8, v44
	v_xor_b32_e32 v53, 4, v44
	v_xor_b32_e32 v52, 2, v44
	v_xor_b32_e32 v50, 1, v44
	v_mov_b32_e32 v71, s37
	v_mov_b32_e32 v72, 0x7f800000
	v_add_u32_e32 v73, 0x800, v39
	v_add_u32_e32 v74, 0x1000, v39
	;; [unrolled: 1-line block ×7, first 2 shown]
	v_mov_b32_e32 v81, 0
	v_mov_b32_e32 v82, 0
.LBB46_9:                               ; =>This Inner Loop Header: Depth=1
	v_cmp_lt_i32_e32 vcc, v58, v47
	v_add_u32_e32 v1, s6, v5
	v_cndmask_b32_e32 v84, v44, v58, vcc
	v_cmp_lt_i32_e32 vcc, v55, v47
	s_mul_hi_i32 s1, s6, s23
	s_mul_i32 s0, s6, s23
	v_cndmask_b32_e32 v85, v44, v55, vcc
	v_cmp_lt_i32_e32 vcc, v53, v47
	v_ashrrev_i32_e32 v2, 31, v1
	v_cndmask_b32_e32 v88, v44, v53, vcc
	v_cmp_lt_i32_e32 vcc, v52, v47
	s_lshl_b64 s[0:1], s[0:1], 2
	v_lshlrev_b64 v[1:2], 1, v[1:2]
	v_cndmask_b32_e32 v89, v44, v52, vcc
	v_cmp_lt_i32_e32 vcc, v50, v47
	s_add_u32 s37, s28, s0
	v_cndmask_b32_e32 v90, v44, v50, vcc
	s_addc_u32 s14, s29, s1
	v_add_co_u32_e64 v1, s[16:17], s36, v1
	v_mov_b32_e32 v83, v82
	s_mul_hi_i32 s3, s6, s22
	s_mul_i32 s2, s6, s22
	v_lshlrev_b32_e32 v87, 2, v84
	v_lshlrev_b32_e32 v84, 2, v89
	;; [unrolled: 1-line block ×3, first 2 shown]
	v_mov_b32_e32 v89, s14
	v_add_co_u32_e32 v90, vcc, s37, v8
	v_addc_co_u32_e64 v2, s[16:17], v71, v2, s[16:17]
	v_lshlrev_b32_e32 v86, 2, v85
	v_lshlrev_b32_e32 v85, 2, v88
	s_lshl_b64 s[44:45], s[2:3], 2
	v_mov_b32_e32 v88, s14
	v_mov_b32_e32 v91, s14
	v_add_co_u32_e64 v93, s[0:1], s37, v10
	v_mov_b32_e32 v94, s14
	v_add_co_u32_e64 v95, s[2:3], s37, v12
	v_mov_b32_e32 v97, s14
	v_add_co_u32_e64 v98, s[8:9], s37, v14
	v_add_co_u32_e64 v109, s[16:17], s37, v6
	v_addc_co_u32_e32 v111, vcc, v89, v9, vcc
	v_mov_b32_e32 v99, s14
	v_add_co_u32_e64 v101, s[10:11], s37, v16
	v_mov_b32_e32 v103, s14
	v_add_co_u32_e64 v105, s[12:13], s37, v18
	;; [unrolled: 2-line block ×3, first 2 shown]
	v_addc_co_u32_e64 v110, s[16:17], v88, v7, s[16:17]
	v_add_co_u32_e32 v92, vcc, v90, v70
	v_addc_co_u32_e64 v90, s[0:1], v91, v11, s[0:1]
	v_addc_co_u32_e64 v91, s[2:3], v94, v13, s[2:3]
	;; [unrolled: 1-line block ×3, first 2 shown]
	v_add_co_u32_e64 v96, s[0:1], v93, v70
	v_add_co_u32_e64 v100, s[2:3], v95, v70
	;; [unrolled: 1-line block ×3, first 2 shown]
	v_addc_co_u32_e64 v95, s[10:11], v99, v17, s[10:11]
	v_addc_co_u32_e64 v98, s[12:13], v103, v19, s[12:13]
	;; [unrolled: 1-line block ×3, first 2 shown]
	v_add_co_u32_e64 v88, s[16:17], v109, v70
	v_add_co_u32_e64 v104, s[10:11], v101, v70
	v_add_co_u32_e64 v106, s[12:13], v105, v70
	v_add_co_u32_e64 v108, s[14:15], v108, v70
	v_addc_co_u32_e64 v89, s[16:17], 0, v110, s[16:17]
	v_addc_co_u32_e32 v93, vcc, 0, v111, vcc
	v_addc_co_u32_e64 v97, vcc, 0, v90, s[0:1]
	v_addc_co_u32_e64 v101, vcc, 0, v91, s[2:3]
	;; [unrolled: 1-line block ×6, first 2 shown]
	global_load_dwordx4 v[88:91], v[88:89], off
	s_nop 0
	global_load_dwordx4 v[92:95], v[92:93], off
	s_nop 0
	global_load_dwordx4 v[96:99], v[96:97], off
	v_mov_b32_e32 v4, 0
	v_mov_b32_e32 v3, v38
	;; [unrolled: 1-line block ×3, first 2 shown]
	s_add_u32 s44, s35, s44
	s_addc_u32 s37, s39, s45
	v_mov_b32_e32 v110, s37
	v_add_co_u32_e32 v111, vcc, s44, v22
	v_mov_b32_e32 v114, s37
	v_add_co_u32_e64 v115, s[2:3], s44, v26
	v_mov_b32_e32 v112, s37
	v_add_co_u32_e64 v113, s[0:1], s44, v24
	;; [unrolled: 2-line block ×7, first 2 shown]
	s_waitcnt vmcnt(2)
	ds_write_b128 v45, v[88:91]
	global_load_dwordx4 v[88:91], v[100:101], off
	s_nop 0
	global_load_dwordx4 v[100:103], v[102:103], off
	s_waitcnt vmcnt(3)
	ds_write_b128 v0, v[92:95]
	global_load_dwordx4 v[92:95], v[104:105], off
	s_nop 0
	global_load_dwordx4 v[104:107], v[106:107], off
	s_waitcnt vmcnt(4)
	ds_write_b128 v48, v[96:99]
	global_load_dwordx4 v[96:99], v[108:109], off
	s_waitcnt vmcnt(4)
	ds_write_b128 v49, v[88:91]
	s_waitcnt vmcnt(3)
	ds_write_b128 v51, v[100:103]
	;; [unrolled: 2-line block ×5, first 2 shown]
	s_waitcnt lgkmcnt(0)
	s_barrier
	ds_read_b128 v[88:91], v59
	ds_read_b128 v[92:95], v43
	ds_read_b128 v[96:99], v59 offset:8704
	s_waitcnt lgkmcnt(1)
	;;#ASMSTART
	v_dot2_f32_f16 v4, v88, v92, v4
	;;#ASMEND
	;;#ASMSTART
	v_dot2_f32_f16 v4, v89, v93, v4
	;;#ASMEND
	;;#ASMSTART
	v_dot2_f32_f16 v4, v90, v94, v4
	;;#ASMEND
	;;#ASMSTART
	v_dot2_f32_f16 v4, v91, v95, v4
	;;#ASMEND
	s_waitcnt lgkmcnt(0)
	;;#ASMSTART
	v_dot2_f32_f16 v38, v96, v92, v38
	;;#ASMEND
	;;#ASMSTART
	v_dot2_f32_f16 v38, v97, v93, v38
	;;#ASMEND
	;;#ASMSTART
	v_dot2_f32_f16 v38, v98, v94, v38
	;;#ASMEND
	;;#ASMSTART
	v_dot2_f32_f16 v38, v99, v95, v38
	;;#ASMEND
	ds_read_b128 v[88:91], v59 offset:16
	ds_read_b128 v[92:95], v43 offset:16
	ds_read_b128 v[96:99], v59 offset:8720
	s_waitcnt lgkmcnt(1)
	;;#ASMSTART
	v_dot2_f32_f16 v4, v88, v92, v4
	;;#ASMEND
	;;#ASMSTART
	v_dot2_f32_f16 v4, v89, v93, v4
	;;#ASMEND
	;;#ASMSTART
	v_dot2_f32_f16 v4, v90, v94, v4
	;;#ASMEND
	;;#ASMSTART
	v_dot2_f32_f16 v4, v91, v95, v4
	;;#ASMEND
	s_waitcnt lgkmcnt(0)
	;;#ASMSTART
	v_dot2_f32_f16 v38, v96, v92, v38
	;;#ASMEND
	;;#ASMSTART
	v_dot2_f32_f16 v38, v97, v93, v38
	;;#ASMEND
	;;#ASMSTART
	v_dot2_f32_f16 v38, v98, v94, v38
	;;#ASMEND
	;;#ASMSTART
	v_dot2_f32_f16 v38, v99, v95, v38
	;;#ASMEND
	ds_read_b128 v[88:91], v59 offset:32
	ds_read_b128 v[92:95], v43 offset:32
	;; [unrolled: 29-line block ×15, first 2 shown]
	ds_read_b128 v[96:99], v59 offset:8944
	v_addc_co_u32_e32 v109, vcc, v110, v23, vcc
	v_addc_co_u32_e64 v127, vcc, v114, v27, s[2:3]
	v_add_co_u32_e64 v108, s[2:3], v111, v70
	v_addc_co_u32_e64 v109, s[2:3], 0, v109, s[2:3]
	v_addc_co_u32_e64 v126, vcc, v112, v25, s[0:1]
	v_add_co_u32_e64 v110, s[2:3], v113, v70
	v_addc_co_u32_e64 v111, s[2:3], 0, v126, s[2:3]
	s_waitcnt lgkmcnt(1)
	;;#ASMSTART
	v_dot2_f32_f16 v4, v88, v92, v4
	;;#ASMEND
	v_add_co_u32_e64 v114, s[2:3], v115, v70
	;;#ASMSTART
	v_dot2_f32_f16 v4, v89, v93, v4
	;;#ASMEND
	v_addc_co_u32_e64 v115, s[2:3], 0, v127, s[2:3]
	;;#ASMSTART
	v_dot2_f32_f16 v4, v90, v94, v4
	;;#ASMEND
	v_addc_co_u32_e64 v42, vcc, v116, v29, s[8:9]
	v_addc_co_u32_e64 v40, vcc, v118, v31, s[10:11]
	v_add_co_u32_e64 v118, s[2:3], v117, v70
	;;#ASMSTART
	v_dot2_f32_f16 v4, v91, v95, v4
	;;#ASMEND
	s_waitcnt lgkmcnt(0)
	;;#ASMSTART
	v_dot2_f32_f16 v38, v96, v92, v38
	;;#ASMEND
	v_addc_co_u32_e64 v41, vcc, v119, v33, s[12:13]
	v_addc_co_u32_e64 v119, s[2:3], 0, v42, s[2:3]
	;;#ASMSTART
	v_dot2_f32_f16 v38, v97, v93, v38
	;;#ASMEND
	v_add_co_u32_e64 v120, s[2:3], v120, v70
	;;#ASMSTART
	v_dot2_f32_f16 v38, v98, v94, v38
	;;#ASMEND
	v_addc_co_u32_e64 v46, vcc, v121, v35, s[14:15]
	v_addc_co_u32_e64 v121, s[2:3], 0, v40, s[2:3]
	;;#ASMSTART
	v_dot2_f32_f16 v38, v99, v95, v38
	;;#ASMEND
	global_load_ushort v40, v[1:2], off
	s_nop 0
	global_load_ushort v1, v[1:2], off offset:64
	v_addc_co_u32_e64 v124, s[0:1], v124, v37, s[16:17]
	v_add_co_u32_e32 v112, vcc, v123, v70
	v_add_co_u32_e64 v116, s[0:1], v125, v70
	v_add_co_u32_e64 v122, s[2:3], v122, v70
	v_addc_co_u32_e32 v113, vcc, 0, v46, vcc
	v_addc_co_u32_e64 v117, vcc, 0, v124, s[0:1]
	v_addc_co_u32_e64 v123, s[2:3], 0, v41, s[2:3]
	s_waitcnt vmcnt(0)
	s_barrier
	global_load_dwordx4 v[88:91], v[108:109], off
	global_load_dwordx4 v[92:95], v[110:111], off
	;; [unrolled: 1-line block ×5, first 2 shown]
	s_nop 0
	global_load_dwordx4 v[108:111], v[122:123], off
	s_nop 0
	global_load_dwordx4 v[112:115], v[112:113], off
	;; [unrolled: 2-line block ×3, first 2 shown]
	v_cvt_f32_f16_e32 v2, v40
	v_cvt_f32_f16_e32 v1, v1
	v_add_f32_e32 v2, v4, v2
	v_add_f32_e32 v1, v38, v1
	;; [unrolled: 1-line block ×4, first 2 shown]
	v_max3_f32 v4, v3, v4, v38
	ds_bpermute_b32 v38, v87, v4
	s_waitcnt lgkmcnt(0)
	v_max_f32_e32 v38, v38, v38
	v_max_f32_e32 v4, v4, v38
	ds_bpermute_b32 v38, v86, v4
	s_waitcnt lgkmcnt(0)
	v_max_f32_e32 v38, v38, v38
	v_max_f32_e32 v4, v4, v38
	;; [unrolled: 4-line block ×5, first 2 shown]
	v_sub_f32_e32 v3, v3, v38
	v_sub_f32_e32 v2, v2, v38
	v_sub_f32_e32 v1, v1, v38
	v_mul_f32_e32 v4, 0x3fb8aa3b, v2
	v_mul_f32_e32 v40, 0x3fb8aa3b, v1
	;; [unrolled: 1-line block ×3, first 2 shown]
	v_fma_f32 v42, v2, s40, -v4
	v_rndne_f32_e32 v46, v4
	v_fma_f32 v82, v1, s40, -v40
	v_rndne_f32_e32 v84, v40
	;; [unrolled: 2-line block ×3, first 2 shown]
	v_fmac_f32_e32 v42, 0x32a5705f, v2
	v_sub_f32_e32 v4, v4, v46
	v_fmac_f32_e32 v82, 0x32a5705f, v1
	v_sub_f32_e32 v40, v40, v84
	;; [unrolled: 2-line block ×3, first 2 shown]
	v_add_f32_e32 v4, v4, v42
	v_add_f32_e32 v40, v40, v82
	;; [unrolled: 1-line block ×3, first 2 shown]
	v_cvt_i32_f32_e32 v46, v46
	v_cvt_i32_f32_e32 v84, v84
	v_cvt_i32_f32_e32 v86, v86
	v_exp_f32_e32 v4, v4
	v_exp_f32_e32 v40, v40
	;; [unrolled: 1-line block ×3, first 2 shown]
	v_cmp_ngt_f32_e32 vcc, s41, v1
	v_ldexp_f32 v4, v4, v46
	v_ldexp_f32 v40, v40, v84
	;; [unrolled: 1-line block ×3, first 2 shown]
	v_cmp_ngt_f32_e64 s[0:1], s41, v3
	v_cmp_ngt_f32_e64 s[2:3], s41, v2
	v_cndmask_b32_e64 v4, 0, v4, s[2:3]
	v_cndmask_b32_e32 v40, 0, v40, vcc
	v_cmp_nlt_f32_e32 vcc, s42, v1
	v_cndmask_b32_e64 v1, 0, v41, s[0:1]
	v_cmp_nlt_f32_e64 s[0:1], s42, v3
	v_cmp_nlt_f32_e64 s[2:3], s42, v2
	v_cndmask_b32_e64 v2, v72, v4, s[2:3]
	v_cndmask_b32_e32 v3, v72, v40, vcc
	v_cndmask_b32_e64 v1, v72, v1, s[0:1]
	v_cvt_f16_f32_e32 v4, v2
	v_add_f32_e32 v82, v2, v3
	v_cvt_f16_f32_e32 v2, v1
	v_cvt_f16_f32_e32 v3, v3
	v_fmac_f32_e32 v82, v83, v1
	ds_write_b16 v61, v4
	ds_write_b16 v61, v3 offset:64
	s_waitcnt vmcnt(7)
	ds_write_b128 v62, v[88:91]
	s_waitcnt vmcnt(6)
	ds_write_b128 v63, v[92:95]
	;; [unrolled: 2-line block ×8, first 2 shown]
	v_mul_u32_u24_e32 v40, 0x10001, v2
	s_waitcnt lgkmcnt(0)
	s_barrier
	ds_read2_b64 v[83:86], v39 offset1:32
	ds_read_b128 v[87:90], v60
	ds_read_b128 v[91:94], v60 offset:16
	ds_read_b128 v[95:98], v60 offset:32
	;; [unrolled: 1-line block ×3, first 2 shown]
	ds_read2_b64 v[99:102], v39 offset0:64 offset1:96
	ds_read2_b64 v[103:106], v39 offset0:128 offset1:160
	;; [unrolled: 1-line block ×3, first 2 shown]
	ds_read2_b64 v[111:114], v73 offset1:32
	ds_read2_b64 v[115:118], v73 offset0:64 offset1:96
	ds_read2_b64 v[119:122], v73 offset0:128 offset1:160
	s_waitcnt lgkmcnt(9)
	v_mul_u32_u24_sdwa v41, v87, s43 dst_sel:DWORD dst_unused:UNUSED_PAD src0_sel:WORD_0 src1_sel:DWORD
	v_pk_mul_f16 v42, v83, v41
	v_pk_mul_f16 v41, v84, v41
	v_pk_fma_f16 v42, v80, v40, v42
	v_mul_u32_u24_sdwa v46, v87, s43 dst_sel:DWORD dst_unused:UNUSED_PAD src0_sel:WORD_1 src1_sel:DWORD
	v_pk_fma_f16 v40, v81, v40, v41
	v_pk_fma_f16 v41, v85, v46, v42
	;; [unrolled: 1-line block ×3, first 2 shown]
	v_mul_u32_u24_sdwa v42, v88, s43 dst_sel:DWORD dst_unused:UNUSED_PAD src0_sel:WORD_0 src1_sel:DWORD
	v_mul_u32_u24_sdwa v46, v88, s43 dst_sel:DWORD dst_unused:UNUSED_PAD src0_sel:WORD_1 src1_sel:DWORD
	s_waitcnt lgkmcnt(5)
	v_pk_fma_f16 v41, v99, v42, v41
	v_pk_fma_f16 v40, v100, v42, v40
	v_pk_fma_f16 v41, v101, v46, v41
	v_pk_fma_f16 v40, v102, v46, v40
	v_mul_u32_u24_sdwa v42, v89, s43 dst_sel:DWORD dst_unused:UNUSED_PAD src0_sel:WORD_0 src1_sel:DWORD
	v_mul_u32_u24_sdwa v46, v89, s43 dst_sel:DWORD dst_unused:UNUSED_PAD src0_sel:WORD_1 src1_sel:DWORD
	s_waitcnt lgkmcnt(4)
	v_pk_fma_f16 v41, v103, v42, v41
	v_pk_fma_f16 v40, v104, v42, v40
	v_mul_u32_u24_sdwa v80, v90, s43 dst_sel:DWORD dst_unused:UNUSED_PAD src0_sel:WORD_0 src1_sel:DWORD
	v_pk_fma_f16 v41, v105, v46, v41
	v_pk_fma_f16 v40, v106, v46, v40
	v_mul_u32_u24_sdwa v81, v90, s43 dst_sel:DWORD dst_unused:UNUSED_PAD src0_sel:WORD_1 src1_sel:DWORD
	s_waitcnt lgkmcnt(3)
	v_pk_fma_f16 v41, v107, v80, v41
	v_pk_fma_f16 v40, v108, v80, v40
	;; [unrolled: 1-line block ×4, first 2 shown]
	v_mul_u32_u24_sdwa v42, v91, s43 dst_sel:DWORD dst_unused:UNUSED_PAD src0_sel:WORD_0 src1_sel:DWORD
	v_mul_u32_u24_sdwa v46, v91, s43 dst_sel:DWORD dst_unused:UNUSED_PAD src0_sel:WORD_1 src1_sel:DWORD
	s_waitcnt lgkmcnt(2)
	v_pk_fma_f16 v41, v111, v42, v41
	v_pk_fma_f16 v40, v112, v42, v40
	ds_read2_b64 v[83:86], v73 offset0:192 offset1:224
	v_pk_fma_f16 v41, v113, v46, v41
	v_pk_fma_f16 v40, v114, v46, v40
	v_mul_u32_u24_sdwa v42, v92, s43 dst_sel:DWORD dst_unused:UNUSED_PAD src0_sel:WORD_0 src1_sel:DWORD
	v_mul_u32_u24_sdwa v46, v92, s43 dst_sel:DWORD dst_unused:UNUSED_PAD src0_sel:WORD_1 src1_sel:DWORD
	s_waitcnt lgkmcnt(2)
	v_pk_fma_f16 v41, v115, v42, v41
	v_pk_fma_f16 v40, v116, v42, v40
	ds_read2_b64 v[99:102], v74 offset1:32
	v_pk_fma_f16 v41, v117, v46, v41
	v_pk_fma_f16 v40, v118, v46, v40
	v_mul_u32_u24_sdwa v42, v93, s43 dst_sel:DWORD dst_unused:UNUSED_PAD src0_sel:WORD_0 src1_sel:DWORD
	v_mul_u32_u24_sdwa v46, v93, s43 dst_sel:DWORD dst_unused:UNUSED_PAD src0_sel:WORD_1 src1_sel:DWORD
	s_waitcnt lgkmcnt(2)
	v_pk_fma_f16 v41, v119, v42, v41
	v_pk_fma_f16 v40, v120, v42, v40
	ds_read2_b64 v[87:90], v74 offset0:64 offset1:96
	v_mul_u32_u24_sdwa v80, v94, s43 dst_sel:DWORD dst_unused:UNUSED_PAD src0_sel:WORD_0 src1_sel:DWORD
	v_pk_fma_f16 v41, v121, v46, v41
	v_pk_fma_f16 v40, v122, v46, v40
	v_mul_u32_u24_sdwa v81, v94, s43 dst_sel:DWORD dst_unused:UNUSED_PAD src0_sel:WORD_1 src1_sel:DWORD
	s_waitcnt lgkmcnt(2)
	v_pk_fma_f16 v41, v83, v80, v41
	v_pk_fma_f16 v40, v84, v80, v40
	ds_read2_b64 v[103:106], v74 offset0:128 offset1:160
	v_pk_fma_f16 v41, v85, v81, v41
	v_pk_fma_f16 v40, v86, v81, v40
	v_mul_u32_u24_sdwa v42, v95, s43 dst_sel:DWORD dst_unused:UNUSED_PAD src0_sel:WORD_0 src1_sel:DWORD
	v_mul_u32_u24_sdwa v46, v95, s43 dst_sel:DWORD dst_unused:UNUSED_PAD src0_sel:WORD_1 src1_sel:DWORD
	s_waitcnt lgkmcnt(2)
	v_pk_fma_f16 v41, v99, v42, v41
	v_pk_fma_f16 v40, v100, v42, v40
	ds_read2_b64 v[107:110], v74 offset0:192 offset1:224
	v_pk_fma_f16 v41, v101, v46, v41
	v_pk_fma_f16 v40, v102, v46, v40
	v_mul_u32_u24_sdwa v42, v96, s43 dst_sel:DWORD dst_unused:UNUSED_PAD src0_sel:WORD_0 src1_sel:DWORD
	v_mul_u32_u24_sdwa v46, v96, s43 dst_sel:DWORD dst_unused:UNUSED_PAD src0_sel:WORD_1 src1_sel:DWORD
	s_waitcnt lgkmcnt(2)
	v_pk_fma_f16 v41, v87, v42, v41
	v_pk_fma_f16 v40, v88, v42, v40
	ds_read2_b64 v[111:114], v75 offset1:32
	v_pk_fma_f16 v41, v89, v46, v41
	v_pk_fma_f16 v40, v90, v46, v40
	v_mul_u32_u24_sdwa v42, v97, s43 dst_sel:DWORD dst_unused:UNUSED_PAD src0_sel:WORD_0 src1_sel:DWORD
	v_mul_u32_u24_sdwa v46, v97, s43 dst_sel:DWORD dst_unused:UNUSED_PAD src0_sel:WORD_1 src1_sel:DWORD
	s_waitcnt lgkmcnt(2)
	v_pk_fma_f16 v41, v103, v42, v41
	v_pk_fma_f16 v40, v104, v42, v40
	ds_read2_b64 v[115:118], v75 offset0:64 offset1:96
	v_mul_u32_u24_sdwa v80, v98, s43 dst_sel:DWORD dst_unused:UNUSED_PAD src0_sel:WORD_0 src1_sel:DWORD
	v_pk_fma_f16 v41, v105, v46, v41
	v_pk_fma_f16 v40, v106, v46, v40
	v_mul_u32_u24_sdwa v81, v98, s43 dst_sel:DWORD dst_unused:UNUSED_PAD src0_sel:WORD_1 src1_sel:DWORD
	s_waitcnt lgkmcnt(2)
	v_pk_fma_f16 v41, v107, v80, v41
	v_pk_fma_f16 v40, v108, v80, v40
	ds_read2_b64 v[91:94], v75 offset0:128 offset1:160
	v_pk_fma_f16 v41, v109, v81, v41
	v_pk_fma_f16 v40, v110, v81, v40
	v_mul_u32_u24_sdwa v42, v1, s43 dst_sel:DWORD dst_unused:UNUSED_PAD src0_sel:WORD_0 src1_sel:DWORD
	v_mul_u32_u24_sdwa v1, v1, s43 dst_sel:DWORD dst_unused:UNUSED_PAD src0_sel:WORD_1 src1_sel:DWORD
	s_waitcnt lgkmcnt(2)
	v_pk_fma_f16 v41, v111, v42, v41
	v_pk_fma_f16 v40, v112, v42, v40
	ds_read2_b64 v[119:122], v75 offset0:192 offset1:224
	v_pk_fma_f16 v41, v113, v1, v41
	v_pk_fma_f16 v1, v114, v1, v40
	v_mul_u32_u24_sdwa v40, v2, s43 dst_sel:DWORD dst_unused:UNUSED_PAD src0_sel:WORD_0 src1_sel:DWORD
	ds_read_b128 v[99:102], v60 offset:64
	ds_read_b128 v[111:114], v60 offset:80
	v_mul_u32_u24_sdwa v2, v2, s43 dst_sel:DWORD dst_unused:UNUSED_PAD src0_sel:WORD_1 src1_sel:DWORD
	s_waitcnt lgkmcnt(4)
	v_pk_fma_f16 v41, v115, v40, v41
	v_pk_fma_f16 v1, v116, v40, v1
	ds_read2_b64 v[83:86], v76 offset1:32
	v_pk_fma_f16 v40, v117, v2, v41
	v_pk_fma_f16 v1, v118, v2, v1
	v_mul_u32_u24_sdwa v2, v3, s43 dst_sel:DWORD dst_unused:UNUSED_PAD src0_sel:WORD_0 src1_sel:DWORD
	v_mul_u32_u24_sdwa v41, v3, s43 dst_sel:DWORD dst_unused:UNUSED_PAD src0_sel:WORD_1 src1_sel:DWORD
	s_waitcnt lgkmcnt(4)
	v_pk_fma_f16 v40, v91, v2, v40
	v_pk_fma_f16 v80, v92, v2, v1
	ds_read2_b64 v[87:90], v76 offset0:64 offset1:96
	v_mul_u32_u24_sdwa v42, v4, s43 dst_sel:DWORD dst_unused:UNUSED_PAD src0_sel:WORD_0 src1_sel:DWORD
	v_pk_fma_f16 v40, v93, v41, v40
	v_pk_fma_f16 v41, v94, v41, v80
	v_mul_u32_u24_sdwa v46, v4, s43 dst_sel:DWORD dst_unused:UNUSED_PAD src0_sel:WORD_1 src1_sel:DWORD
	s_waitcnt lgkmcnt(4)
	v_pk_fma_f16 v40, v119, v42, v40
	v_pk_fma_f16 v41, v120, v42, v41
	ds_read2_b64 v[95:98], v76 offset0:128 offset1:160
	v_pk_fma_f16 v40, v121, v46, v40
	v_pk_fma_f16 v41, v122, v46, v41
	s_waitcnt lgkmcnt(4)
	v_mul_u32_u24_sdwa v42, v99, s43 dst_sel:DWORD dst_unused:UNUSED_PAD src0_sel:WORD_0 src1_sel:DWORD
	v_mul_u32_u24_sdwa v46, v99, s43 dst_sel:DWORD dst_unused:UNUSED_PAD src0_sel:WORD_1 src1_sel:DWORD
	s_waitcnt lgkmcnt(2)
	v_pk_fma_f16 v40, v83, v42, v40
	v_pk_fma_f16 v41, v84, v42, v41
	ds_read2_b64 v[103:106], v76 offset0:192 offset1:224
	v_pk_fma_f16 v40, v85, v46, v40
	v_pk_fma_f16 v41, v86, v46, v41
	v_mul_u32_u24_sdwa v42, v100, s43 dst_sel:DWORD dst_unused:UNUSED_PAD src0_sel:WORD_0 src1_sel:DWORD
	v_mul_u32_u24_sdwa v46, v100, s43 dst_sel:DWORD dst_unused:UNUSED_PAD src0_sel:WORD_1 src1_sel:DWORD
	s_waitcnt lgkmcnt(2)
	v_pk_fma_f16 v40, v87, v42, v40
	v_pk_fma_f16 v41, v88, v42, v41
	ds_read2_b64 v[107:110], v77 offset1:32
	v_pk_fma_f16 v40, v89, v46, v40
	v_pk_fma_f16 v41, v90, v46, v41
	v_mul_u32_u24_sdwa v42, v101, s43 dst_sel:DWORD dst_unused:UNUSED_PAD src0_sel:WORD_0 src1_sel:DWORD
	v_mul_u32_u24_sdwa v46, v101, s43 dst_sel:DWORD dst_unused:UNUSED_PAD src0_sel:WORD_1 src1_sel:DWORD
	s_waitcnt lgkmcnt(2)
	v_pk_fma_f16 v40, v95, v42, v40
	v_pk_fma_f16 v41, v96, v42, v41
	ds_read2_b64 v[115:118], v77 offset0:64 offset1:96
	v_mul_u32_u24_sdwa v80, v102, s43 dst_sel:DWORD dst_unused:UNUSED_PAD src0_sel:WORD_0 src1_sel:DWORD
	v_pk_fma_f16 v40, v97, v46, v40
	v_pk_fma_f16 v41, v98, v46, v41
	v_mul_u32_u24_sdwa v81, v102, s43 dst_sel:DWORD dst_unused:UNUSED_PAD src0_sel:WORD_1 src1_sel:DWORD
	s_waitcnt lgkmcnt(2)
	v_pk_fma_f16 v40, v103, v80, v40
	v_pk_fma_f16 v41, v104, v80, v41
	ds_read2_b64 v[1:4], v77 offset0:128 offset1:160
	v_mul_u32_u24_sdwa v42, v111, s43 dst_sel:DWORD dst_unused:UNUSED_PAD src0_sel:WORD_0 src1_sel:DWORD
	v_pk_fma_f16 v40, v105, v81, v40
	v_pk_fma_f16 v41, v106, v81, v41
	v_mul_u32_u24_sdwa v46, v111, s43 dst_sel:DWORD dst_unused:UNUSED_PAD src0_sel:WORD_1 src1_sel:DWORD
	s_waitcnt lgkmcnt(2)
	v_pk_fma_f16 v40, v107, v42, v40
	v_pk_fma_f16 v41, v108, v42, v41
	ds_read2_b64 v[91:94], v77 offset0:192 offset1:224
	v_mul_u32_u24_sdwa v80, v112, s43 dst_sel:DWORD dst_unused:UNUSED_PAD src0_sel:WORD_0 src1_sel:DWORD
	v_pk_fma_f16 v40, v109, v46, v40
	v_pk_fma_f16 v41, v110, v46, v41
	ds_read_b128 v[83:86], v60 offset:96
	ds_read_b128 v[107:110], v60 offset:112
	v_mul_u32_u24_sdwa v81, v112, s43 dst_sel:DWORD dst_unused:UNUSED_PAD src0_sel:WORD_1 src1_sel:DWORD
	s_waitcnt lgkmcnt(4)
	v_pk_fma_f16 v40, v115, v80, v40
	v_pk_fma_f16 v41, v116, v80, v41
	ds_read2_b64 v[119:122], v78 offset1:32
	v_mul_u32_u24_sdwa v111, v113, s43 dst_sel:DWORD dst_unused:UNUSED_PAD src0_sel:WORD_0 src1_sel:DWORD
	v_pk_fma_f16 v40, v117, v81, v40
	v_pk_fma_f16 v41, v118, v81, v41
	v_mul_u32_u24_sdwa v112, v113, s43 dst_sel:DWORD dst_unused:UNUSED_PAD src0_sel:WORD_1 src1_sel:DWORD
	s_waitcnt lgkmcnt(4)
	v_pk_fma_f16 v1, v1, v111, v40
	v_pk_fma_f16 v2, v2, v111, v41
	ds_read2_b64 v[87:90], v78 offset0:64 offset1:96
	v_mul_u32_u24_sdwa v113, v114, s43 dst_sel:DWORD dst_unused:UNUSED_PAD src0_sel:WORD_0 src1_sel:DWORD
	v_pk_fma_f16 v40, v3, v112, v1
	v_pk_fma_f16 v41, v4, v112, v2
	v_mul_u32_u24_sdwa v114, v114, s43 dst_sel:DWORD dst_unused:UNUSED_PAD src0_sel:WORD_1 src1_sel:DWORD
	s_waitcnt lgkmcnt(4)
	v_pk_fma_f16 v40, v91, v113, v40
	v_pk_fma_f16 v41, v92, v113, v41
	ds_read2_b64 v[99:102], v78 offset0:128 offset1:160
	s_waitcnt lgkmcnt(4)
	v_mul_u32_u24_sdwa v42, v83, s43 dst_sel:DWORD dst_unused:UNUSED_PAD src0_sel:WORD_0 src1_sel:DWORD
	v_pk_fma_f16 v40, v93, v114, v40
	v_pk_fma_f16 v41, v94, v114, v41
	v_mul_u32_u24_sdwa v46, v83, s43 dst_sel:DWORD dst_unused:UNUSED_PAD src0_sel:WORD_1 src1_sel:DWORD
	s_waitcnt lgkmcnt(2)
	v_pk_fma_f16 v40, v119, v42, v40
	v_pk_fma_f16 v41, v120, v42, v41
	ds_read2_b64 v[95:98], v78 offset0:192 offset1:224
	v_mul_u32_u24_sdwa v80, v84, s43 dst_sel:DWORD dst_unused:UNUSED_PAD src0_sel:WORD_0 src1_sel:DWORD
	v_pk_fma_f16 v40, v121, v46, v40
	v_pk_fma_f16 v41, v122, v46, v41
	v_mul_u32_u24_sdwa v81, v84, s43 dst_sel:DWORD dst_unused:UNUSED_PAD src0_sel:WORD_1 src1_sel:DWORD
	s_waitcnt lgkmcnt(2)
	v_pk_fma_f16 v40, v87, v80, v40
	v_pk_fma_f16 v41, v88, v80, v41
	ds_read2_b64 v[103:106], v79 offset1:32
	v_mul_u32_u24_sdwa v115, v85, s43 dst_sel:DWORD dst_unused:UNUSED_PAD src0_sel:WORD_0 src1_sel:DWORD
	v_pk_fma_f16 v40, v89, v81, v40
	v_pk_fma_f16 v41, v90, v81, v41
	v_mul_u32_u24_sdwa v116, v85, s43 dst_sel:DWORD dst_unused:UNUSED_PAD src0_sel:WORD_1 src1_sel:DWORD
	s_waitcnt lgkmcnt(2)
	v_pk_fma_f16 v40, v99, v115, v40
	v_pk_fma_f16 v41, v100, v115, v41
	v_mul_u32_u24_sdwa v117, v86, s43 dst_sel:DWORD dst_unused:UNUSED_PAD src0_sel:WORD_0 src1_sel:DWORD
	v_mul_u32_u24_sdwa v118, v86, s43 dst_sel:DWORD dst_unused:UNUSED_PAD src0_sel:WORD_1 src1_sel:DWORD
	ds_read2_b64 v[83:86], v79 offset0:64 offset1:96
	v_pk_fma_f16 v40, v101, v116, v40
	v_pk_fma_f16 v41, v102, v116, v41
	s_waitcnt lgkmcnt(2)
	v_pk_fma_f16 v40, v95, v117, v40
	v_pk_fma_f16 v41, v96, v117, v41
	ds_read2_b64 v[1:4], v79 offset0:128 offset1:160
	v_mul_u32_u24_sdwa v111, v107, s43 dst_sel:DWORD dst_unused:UNUSED_PAD src0_sel:WORD_0 src1_sel:DWORD
	v_pk_fma_f16 v40, v97, v118, v40
	v_pk_fma_f16 v41, v98, v118, v41
	v_mul_u32_u24_sdwa v107, v107, s43 dst_sel:DWORD dst_unused:UNUSED_PAD src0_sel:WORD_1 src1_sel:DWORD
	ds_read2_b64 v[91:94], v79 offset0:192 offset1:224
	s_waitcnt lgkmcnt(0)
	s_barrier
	s_load_dword s0, s[18:19], 0x4
	v_pk_fma_f16 v40, v103, v111, v40
	v_pk_fma_f16 v41, v104, v111, v41
	v_mul_u32_u24_sdwa v112, v108, s43 dst_sel:DWORD dst_unused:UNUSED_PAD src0_sel:WORD_0 src1_sel:DWORD
	v_pk_fma_f16 v40, v105, v107, v40
	v_pk_fma_f16 v41, v106, v107, v41
	v_mul_u32_u24_sdwa v108, v108, s43 dst_sel:DWORD dst_unused:UNUSED_PAD src0_sel:WORD_1 src1_sel:DWORD
	v_pk_fma_f16 v40, v83, v112, v40
	v_pk_fma_f16 v41, v84, v112, v41
	v_mul_u32_u24_sdwa v113, v109, s43 dst_sel:DWORD dst_unused:UNUSED_PAD src0_sel:WORD_0 src1_sel:DWORD
	v_pk_fma_f16 v40, v85, v108, v40
	v_pk_fma_f16 v41, v86, v108, v41
	v_mul_u32_u24_sdwa v109, v109, s43 dst_sel:DWORD dst_unused:UNUSED_PAD src0_sel:WORD_1 src1_sel:DWORD
	v_pk_fma_f16 v1, v1, v113, v40
	v_pk_fma_f16 v2, v2, v113, v41
	v_mul_u32_u24_sdwa v114, v110, s43 dst_sel:DWORD dst_unused:UNUSED_PAD src0_sel:WORD_0 src1_sel:DWORD
	s_waitcnt lgkmcnt(0)
	s_lshl_b32 s0, s0, 6
	v_pk_fma_f16 v1, v3, v109, v1
	v_pk_fma_f16 v2, v4, v109, v2
	v_mul_u32_u24_sdwa v110, v110, s43 dst_sel:DWORD dst_unused:UNUSED_PAD src0_sel:WORD_1 src1_sel:DWORD
	s_add_i32 s6, s0, s6
	v_pk_fma_f16 v1, v91, v114, v1
	v_pk_fma_f16 v2, v92, v114, v2
	s_cmp_ge_i32 s6, s34
	v_pk_fma_f16 v80, v93, v110, v1
	v_pk_fma_f16 v81, v94, v110, v2
	s_cbranch_scc0 .LBB46_9
; %bb.10:
	buffer_load_dword v26, off, s[48:51], 0 ; 4-byte Folded Reload
	buffer_load_dword v27, off, s[48:51], 0 offset:4 ; 4-byte Folded Reload
	buffer_load_dword v9, off, s[48:51], 0 offset:8 ; 4-byte Folded Reload
	;; [unrolled: 1-line block ×4, first 2 shown]
.LBB46_11:
	v_cmp_lt_i32_e32 vcc, v58, v47
	v_cndmask_b32_e32 v1, v44, v58, vcc
	v_lshlrev_b32_e32 v1, 2, v1
	ds_bpermute_b32 v1, v1, v82
	v_cmp_lt_i32_e32 vcc, v55, v47
	v_cndmask_b32_e32 v2, v44, v55, vcc
	v_lshlrev_b32_e32 v2, 2, v2
	v_cmp_lt_i32_e32 vcc, v53, v47
	s_waitcnt lgkmcnt(0)
	v_add_f32_e32 v1, v82, v1
	ds_bpermute_b32 v2, v2, v1
	v_cndmask_b32_e32 v3, v44, v53, vcc
	v_lshlrev_b32_e32 v3, 2, v3
	v_cmp_lt_i32_e32 vcc, v52, v47
	s_cmp_lg_u64 s[20:21], 0
	s_waitcnt lgkmcnt(0)
	v_add_f32_e32 v1, v1, v2
	ds_bpermute_b32 v2, v3, v1
	v_cndmask_b32_e32 v3, v44, v52, vcc
	v_lshlrev_b32_e32 v3, 2, v3
	v_cmp_lt_i32_e32 vcc, v50, v47
	s_cselect_b64 s[0:1], -1, 0
	s_waitcnt lgkmcnt(0)
	v_add_f32_e32 v1, v1, v2
	ds_bpermute_b32 v2, v3, v1
	v_cndmask_b32_e32 v3, v44, v50, vcc
	v_lshlrev_b32_e32 v3, 2, v3
	s_cmp_eq_u32 s7, 0
	s_cselect_b64 s[2:3], -1, 0
	s_waitcnt lgkmcnt(0)
	v_add_f32_e32 v1, v1, v2
	ds_bpermute_b32 v2, v3, v1
	s_and_b64 s[0:1], s[2:3], s[0:1]
	s_and_b64 vcc, exec, s[0:1]
	s_waitcnt lgkmcnt(0)
	v_add_f32_e32 v39, v1, v2
	s_cbranch_vccz .LBB46_13
; %bb.12:
	s_waitcnt vmcnt(2)
	v_add_u32_e32 v1, s33, v9
	v_ashrrev_i32_e32 v2, 31, v1
	v_lshlrev_b64 v[1:2], 2, v[1:2]
	v_mov_b32_e32 v0, s21
	v_add_co_u32_e32 v1, vcc, s20, v1
	v_addc_co_u32_e32 v2, vcc, v0, v2, vcc
	global_load_dword v0, v[1:2], off
	v_max_f32_e32 v1, v38, v38
	s_mov_b32 s0, 0x3fb8aa3b
	s_mov_b32 s1, 0xc2ce8ed0
	s_waitcnt vmcnt(0)
	v_max_f32_e32 v2, v0, v0
	v_max_f32_e32 v1, v1, v2
	v_sub_f32_e32 v2, v38, v1
	v_sub_f32_e32 v0, v0, v1
	v_mul_f32_e32 v3, 0x3fb8aa3b, v2
	v_mul_f32_e32 v4, 0x3fb8aa3b, v0
	v_fma_f32 v5, v2, s0, -v3
	v_rndne_f32_e32 v6, v3
	v_fma_f32 v7, v0, s0, -v4
	v_rndne_f32_e32 v8, v4
	v_fmac_f32_e32 v5, 0x32a5705f, v2
	v_sub_f32_e32 v3, v3, v6
	v_fmac_f32_e32 v7, 0x32a5705f, v0
	v_sub_f32_e32 v4, v4, v8
	v_add_f32_e32 v3, v3, v5
	v_cvt_i32_f32_e32 v6, v6
	v_add_f32_e32 v4, v4, v7
	v_exp_f32_e32 v3, v3
	v_cvt_i32_f32_e32 v8, v8
	v_exp_f32_e32 v4, v4
	v_cmp_ngt_f32_e32 vcc, s1, v2
	v_ldexp_f32 v3, v3, v6
	s_mov_b32 s0, 0x42b17218
	v_ldexp_f32 v4, v4, v8
	v_cndmask_b32_e32 v3, 0, v3, vcc
	v_cmp_ngt_f32_e32 vcc, s1, v0
	v_mov_b32_e32 v5, 0x7f800000
	v_cndmask_b32_e32 v4, 0, v4, vcc
	v_cmp_nlt_f32_e32 vcc, s0, v2
	v_cndmask_b32_e32 v2, v5, v3, vcc
	v_cvt_f16_f32_e32 v3, v2
	v_cmp_nlt_f32_e32 vcc, s0, v0
	v_cndmask_b32_e32 v0, v5, v4, vcc
	v_fmac_f32_e32 v0, v39, v2
	v_mov_b32_e32 v39, v0
	v_mul_u32_u24_e32 v0, 0x10001, v3
	v_pk_mul_f16 v80, v80, v0
	v_pk_mul_f16 v81, v81, v0
	v_mov_b32_e32 v38, v1
.LBB46_13:
	s_waitcnt vmcnt(1)
	v_cmp_gt_i32_e32 vcc, s30, v10
	s_and_saveexec_b64 s[0:1], vcc
	s_cbranch_execz .LBB46_16
; %bb.14:
	v_div_scale_f32 v0, s[0:1], v39, v39, 1.0
	v_div_scale_f32 v1, vcc, 1.0, v39, 1.0
	s_mul_i32 s38, s38, s30
	v_add_u32_e32 v5, s38, v10
	s_load_dword s0, s[4:5], 0xd4
	v_mul_lo_u32 v5, v5, s31
	v_mov_b32_e32 v2, 0
	v_mov_b32_e32 v4, s25
	v_cvt_f32_f16_sdwa v8, v80 dst_sel:DWORD dst_unused:UNUSED_PAD src0_sel:WORD_1
	v_cvt_f32_f16_sdwa v10, v81 dst_sel:DWORD dst_unused:UNUSED_PAD src0_sel:WORD_1
	s_waitcnt lgkmcnt(0)
	s_cmp_lg_u32 s0, 1
	v_rcp_f32_e32 v3, v0
	v_fma_f32 v6, -v0, v3, 1.0
	v_fmac_f32_e32 v3, v6, v3
	v_mul_f32_e32 v6, v1, v3
	v_fma_f32 v7, -v0, v6, v1
	v_fmac_f32_e32 v6, v7, v3
	v_fma_f32 v0, -v0, v6, v1
	v_div_fmas_f32 v3, v0, v3, v6
	v_add3_u32 v0, s33, v9, v5
	v_mul_lo_u32 v0, s0, v0
	v_cvt_f32_f16_e32 v7, v80
	v_cvt_f32_f16_e32 v9, v81
	v_cmp_eq_u32_e32 vcc, 0, v26
	v_add_u32_e32 v0, s7, v0
	s_waitcnt vmcnt(0)
	v_lshl_add_u32 v1, v0, 7, v11
	v_lshlrev_b64 v[1:2], 2, v[1:2]
	v_add_co_u32_e64 v5, s[0:1], s24, v1
	v_addc_co_u32_e64 v6, s[0:1], v4, v2, s[0:1]
	s_cselect_b64 s[0:1], -1, 0
	v_div_fixup_f32 v1, v3, v39, 1.0
	v_cndmask_b32_e64 v4, v1, 1.0, s[0:1]
	s_and_b64 s[0:1], vcc, s[0:1]
	v_mul_f32_e32 v1, v4, v7
	v_mul_f32_e32 v2, v4, v8
	;; [unrolled: 1-line block ×4, first 2 shown]
	global_store_dwordx4 v[5:6], v[1:4], off
	s_and_b64 exec, exec, s[0:1]
	s_cbranch_execz .LBB46_16
; %bb.15:
	v_ashrrev_i32_e32 v1, 31, v0
	v_lshlrev_b64 v[0:1], 3, v[0:1]
	v_mov_b32_e32 v2, s27
	v_add_co_u32_e32 v0, vcc, s26, v0
	v_addc_co_u32_e32 v1, vcc, v2, v1, vcc
	global_store_dwordx2 v[0:1], v[38:39], off
.LBB46_16:
	s_endpgm
	.section	.rodata,"a",@progbits
	.p2align	6, 0x0
	.amdhsa_kernel _ZL15flash_attn_tileILi128ELi128ELi2ELi2ELb0EEvPKcS1_S1_S1_S1_PKiPfP15HIP_vector_typeIfLj2EEffffjfiS5_IjLj3EEiiiiiiiiiiiliiliiiiil
		.amdhsa_group_segment_fixed_size 18944
		.amdhsa_private_segment_fixed_size 24
		.amdhsa_kernarg_size 464
		.amdhsa_user_sgpr_count 6
		.amdhsa_user_sgpr_private_segment_buffer 1
		.amdhsa_user_sgpr_dispatch_ptr 0
		.amdhsa_user_sgpr_queue_ptr 0
		.amdhsa_user_sgpr_kernarg_segment_ptr 1
		.amdhsa_user_sgpr_dispatch_id 0
		.amdhsa_user_sgpr_flat_scratch_init 0
		.amdhsa_user_sgpr_private_segment_size 0
		.amdhsa_uses_dynamic_stack 0
		.amdhsa_system_sgpr_private_segment_wavefront_offset 1
		.amdhsa_system_sgpr_workgroup_id_x 1
		.amdhsa_system_sgpr_workgroup_id_y 1
		.amdhsa_system_sgpr_workgroup_id_z 1
		.amdhsa_system_sgpr_workgroup_info 0
		.amdhsa_system_vgpr_workitem_id 1
		.amdhsa_next_free_vgpr 128
		.amdhsa_next_free_sgpr 98
		.amdhsa_reserve_vcc 1
		.amdhsa_reserve_flat_scratch 0
		.amdhsa_float_round_mode_32 0
		.amdhsa_float_round_mode_16_64 0
		.amdhsa_float_denorm_mode_32 3
		.amdhsa_float_denorm_mode_16_64 3
		.amdhsa_dx10_clamp 1
		.amdhsa_ieee_mode 1
		.amdhsa_fp16_overflow 0
		.amdhsa_exception_fp_ieee_invalid_op 0
		.amdhsa_exception_fp_denorm_src 0
		.amdhsa_exception_fp_ieee_div_zero 0
		.amdhsa_exception_fp_ieee_overflow 0
		.amdhsa_exception_fp_ieee_underflow 0
		.amdhsa_exception_fp_ieee_inexact 0
		.amdhsa_exception_int_div_zero 0
	.end_amdhsa_kernel
	.section	.text._ZL15flash_attn_tileILi128ELi128ELi2ELi2ELb0EEvPKcS1_S1_S1_S1_PKiPfP15HIP_vector_typeIfLj2EEffffjfiS5_IjLj3EEiiiiiiiiiiiliiliiiiil,"axG",@progbits,_ZL15flash_attn_tileILi128ELi128ELi2ELi2ELb0EEvPKcS1_S1_S1_S1_PKiPfP15HIP_vector_typeIfLj2EEffffjfiS5_IjLj3EEiiiiiiiiiiiliiliiiiil,comdat
.Lfunc_end46:
	.size	_ZL15flash_attn_tileILi128ELi128ELi2ELi2ELb0EEvPKcS1_S1_S1_S1_PKiPfP15HIP_vector_typeIfLj2EEffffjfiS5_IjLj3EEiiiiiiiiiiiliiliiiiil, .Lfunc_end46-_ZL15flash_attn_tileILi128ELi128ELi2ELi2ELb0EEvPKcS1_S1_S1_S1_PKiPfP15HIP_vector_typeIfLj2EEffffjfiS5_IjLj3EEiiiiiiiiiiiliiliiiiil
                                        ; -- End function
	.set _ZL15flash_attn_tileILi128ELi128ELi2ELi2ELb0EEvPKcS1_S1_S1_S1_PKiPfP15HIP_vector_typeIfLj2EEffffjfiS5_IjLj3EEiiiiiiiiiiiliiliiiiil.num_vgpr, 128
	.set _ZL15flash_attn_tileILi128ELi128ELi2ELi2ELb0EEvPKcS1_S1_S1_S1_PKiPfP15HIP_vector_typeIfLj2EEffffjfiS5_IjLj3EEiiiiiiiiiiiliiliiiiil.num_agpr, 0
	.set _ZL15flash_attn_tileILi128ELi128ELi2ELi2ELb0EEvPKcS1_S1_S1_S1_PKiPfP15HIP_vector_typeIfLj2EEffffjfiS5_IjLj3EEiiiiiiiiiiiliiliiiiil.numbered_sgpr, 52
	.set _ZL15flash_attn_tileILi128ELi128ELi2ELi2ELb0EEvPKcS1_S1_S1_S1_PKiPfP15HIP_vector_typeIfLj2EEffffjfiS5_IjLj3EEiiiiiiiiiiiliiliiiiil.num_named_barrier, 0
	.set _ZL15flash_attn_tileILi128ELi128ELi2ELi2ELb0EEvPKcS1_S1_S1_S1_PKiPfP15HIP_vector_typeIfLj2EEffffjfiS5_IjLj3EEiiiiiiiiiiiliiliiiiil.private_seg_size, 24
	.set _ZL15flash_attn_tileILi128ELi128ELi2ELi2ELb0EEvPKcS1_S1_S1_S1_PKiPfP15HIP_vector_typeIfLj2EEffffjfiS5_IjLj3EEiiiiiiiiiiiliiliiiiil.uses_vcc, 1
	.set _ZL15flash_attn_tileILi128ELi128ELi2ELi2ELb0EEvPKcS1_S1_S1_S1_PKiPfP15HIP_vector_typeIfLj2EEffffjfiS5_IjLj3EEiiiiiiiiiiiliiliiiiil.uses_flat_scratch, 0
	.set _ZL15flash_attn_tileILi128ELi128ELi2ELi2ELb0EEvPKcS1_S1_S1_S1_PKiPfP15HIP_vector_typeIfLj2EEffffjfiS5_IjLj3EEiiiiiiiiiiiliiliiiiil.has_dyn_sized_stack, 0
	.set _ZL15flash_attn_tileILi128ELi128ELi2ELi2ELb0EEvPKcS1_S1_S1_S1_PKiPfP15HIP_vector_typeIfLj2EEffffjfiS5_IjLj3EEiiiiiiiiiiiliiliiiiil.has_recursion, 0
	.set _ZL15flash_attn_tileILi128ELi128ELi2ELi2ELb0EEvPKcS1_S1_S1_S1_PKiPfP15HIP_vector_typeIfLj2EEffffjfiS5_IjLj3EEiiiiiiiiiiiliiliiiiil.has_indirect_call, 0
	.section	.AMDGPU.csdata,"",@progbits
; Kernel info:
; codeLenInByte = 7716
; TotalNumSgprs: 56
; NumVgprs: 128
; ScratchSize: 24
; MemoryBound: 0
; FloatMode: 240
; IeeeMode: 1
; LDSByteSize: 18944 bytes/workgroup (compile time only)
; SGPRBlocks: 12
; VGPRBlocks: 31
; NumSGPRsForWavesPerEU: 102
; NumVGPRsForWavesPerEU: 128
; Occupancy: 2
; WaveLimiterHint : 1
; COMPUTE_PGM_RSRC2:SCRATCH_EN: 1
; COMPUTE_PGM_RSRC2:USER_SGPR: 6
; COMPUTE_PGM_RSRC2:TRAP_HANDLER: 0
; COMPUTE_PGM_RSRC2:TGID_X_EN: 1
; COMPUTE_PGM_RSRC2:TGID_Y_EN: 1
; COMPUTE_PGM_RSRC2:TGID_Z_EN: 1
; COMPUTE_PGM_RSRC2:TIDIG_COMP_CNT: 1
	.section	.text._ZL33flash_attn_stream_k_fixup_uniformILi128ELi2ELi2EEvPfPK15HIP_vector_typeIfLj2EEiiiiiiS1_IjLj3EES5_S5_,"axG",@progbits,_ZL33flash_attn_stream_k_fixup_uniformILi128ELi2ELi2EEvPfPK15HIP_vector_typeIfLj2EEiiiiiiS1_IjLj3EES5_S5_,comdat
	.globl	_ZL33flash_attn_stream_k_fixup_uniformILi128ELi2ELi2EEvPfPK15HIP_vector_typeIfLj2EEiiiiiiS1_IjLj3EES5_S5_ ; -- Begin function _ZL33flash_attn_stream_k_fixup_uniformILi128ELi2ELi2EEvPfPK15HIP_vector_typeIfLj2EEiiiiiiS1_IjLj3EES5_S5_
	.p2align	8
	.type	_ZL33flash_attn_stream_k_fixup_uniformILi128ELi2ELi2EEvPfPK15HIP_vector_typeIfLj2EEiiiiiiS1_IjLj3EES5_S5_,@function
_ZL33flash_attn_stream_k_fixup_uniformILi128ELi2ELi2EEvPfPK15HIP_vector_typeIfLj2EEiiiiiiS1_IjLj3EES5_S5_: ; @_ZL33flash_attn_stream_k_fixup_uniformILi128ELi2ELi2EEvPfPK15HIP_vector_typeIfLj2EEiiiiiiS1_IjLj3EES5_S5_
; %bb.0:
	s_load_dwordx8 s[12:19], s[4:5], 0x1c
	s_load_dwordx2 s[10:11], s[4:5], 0x10
	s_load_dwordx4 s[0:3], s[4:5], 0x3c
	s_waitcnt lgkmcnt(0)
	s_mul_hi_u32 s9, s15, s6
	s_add_i32 s9, s6, s9
	s_lshr_b32 s9, s9, s16
	s_mul_i32 s15, s9, s17
	s_sub_i32 s15, s6, s15
	s_mul_hi_u32 s16, s15, s18
	s_add_i32 s16, s15, s16
	s_lshr_b32 s16, s16, s19
	s_mul_i32 s0, s16, s0
	s_sub_i32 s0, s15, s0
	s_mul_hi_u32 s1, s0, s1
	s_add_i32 s1, s0, s1
	s_lshr_b32 s1, s1, s2
	s_mul_i32 s2, s1, s3
	s_sub_i32 s17, s0, s2
	s_lshl_b32 s0, s17, 1
	s_lshl_b32 s15, s1, 1
	s_add_i32 s0, s0, s7
	s_cmp_lt_i32 s0, s10
	s_cselect_b64 s[0:1], -1, 0
	s_add_i32 s2, s15, s8
	s_cmp_lt_i32 s2, s13
	s_cselect_b64 s[2:3], -1, 0
	s_and_b64 s[0:1], s[0:1], s[2:3]
	s_andn2_b64 vcc, exec, s[0:1]
	s_cbranch_vccnz .LBB47_6
; %bb.1:
	s_load_dwordx4 s[0:3], s[4:5], 0x0
	s_mul_i32 s4, s9, s10
	s_add_i32 s4, s4, s7
	s_mul_i32 s4, s4, s11
	s_mul_i32 s16, s16, s13
	s_add_i32 s4, s4, s8
	s_add_i32 s4, s4, s16
	s_mul_i32 s5, s11, s17
	s_add_i32 s4, s4, s15
	s_lshl_b32 s5, s5, 8
	s_lshl_b32 s4, s4, 7
	s_add_i32 s5, s5, s4
	v_or_b32_e32 v1, s5, v0
	v_ashrrev_i32_e32 v2, 31, v1
	v_lshlrev_b64 v[1:2], 2, v[1:2]
	s_waitcnt lgkmcnt(0)
	v_mov_b32_e32 v3, s1
	v_add_co_u32_e32 v1, vcc, s0, v1
	v_addc_co_u32_e32 v2, vcc, v3, v2, vcc
	global_load_dword v8, v[1:2], off
	s_mul_i32 s9, s14, s6
	s_lshl_b32 s4, s7, 1
	s_add_i32 s11, s9, s14
	s_add_i32 s0, s4, s8
	s_lshl_b32 s1, s11, 2
	s_add_i32 s0, s0, s1
	s_add_i32 s0, s0, -4
	s_ashr_i32 s1, s0, 31
	s_lshl_b64 s[0:1], s[0:1], 3
	s_add_u32 s0, s2, s0
	s_addc_u32 s1, s3, s1
	s_load_dword s5, s[0:1], 0x4
	s_add_i32 s10, s11, -2
	s_cmp_lt_i32 s10, s9
	s_cbranch_scc1 .LBB47_4
; %bb.2:
	s_lshl_b32 s16, s12, 4
	s_ashr_i32 s17, s16, 31
	s_lshl_b64 s[16:17], s[16:17], 2
	s_add_u32 s10, s2, s16
	s_addc_u32 s13, s3, s17
	s_add_i32 s6, s6, 1
	s_load_dword s0, s[0:1], 0x0
	s_mul_i32 s1, s14, s6
	s_lshl_b32 s7, s7, 8
	s_lshl_b32 s14, s8, 7
	;; [unrolled: 1-line block ×3, first 2 shown]
	s_add_i32 s7, s14, s7
	s_lshl_b32 s1, s1, 2
	s_add_i32 s7, s7, s6
	s_add_i32 s1, s8, s1
	s_lshl_b32 s6, s12, 2
	s_add_i32 s1, s1, s6
	v_or_b32_e32 v0, s7, v0
	s_add_i32 s1, s1, s4
	s_add_i32 s11, s11, -1
	v_add_u32_e32 v3, 0xfffffc00, v0
	s_add_i32 s4, s1, -8
	s_waitcnt lgkmcnt(0)
	v_mov_b32_e32 v7, s5
	v_mov_b32_e32 v6, s0
	v_mov_b32_e32 v0, s13
	s_mov_b32 s6, 0x3fb8aa3b
	s_mov_b32 s7, 0xc2ce8ed0
	;; [unrolled: 1-line block ×3, first 2 shown]
	v_mov_b32_e32 v5, 0x7f800000
	s_mov_b32 s12, 0xc1a00000
.LBB47_3:                               ; =>This Inner Loop Header: Depth=1
	v_ashrrev_i32_e32 v4, 31, v3
	v_lshlrev_b64 v[9:10], 2, v[3:4]
	s_ashr_i32 s5, s4, 31
	v_add_co_u32_e32 v9, vcc, s10, v9
	v_addc_co_u32_e32 v10, vcc, v0, v10, vcc
	global_load_dword v4, v[9:10], off
	s_lshl_b64 s[0:1], s[4:5], 3
	s_add_u32 s0, s2, s0
	s_addc_u32 s1, s3, s1
	s_load_dwordx2 s[14:15], s[0:1], 0x0
	s_waitcnt vmcnt(1)
	v_mov_b32_e32 v9, v8
	v_max_f32_e32 v8, v6, v6
	v_mov_b32_e32 v10, v7
	s_add_i32 s11, s11, -1
	s_waitcnt lgkmcnt(0)
	v_max_f32_e64 v7, s14, s14
	v_max_f32_e32 v7, v8, v7
	v_sub_f32_e32 v11, s14, v7
	v_sub_f32_e32 v8, v6, v7
	v_mul_f32_e32 v12, 0x3fb8aa3b, v11
	v_mov_b32_e32 v6, v7
	v_mul_f32_e32 v7, 0x3fb8aa3b, v8
	v_fma_f32 v15, v11, s6, -v12
	v_rndne_f32_e32 v16, v12
	v_fma_f32 v13, v8, s6, -v7
	v_rndne_f32_e32 v14, v7
	v_fmac_f32_e32 v15, 0x32a5705f, v11
	v_sub_f32_e32 v12, v12, v16
	v_fmac_f32_e32 v13, 0x32a5705f, v8
	v_sub_f32_e32 v7, v7, v14
	v_add_f32_e32 v12, v12, v15
	v_cvt_i32_f32_e32 v16, v16
	v_add_f32_e32 v7, v7, v13
	v_exp_f32_e32 v12, v12
	v_cvt_i32_f32_e32 v14, v14
	v_exp_f32_e32 v7, v7
	v_cmp_ngt_f32_e32 vcc, s7, v11
	v_ldexp_f32 v12, v12, v16
	v_cmp_ngt_f32_e64 s[0:1], s7, v8
	v_ldexp_f32 v7, v7, v14
	v_cndmask_b32_e32 v12, 0, v12, vcc
	v_cmp_nlt_f32_e32 vcc, s8, v11
	v_cndmask_b32_e64 v7, 0, v7, s[0:1]
	v_cmp_nlt_f32_e64 s[0:1], s8, v8
	v_cndmask_b32_e32 v12, v5, v12, vcc
	v_cmp_le_f32_e32 vcc, s12, v11
	v_cndmask_b32_e64 v7, v5, v7, s[0:1]
	v_cmp_le_f32_e64 s[0:1], s12, v8
	v_cndmask_b32_e32 v8, 0, v12, vcc
	s_add_i32 s4, s4, -4
	v_cndmask_b32_e64 v11, 0, v7, s[0:1]
	v_mul_f32_e32 v7, s15, v8
	v_add_u32_e32 v3, 0xfffffe00, v3
	s_cmp_le_i32 s11, s9
	v_fmac_f32_e32 v7, v10, v11
	s_waitcnt vmcnt(0)
	v_mul_f32_e32 v8, v4, v8
	v_fmac_f32_e32 v8, v9, v11
	s_cbranch_scc0 .LBB47_3
	s_branch .LBB47_5
.LBB47_4:
	s_waitcnt lgkmcnt(0)
	v_mov_b32_e32 v7, s5
.LBB47_5:
	s_waitcnt vmcnt(0)
	v_div_scale_f32 v0, s[0:1], v7, v7, v8
	v_div_scale_f32 v3, vcc, v8, v7, v8
	v_rcp_f32_e32 v4, v0
	v_fma_f32 v5, -v0, v4, 1.0
	v_fmac_f32_e32 v4, v5, v4
	v_mul_f32_e32 v5, v3, v4
	v_fma_f32 v6, -v0, v5, v3
	v_fmac_f32_e32 v5, v6, v4
	v_fma_f32 v0, -v0, v5, v3
	v_div_fmas_f32 v0, v0, v4, v5
	v_div_fixup_f32 v0, v0, v7, v8
	global_store_dword v[1:2], v0, off
.LBB47_6:
	s_endpgm
	.section	.rodata,"a",@progbits
	.p2align	6, 0x0
	.amdhsa_kernel _ZL33flash_attn_stream_k_fixup_uniformILi128ELi2ELi2EEvPfPK15HIP_vector_typeIfLj2EEiiiiiiS1_IjLj3EES5_S5_
		.amdhsa_group_segment_fixed_size 0
		.amdhsa_private_segment_fixed_size 0
		.amdhsa_kernarg_size 76
		.amdhsa_user_sgpr_count 6
		.amdhsa_user_sgpr_private_segment_buffer 1
		.amdhsa_user_sgpr_dispatch_ptr 0
		.amdhsa_user_sgpr_queue_ptr 0
		.amdhsa_user_sgpr_kernarg_segment_ptr 1
		.amdhsa_user_sgpr_dispatch_id 0
		.amdhsa_user_sgpr_flat_scratch_init 0
		.amdhsa_user_sgpr_private_segment_size 0
		.amdhsa_uses_dynamic_stack 0
		.amdhsa_system_sgpr_private_segment_wavefront_offset 0
		.amdhsa_system_sgpr_workgroup_id_x 1
		.amdhsa_system_sgpr_workgroup_id_y 1
		.amdhsa_system_sgpr_workgroup_id_z 1
		.amdhsa_system_sgpr_workgroup_info 0
		.amdhsa_system_vgpr_workitem_id 0
		.amdhsa_next_free_vgpr 17
		.amdhsa_next_free_sgpr 20
		.amdhsa_reserve_vcc 1
		.amdhsa_reserve_flat_scratch 0
		.amdhsa_float_round_mode_32 0
		.amdhsa_float_round_mode_16_64 0
		.amdhsa_float_denorm_mode_32 3
		.amdhsa_float_denorm_mode_16_64 3
		.amdhsa_dx10_clamp 1
		.amdhsa_ieee_mode 1
		.amdhsa_fp16_overflow 0
		.amdhsa_exception_fp_ieee_invalid_op 0
		.amdhsa_exception_fp_denorm_src 0
		.amdhsa_exception_fp_ieee_div_zero 0
		.amdhsa_exception_fp_ieee_overflow 0
		.amdhsa_exception_fp_ieee_underflow 0
		.amdhsa_exception_fp_ieee_inexact 0
		.amdhsa_exception_int_div_zero 0
	.end_amdhsa_kernel
	.section	.text._ZL33flash_attn_stream_k_fixup_uniformILi128ELi2ELi2EEvPfPK15HIP_vector_typeIfLj2EEiiiiiiS1_IjLj3EES5_S5_,"axG",@progbits,_ZL33flash_attn_stream_k_fixup_uniformILi128ELi2ELi2EEvPfPK15HIP_vector_typeIfLj2EEiiiiiiS1_IjLj3EES5_S5_,comdat
.Lfunc_end47:
	.size	_ZL33flash_attn_stream_k_fixup_uniformILi128ELi2ELi2EEvPfPK15HIP_vector_typeIfLj2EEiiiiiiS1_IjLj3EES5_S5_, .Lfunc_end47-_ZL33flash_attn_stream_k_fixup_uniformILi128ELi2ELi2EEvPfPK15HIP_vector_typeIfLj2EEiiiiiiS1_IjLj3EES5_S5_
                                        ; -- End function
	.set _ZL33flash_attn_stream_k_fixup_uniformILi128ELi2ELi2EEvPfPK15HIP_vector_typeIfLj2EEiiiiiiS1_IjLj3EES5_S5_.num_vgpr, 17
	.set _ZL33flash_attn_stream_k_fixup_uniformILi128ELi2ELi2EEvPfPK15HIP_vector_typeIfLj2EEiiiiiiS1_IjLj3EES5_S5_.num_agpr, 0
	.set _ZL33flash_attn_stream_k_fixup_uniformILi128ELi2ELi2EEvPfPK15HIP_vector_typeIfLj2EEiiiiiiS1_IjLj3EES5_S5_.numbered_sgpr, 20
	.set _ZL33flash_attn_stream_k_fixup_uniformILi128ELi2ELi2EEvPfPK15HIP_vector_typeIfLj2EEiiiiiiS1_IjLj3EES5_S5_.num_named_barrier, 0
	.set _ZL33flash_attn_stream_k_fixup_uniformILi128ELi2ELi2EEvPfPK15HIP_vector_typeIfLj2EEiiiiiiS1_IjLj3EES5_S5_.private_seg_size, 0
	.set _ZL33flash_attn_stream_k_fixup_uniformILi128ELi2ELi2EEvPfPK15HIP_vector_typeIfLj2EEiiiiiiS1_IjLj3EES5_S5_.uses_vcc, 1
	.set _ZL33flash_attn_stream_k_fixup_uniformILi128ELi2ELi2EEvPfPK15HIP_vector_typeIfLj2EEiiiiiiS1_IjLj3EES5_S5_.uses_flat_scratch, 0
	.set _ZL33flash_attn_stream_k_fixup_uniformILi128ELi2ELi2EEvPfPK15HIP_vector_typeIfLj2EEiiiiiiS1_IjLj3EES5_S5_.has_dyn_sized_stack, 0
	.set _ZL33flash_attn_stream_k_fixup_uniformILi128ELi2ELi2EEvPfPK15HIP_vector_typeIfLj2EEiiiiiiS1_IjLj3EES5_S5_.has_recursion, 0
	.set _ZL33flash_attn_stream_k_fixup_uniformILi128ELi2ELi2EEvPfPK15HIP_vector_typeIfLj2EEiiiiiiS1_IjLj3EES5_S5_.has_indirect_call, 0
	.section	.AMDGPU.csdata,"",@progbits
; Kernel info:
; codeLenInByte = 856
; TotalNumSgprs: 24
; NumVgprs: 17
; ScratchSize: 0
; MemoryBound: 0
; FloatMode: 240
; IeeeMode: 1
; LDSByteSize: 0 bytes/workgroup (compile time only)
; SGPRBlocks: 2
; VGPRBlocks: 4
; NumSGPRsForWavesPerEU: 24
; NumVGPRsForWavesPerEU: 17
; Occupancy: 10
; WaveLimiterHint : 0
; COMPUTE_PGM_RSRC2:SCRATCH_EN: 0
; COMPUTE_PGM_RSRC2:USER_SGPR: 6
; COMPUTE_PGM_RSRC2:TRAP_HANDLER: 0
; COMPUTE_PGM_RSRC2:TGID_X_EN: 1
; COMPUTE_PGM_RSRC2:TGID_Y_EN: 1
; COMPUTE_PGM_RSRC2:TGID_Z_EN: 1
; COMPUTE_PGM_RSRC2:TIDIG_COMP_CNT: 0
	.section	.text._ZL33flash_attn_stream_k_fixup_generalILi128ELi2ELi2EEvPfPK15HIP_vector_typeIfLj2EEiiiiS1_IjLj3EES5_S5_S5_,"axG",@progbits,_ZL33flash_attn_stream_k_fixup_generalILi128ELi2ELi2EEvPfPK15HIP_vector_typeIfLj2EEiiiiS1_IjLj3EES5_S5_S5_,comdat
	.globl	_ZL33flash_attn_stream_k_fixup_generalILi128ELi2ELi2EEvPfPK15HIP_vector_typeIfLj2EEiiiiS1_IjLj3EES5_S5_S5_ ; -- Begin function _ZL33flash_attn_stream_k_fixup_generalILi128ELi2ELi2EEvPfPK15HIP_vector_typeIfLj2EEiiiiS1_IjLj3EES5_S5_S5_
	.p2align	8
	.type	_ZL33flash_attn_stream_k_fixup_generalILi128ELi2ELi2EEvPfPK15HIP_vector_typeIfLj2EEiiiiS1_IjLj3EES5_S5_S5_,@function
_ZL33flash_attn_stream_k_fixup_generalILi128ELi2ELi2EEvPfPK15HIP_vector_typeIfLj2EEiiiiS1_IjLj3EES5_S5_S5_: ; @_ZL33flash_attn_stream_k_fixup_generalILi128ELi2ELi2EEvPfPK15HIP_vector_typeIfLj2EEiiiiS1_IjLj3EES5_S5_S5_
; %bb.0:
	s_load_dwordx4 s[0:3], s[4:5], 0x10
	s_load_dword s22, s[4:5], 0x50
	s_mov_b32 s12, 0
	s_waitcnt lgkmcnt(0)
	s_mul_hi_i32 s13, s3, s6
	s_cmp_lg_u64 s[12:13], 0
	s_mul_i32 s9, s3, s6
	s_cbranch_scc0 .LBB48_20
; %bb.1:
	s_add_u32 s10, s22, 0
	s_addc_u32 s11, 0, 0
	s_xor_b64 s[10:11], s[10:11], 0
	v_cvt_f32_u32_e32 v1, s10
	v_cvt_f32_u32_e32 v2, s11
	s_sub_u32 s12, 0, s10
	s_subb_u32 s18, 0, s11
	v_madmk_f32 v1, v2, 0x4f800000, v1
	v_rcp_f32_e32 v1, v1
	v_mul_f32_e32 v1, 0x5f7ffffc, v1
	v_mul_f32_e32 v2, 0x2f800000, v1
	v_trunc_f32_e32 v2, v2
	v_madmk_f32 v1, v2, 0xcf800000, v1
	v_cvt_u32_f32_e32 v2, v2
	v_cvt_u32_f32_e32 v1, v1
	v_readfirstlane_b32 s19, v2
	v_readfirstlane_b32 s14, v1
	s_mul_i32 s15, s12, s19
	s_mul_hi_u32 s21, s12, s14
	s_mul_i32 s20, s18, s14
	s_add_i32 s15, s21, s15
	s_add_i32 s15, s15, s20
	s_mul_i32 s23, s12, s14
	s_mul_i32 s21, s14, s15
	s_mul_hi_u32 s24, s14, s23
	s_mul_hi_u32 s20, s14, s15
	s_add_u32 s21, s24, s21
	s_addc_u32 s20, 0, s20
	s_mul_hi_u32 s25, s19, s23
	s_mul_i32 s23, s19, s23
	s_add_u32 s21, s21, s23
	s_mul_hi_u32 s24, s19, s15
	s_addc_u32 s20, s20, s25
	s_addc_u32 s21, s24, 0
	s_mul_i32 s15, s19, s15
	s_add_u32 s15, s20, s15
	s_addc_u32 s20, 0, s21
	s_add_u32 s21, s14, s15
	s_cselect_b64 s[14:15], -1, 0
	s_cmp_lg_u64 s[14:15], 0
	s_addc_u32 s19, s19, s20
	s_mul_i32 s14, s12, s19
	s_mul_hi_u32 s15, s12, s21
	s_add_i32 s14, s15, s14
	s_mul_i32 s18, s18, s21
	s_add_i32 s14, s14, s18
	s_mul_i32 s12, s12, s21
	s_mul_hi_u32 s18, s19, s12
	s_mul_i32 s20, s19, s12
	s_mul_i32 s24, s21, s14
	s_mul_hi_u32 s12, s21, s12
	s_mul_hi_u32 s23, s21, s14
	s_add_u32 s12, s12, s24
	s_addc_u32 s23, 0, s23
	s_add_u32 s12, s12, s20
	s_mul_hi_u32 s15, s19, s14
	s_addc_u32 s12, s23, s18
	s_addc_u32 s15, s15, 0
	s_mul_i32 s14, s19, s14
	s_add_u32 s12, s12, s14
	s_addc_u32 s18, 0, s15
	s_add_u32 s20, s21, s12
	s_cselect_b64 s[14:15], -1, 0
	s_cmp_lg_u64 s[14:15], 0
	s_addc_u32 s18, s19, s18
	s_ashr_i32 s14, s13, 31
	s_add_u32 s12, s9, s14
	s_mov_b32 s15, s14
	s_addc_u32 s13, s13, s14
	s_xor_b64 s[12:13], s[12:13], s[14:15]
	s_mul_i32 s21, s12, s18
	s_mul_hi_u32 s23, s12, s20
	s_mul_hi_u32 s19, s12, s18
	s_add_u32 s21, s23, s21
	s_addc_u32 s19, 0, s19
	s_mul_hi_u32 s24, s13, s20
	s_mul_i32 s20, s13, s20
	s_add_u32 s20, s21, s20
	s_mul_hi_u32 s23, s13, s18
	s_addc_u32 s19, s19, s24
	s_addc_u32 s20, s23, 0
	s_mul_i32 s18, s13, s18
	s_add_u32 s23, s19, s18
	s_addc_u32 s24, 0, s20
	s_mul_i32 s18, s10, s24
	s_mul_hi_u32 s19, s10, s23
	s_add_i32 s18, s19, s18
	s_mul_i32 s19, s11, s23
	s_add_i32 s25, s18, s19
	s_sub_i32 s20, s13, s25
	s_mul_i32 s18, s10, s23
	s_sub_u32 s12, s12, s18
	s_cselect_b64 s[18:19], -1, 0
	s_cmp_lg_u64 s[18:19], 0
	s_subb_u32 s26, s20, s11
	s_sub_u32 s27, s12, s10
	s_cselect_b64 s[20:21], -1, 0
	s_cmp_lg_u64 s[20:21], 0
	s_subb_u32 s20, s26, 0
	s_cmp_ge_u32 s20, s11
	s_cselect_b32 s21, -1, 0
	s_cmp_ge_u32 s27, s10
	s_cselect_b32 s26, -1, 0
	s_cmp_eq_u32 s20, s11
	s_cselect_b32 s20, s26, s21
	s_add_u32 s21, s23, 1
	s_addc_u32 s26, s24, 0
	s_add_u32 s27, s23, 2
	s_addc_u32 s28, s24, 0
	s_cmp_lg_u32 s20, 0
	s_cselect_b32 s20, s27, s21
	s_cselect_b32 s21, s28, s26
	s_cmp_lg_u64 s[18:19], 0
	s_subb_u32 s13, s13, s25
	s_cmp_ge_u32 s13, s11
	s_cselect_b32 s18, -1, 0
	s_cmp_ge_u32 s12, s10
	s_cselect_b32 s10, -1, 0
	s_cmp_eq_u32 s13, s11
	s_cselect_b32 s10, s10, s18
	s_cmp_lg_u32 s10, 0
	s_cselect_b32 s11, s21, s24
	s_cselect_b32 s10, s20, s23
	s_xor_b64 s[12:13], s[14:15], 0
	s_xor_b64 s[10:11], s[10:11], s[12:13]
	s_sub_u32 s10, s10, s12
	s_load_dwordx4 s[12:15], s[4:5], 0x44
	s_cbranch_execnz .LBB48_3
.LBB48_2:
	v_cvt_f32_u32_e32 v1, s22
	s_sub_i32 s10, 0, s22
	v_rcp_iflag_f32_e32 v1, v1
	v_mul_f32_e32 v1, 0x4f7ffffe, v1
	v_cvt_u32_f32_e32 v1, v1
	v_readfirstlane_b32 s11, v1
	s_mul_i32 s10, s10, s11
	s_mul_hi_u32 s10, s11, s10
	s_add_i32 s11, s11, s10
	s_mul_hi_u32 s10, s9, s11
	s_waitcnt lgkmcnt(0)
	s_mul_i32 s15, s10, s22
	s_sub_i32 s9, s9, s15
	s_add_i32 s11, s10, 1
	s_sub_i32 s15, s9, s22
	s_cmp_ge_u32 s9, s22
	s_cselect_b32 s10, s11, s10
	s_cselect_b32 s9, s15, s9
	s_add_i32 s11, s10, 1
	s_cmp_ge_u32 s9, s22
	s_cselect_b32 s10, s11, s10
.LBB48_3:
	s_add_i32 s9, s6, 1
	s_mul_hi_i32 s21, s3, s9
	s_mov_b32 s20, 0
	s_cmp_lg_u64 s[20:21], 0
	s_mul_i32 s9, s3, s9
	s_cbranch_scc0 .LBB48_21
; %bb.4:
	s_add_u32 s16, s22, 0
	s_addc_u32 s17, 0, 0
	s_xor_b64 s[18:19], s[16:17], 0
	v_cvt_f32_u32_e32 v1, s18
	v_cvt_f32_u32_e32 v2, s19
	s_sub_u32 s11, 0, s18
	s_waitcnt lgkmcnt(0)
	s_subb_u32 s15, 0, s19
	v_madmk_f32 v1, v2, 0x4f800000, v1
	v_rcp_f32_e32 v1, v1
	v_mul_f32_e32 v1, 0x5f7ffffc, v1
	v_mul_f32_e32 v2, 0x2f800000, v1
	v_trunc_f32_e32 v2, v2
	v_madmk_f32 v1, v2, 0xcf800000, v1
	v_cvt_u32_f32_e32 v2, v2
	v_cvt_u32_f32_e32 v1, v1
	v_readfirstlane_b32 s20, v2
	v_readfirstlane_b32 s23, v1
	s_mul_i32 s24, s11, s20
	s_mul_hi_u32 s26, s11, s23
	s_mul_i32 s25, s15, s23
	s_add_i32 s24, s26, s24
	s_add_i32 s24, s24, s25
	s_mul_i32 s27, s11, s23
	s_mul_i32 s26, s23, s24
	s_mul_hi_u32 s28, s23, s27
	s_mul_hi_u32 s25, s23, s24
	s_add_u32 s26, s28, s26
	s_addc_u32 s25, 0, s25
	s_mul_hi_u32 s29, s20, s27
	s_mul_i32 s27, s20, s27
	s_add_u32 s26, s26, s27
	s_mul_hi_u32 s28, s20, s24
	s_addc_u32 s25, s25, s29
	s_addc_u32 s26, s28, 0
	s_mul_i32 s24, s20, s24
	s_add_u32 s24, s25, s24
	s_addc_u32 s26, 0, s26
	s_add_u32 s23, s23, s24
	s_cselect_b64 s[24:25], -1, 0
	s_cmp_lg_u64 s[24:25], 0
	s_addc_u32 s20, s20, s26
	s_mul_i32 s24, s11, s20
	s_mul_hi_u32 s25, s11, s23
	s_add_i32 s24, s25, s24
	s_mul_i32 s15, s15, s23
	s_add_i32 s24, s24, s15
	s_mul_i32 s11, s11, s23
	s_mul_hi_u32 s25, s20, s11
	s_mul_i32 s26, s20, s11
	s_mul_i32 s28, s23, s24
	s_mul_hi_u32 s11, s23, s11
	s_mul_hi_u32 s27, s23, s24
	s_add_u32 s11, s11, s28
	s_addc_u32 s27, 0, s27
	s_add_u32 s11, s11, s26
	s_mul_hi_u32 s15, s20, s24
	s_addc_u32 s11, s27, s25
	s_addc_u32 s15, s15, 0
	s_mul_i32 s24, s20, s24
	s_add_u32 s11, s11, s24
	s_addc_u32 s15, 0, s15
	s_add_u32 s11, s23, s11
	s_cselect_b64 s[24:25], -1, 0
	s_cmp_lg_u64 s[24:25], 0
	s_addc_u32 s15, s20, s15
	s_ashr_i32 s24, s21, 31
	s_add_u32 s20, s9, s24
	s_mov_b32 s25, s24
	s_addc_u32 s21, s21, s24
	s_xor_b64 s[20:21], s[20:21], s[24:25]
	s_mul_i32 s26, s20, s15
	s_mul_hi_u32 s27, s20, s11
	s_mul_hi_u32 s23, s20, s15
	s_add_u32 s26, s27, s26
	s_addc_u32 s23, 0, s23
	s_mul_hi_u32 s28, s21, s11
	s_mul_i32 s11, s21, s11
	s_add_u32 s11, s26, s11
	s_mul_hi_u32 s27, s21, s15
	s_addc_u32 s11, s23, s28
	s_addc_u32 s23, s27, 0
	s_mul_i32 s15, s21, s15
	s_add_u32 s11, s11, s15
	s_addc_u32 s15, 0, s23
	s_mul_i32 s23, s18, s15
	s_mul_hi_u32 s26, s18, s11
	s_add_i32 s23, s26, s23
	s_mul_i32 s26, s19, s11
	s_add_i32 s23, s23, s26
	s_sub_i32 s28, s21, s23
	s_mul_i32 s26, s18, s11
	s_sub_u32 s20, s20, s26
	s_cselect_b64 s[26:27], -1, 0
	s_cmp_lg_u64 s[26:27], 0
	s_subb_u32 s30, s28, s19
	s_sub_u32 s31, s20, s18
	s_cselect_b64 s[28:29], -1, 0
	s_cmp_lg_u64 s[28:29], 0
	s_subb_u32 s28, s30, 0
	s_cmp_ge_u32 s28, s19
	s_cselect_b32 s29, -1, 0
	s_cmp_ge_u32 s31, s18
	s_cselect_b32 s30, -1, 0
	s_cmp_eq_u32 s28, s19
	s_cselect_b32 s28, s30, s29
	s_add_u32 s29, s11, 1
	s_addc_u32 s30, s15, 0
	s_add_u32 s31, s11, 2
	s_addc_u32 s33, s15, 0
	s_cmp_lg_u32 s28, 0
	s_cselect_b32 s28, s31, s29
	s_cselect_b32 s29, s33, s30
	s_cmp_lg_u64 s[26:27], 0
	s_subb_u32 s21, s21, s23
	s_cmp_ge_u32 s21, s19
	s_cselect_b32 s23, -1, 0
	s_cmp_ge_u32 s20, s18
	s_cselect_b32 s18, -1, 0
	s_cmp_eq_u32 s21, s19
	s_cselect_b32 s18, s18, s23
	s_cmp_lg_u32 s18, 0
	s_cselect_b32 s19, s29, s15
	s_cselect_b32 s18, s28, s11
	s_xor_b64 s[20:21], s[24:25], 0
	s_xor_b64 s[18:19], s[18:19], s[20:21]
	s_sub_u32 s18, s18, s20
	s_cbranch_execnz .LBB48_6
.LBB48_5:
	v_cvt_f32_u32_e32 v1, s22
	s_sub_i32 s11, 0, s22
	v_rcp_iflag_f32_e32 v1, v1
	v_mul_f32_e32 v1, 0x4f7ffffe, v1
	v_cvt_u32_f32_e32 v1, v1
	s_waitcnt lgkmcnt(0)
	v_readfirstlane_b32 s15, v1
	s_mul_i32 s11, s11, s15
	s_mul_hi_u32 s11, s15, s11
	s_add_i32 s15, s15, s11
	s_mul_hi_u32 s11, s9, s15
	s_mul_i32 s16, s11, s22
	s_sub_i32 s9, s9, s16
	s_add_i32 s15, s11, 1
	s_sub_i32 s16, s9, s22
	s_cmp_ge_u32 s9, s22
	s_cselect_b32 s11, s15, s11
	s_cselect_b32 s9, s16, s9
	s_add_i32 s15, s11, 1
	s_cmp_ge_u32 s9, s22
	s_cselect_b32 s18, s15, s11
.LBB48_6:
	s_cmp_eq_u32 s10, s18
	s_waitcnt lgkmcnt(0)
	s_mul_hi_u32 s9, s10, s12
	s_cselect_b64 s[16:17], -1, 0
	s_add_i32 s9, s9, s10
	s_lshr_b32 s11, s9, s13
	s_mul_i32 s9, s11, s14
	s_cmp_eq_u32 s9, s10
	s_mul_hi_u32 s9, s18, s12
	s_cselect_b64 s[20:21], -1, 0
	s_add_i32 s9, s9, s18
	s_lshr_b32 s9, s9, s13
	s_cmp_eq_u32 s11, s9
	s_mul_i32 s9, s9, s14
	s_cselect_b64 s[24:25], -1, 0
	s_cmp_lg_u32 s9, s18
	s_cselect_b64 s[18:19], -1, 0
	s_and_b64 s[18:19], s[24:25], s[18:19]
	s_or_b64 s[16:17], s[16:17], s[20:21]
	s_or_b64 s[16:17], s[16:17], s[18:19]
	s_and_b64 vcc, exec, s[16:17]
	s_cbranch_vccnz .LBB48_23
; %bb.7:
	s_load_dwordx8 s[24:31], s[4:5], 0x20
	s_load_dword s15, s[4:5], 0x40
	s_waitcnt lgkmcnt(0)
	s_mul_hi_u32 s9, s10, s24
	s_add_i32 s9, s9, s10
	s_lshr_b32 s9, s9, s25
	s_mul_i32 s16, s9, s26
	s_sub_i32 s16, s10, s16
	s_mul_hi_u32 s17, s16, s27
	s_add_i32 s17, s16, s17
	s_lshr_b32 s23, s17, s28
	s_mul_i32 s17, s23, s29
	s_sub_i32 s16, s16, s17
	;; [unrolled: 5-line block ×3, first 2 shown]
	s_mul_hi_u32 s16, s15, s12
	s_add_i32 s15, s15, s16
	s_lshr_b32 s25, s15, s13
	s_lshl_b32 s15, s25, 1
	s_lshl_b32 s24, s17, 1
	s_add_i32 s15, s15, s7
	s_cmp_lt_i32 s15, s0
	s_cselect_b64 s[16:17], -1, 0
	s_add_i32 s15, s24, s8
	s_cmp_lt_i32 s15, s2
	s_cselect_b64 s[18:19], -1, 0
	s_and_b64 s[16:17], s[16:17], s[18:19]
	s_andn2_b64 vcc, exec, s[16:17]
	s_cbranch_vccnz .LBB48_23
; %bb.8:
	s_load_dwordx4 s[16:19], s[4:5], 0x0
	s_mov_b32 s4, 0
	s_lshl_b32 s15, s7, 1
	s_lshl_b32 s20, s22, 4
	s_mov_b32 s21, s4
	s_add_i32 s15, s15, s8
	s_lshl_b64 s[20:21], s[20:21], 2
	s_waitcnt lgkmcnt(0)
	s_add_u32 s20, s18, s20
	s_mul_i32 s0, s9, s0
	s_addc_u32 s21, s19, s21
	s_add_i32 s0, s0, s7
	s_mul_i32 s0, s0, s1
	s_mul_i32 s23, s23, s2
	s_add_i32 s0, s0, s8
	s_add_i32 s0, s0, s23
	s_mul_i32 s2, s1, s25
	s_add_i32 s0, s0, s24
	s_lshl_b32 s2, s2, 8
	s_lshl_b32 s0, s0, 7
	s_add_i32 s2, s2, s0
	v_or_b32_e32 v1, s2, v0
	v_ashrrev_i32_e32 v2, 31, v1
	v_lshlrev_b64 v[1:2], 2, v[1:2]
	v_mov_b32_e32 v3, s17
	v_add_co_u32_e32 v1, vcc, s16, v1
	v_addc_co_u32_e32 v2, vcc, v3, v2, vcc
	global_load_dword v3, v[1:2], off
	v_cvt_f32_u32_e32 v4, s22
	s_lshl_b32 s0, s6, 2
	s_add_i32 s0, s15, s0
	s_ashr_i32 s1, s0, 31
	s_lshl_b64 s[0:1], s[0:1], 3
	v_rcp_iflag_f32_e32 v4, v4
	s_add_u32 s0, s18, s0
	s_addc_u32 s1, s19, s1
	s_load_dwordx2 s[0:1], s[0:1], 0x0
	v_mul_f32_e32 v4, 0x4f7ffffe, v4
	v_cvt_u32_f32_e32 v4, v4
	s_add_i32 s24, s6, -1
	v_lshl_or_b32 v0, s15, 7, v0
	s_waitcnt lgkmcnt(0)
	v_mov_b32_e32 v6, s1
	v_mov_b32_e32 v7, s0
	s_mov_b32 s2, 0x3fb8aa3b
	s_mov_b32 s16, 0xc2ce8ed0
	;; [unrolled: 1-line block ×4, first 2 shown]
	v_mov_b32_e32 v5, 0x7f800000
	s_mul_hi_i32 s5, s24, s3
	s_cmp_lg_u64 s[4:5], 0
	s_mul_i32 s8, s24, s3
	s_cbranch_scc0 .LBB48_19
.LBB48_9:
	s_add_u32 s0, s22, 0
	s_addc_u32 s1, 0, 0
	s_xor_b64 s[0:1], s[0:1], 0
	v_cvt_f32_u32_e32 v8, s0
	v_cvt_f32_u32_e32 v9, s1
	s_sub_u32 s9, 0, s0
	s_subb_u32 s25, 0, s1
	v_mac_f32_e32 v8, 0x4f800000, v9
	v_rcp_f32_e32 v8, v8
	v_mul_f32_e32 v8, 0x5f7ffffc, v8
	v_mul_f32_e32 v9, 0x2f800000, v8
	v_trunc_f32_e32 v9, v9
	v_mac_f32_e32 v8, 0xcf800000, v9
	v_cvt_u32_f32_e32 v9, v9
	v_cvt_u32_f32_e32 v8, v8
	v_readfirstlane_b32 s26, v9
	v_readfirstlane_b32 s6, v8
	s_mul_i32 s7, s9, s26
	s_mul_hi_u32 s28, s9, s6
	s_mul_i32 s27, s25, s6
	s_add_i32 s7, s28, s7
	s_mul_i32 s29, s9, s6
	s_add_i32 s7, s7, s27
	s_mul_i32 s28, s6, s7
	s_mul_hi_u32 s30, s6, s29
	s_mul_hi_u32 s27, s6, s7
	s_add_u32 s28, s30, s28
	s_addc_u32 s27, 0, s27
	s_mul_hi_u32 s31, s26, s29
	s_mul_i32 s29, s26, s29
	s_add_u32 s28, s28, s29
	s_mul_hi_u32 s30, s26, s7
	s_addc_u32 s27, s27, s31
	s_addc_u32 s28, s30, 0
	s_mul_i32 s7, s26, s7
	s_add_u32 s7, s27, s7
	s_addc_u32 s27, 0, s28
	s_add_u32 s28, s6, s7
	s_cselect_b64 s[6:7], -1, 0
	s_cmp_lg_u64 s[6:7], 0
	s_addc_u32 s26, s26, s27
	s_mul_i32 s6, s9, s26
	s_mul_hi_u32 s7, s9, s28
	s_add_i32 s6, s7, s6
	s_mul_i32 s25, s25, s28
	s_add_i32 s6, s6, s25
	s_mul_i32 s9, s9, s28
	s_mul_hi_u32 s25, s26, s9
	s_mul_i32 s27, s26, s9
	s_mul_i32 s30, s28, s6
	s_mul_hi_u32 s9, s28, s9
	s_mul_hi_u32 s29, s28, s6
	s_add_u32 s9, s9, s30
	s_addc_u32 s29, 0, s29
	s_add_u32 s9, s9, s27
	s_mul_hi_u32 s7, s26, s6
	s_addc_u32 s9, s29, s25
	s_addc_u32 s7, s7, 0
	s_mul_i32 s6, s26, s6
	s_add_u32 s6, s9, s6
	s_addc_u32 s9, 0, s7
	s_add_u32 s25, s28, s6
	s_cselect_b64 s[6:7], -1, 0
	s_cmp_lg_u64 s[6:7], 0
	s_addc_u32 s9, s26, s9
	s_ashr_i32 s6, s5, 31
	s_add_u32 s26, s8, s6
	s_mov_b32 s7, s6
	s_addc_u32 s27, s5, s6
	s_xor_b64 s[26:27], s[26:27], s[6:7]
	s_mul_i32 s28, s26, s9
	s_mul_hi_u32 s29, s26, s25
	s_mul_hi_u32 s5, s26, s9
	s_add_u32 s28, s29, s28
	s_addc_u32 s5, 0, s5
	s_mul_hi_u32 s30, s27, s25
	s_mul_i32 s25, s27, s25
	s_add_u32 s25, s28, s25
	s_mul_hi_u32 s29, s27, s9
	s_addc_u32 s5, s5, s30
	s_addc_u32 s25, s29, 0
	s_mul_i32 s9, s27, s9
	s_add_u32 s5, s5, s9
	s_addc_u32 s9, 0, s25
	s_mul_i32 s25, s0, s9
	s_mul_hi_u32 s28, s0, s5
	s_add_i32 s25, s28, s25
	s_mul_i32 s28, s1, s5
	s_add_i32 s25, s25, s28
	s_sub_i32 s30, s27, s25
	s_mul_i32 s28, s0, s5
	s_sub_u32 s26, s26, s28
	s_cselect_b64 s[28:29], -1, 0
	s_cmp_lg_u64 s[28:29], 0
	s_subb_u32 s33, s30, s1
	s_sub_u32 s34, s26, s0
	s_cselect_b64 s[30:31], -1, 0
	s_cmp_lg_u64 s[30:31], 0
	s_subb_u32 s30, s33, 0
	s_cmp_ge_u32 s30, s1
	s_cselect_b32 s31, -1, 0
	s_cmp_ge_u32 s34, s0
	s_cselect_b32 s33, -1, 0
	s_cmp_eq_u32 s30, s1
	s_cselect_b32 s30, s33, s31
	s_add_u32 s31, s5, 1
	s_addc_u32 s33, s9, 0
	s_add_u32 s34, s5, 2
	s_addc_u32 s35, s9, 0
	s_cmp_lg_u32 s30, 0
	s_cselect_b32 s30, s34, s31
	s_cselect_b32 s31, s35, s33
	s_cmp_lg_u64 s[28:29], 0
	s_subb_u32 s25, s27, s25
	s_cmp_ge_u32 s25, s1
	s_cselect_b32 s27, -1, 0
	s_cmp_ge_u32 s26, s0
	s_cselect_b32 s0, -1, 0
	s_cmp_eq_u32 s25, s1
	s_cselect_b32 s0, s0, s27
	s_cmp_lg_u32 s0, 0
	s_cselect_b32 s1, s31, s9
	s_cselect_b32 s0, s30, s5
	s_xor_b64 s[6:7], s[6:7], 0
	s_xor_b64 s[0:1], s[0:1], s[6:7]
	s_sub_u32 s6, s0, s6
	s_cbranch_execnz .LBB48_11
.LBB48_10:
	s_sub_i32 s0, 0, s22
	v_readfirstlane_b32 s1, v4
	s_mul_i32 s0, s0, s1
	s_mul_hi_u32 s0, s1, s0
	s_add_i32 s1, s1, s0
	s_mul_hi_u32 s0, s8, s1
	s_mul_i32 s5, s0, s22
	s_sub_i32 s5, s8, s5
	s_add_i32 s1, s0, 1
	s_sub_i32 s6, s5, s22
	s_cmp_ge_u32 s5, s22
	s_cselect_b32 s0, s1, s0
	s_cselect_b32 s5, s6, s5
	s_add_i32 s1, s0, 1
	s_cmp_ge_u32 s5, s22
	s_cselect_b32 s6, s1, s0
.LBB48_11:
	s_cmp_lg_u32 s10, s6
	s_mov_b64 s[8:9], -1
                                        ; implicit-def: $sgpr0_sgpr1
                                        ; implicit-def: $vgpr10
                                        ; implicit-def: $vgpr8
                                        ; implicit-def: $vgpr9
                                        ; implicit-def: $sgpr5
                                        ; implicit-def: $sgpr7
	s_cbranch_scc1 .LBB48_14
; %bb.12:
	s_andn2_b64 vcc, exec, s[8:9]
	s_cbranch_vccz .LBB48_17
.LBB48_13:
	s_andn2_b64 vcc, exec, s[0:1]
	s_cbranch_vccnz .LBB48_18
	s_branch .LBB48_22
.LBB48_14:
	s_add_i32 s0, s24, s22
	s_lshl_b32 s0, s0, 2
	s_add_i32 s0, s0, s15
	s_mov_b32 s1, s4
	s_lshl_b64 s[0:1], s[0:1], 3
	s_add_u32 s8, s18, s0
	s_mul_hi_u32 s0, s6, s12
	s_addc_u32 s9, s19, s1
	s_add_i32 s0, s0, s6
	s_lshr_b32 s5, s0, s13
	s_mul_i32 s0, s5, s14
	s_cmp_eq_u32 s0, s6
	s_cselect_b64 s[0:1], -1, 0
	s_cmp_lt_u32 s5, s11
	s_cselect_b64 s[26:27], -1, 0
	s_or_b64 s[26:27], s[26:27], s[0:1]
	s_mov_b64 s[0:1], -1
	s_and_b64 vcc, exec, s[26:27]
	s_mov_b32 s5, s24
	s_mov_b32 s7, s10
	s_cbranch_vccnz .LBB48_16
; %bb.15:
	s_add_i32 s5, s24, -1
	s_mov_b64 s[0:1], 0
	s_mov_b32 s7, s6
.LBB48_16:
	v_lshl_add_u32 v8, s24, 9, v0
	v_ashrrev_i32_e32 v9, 31, v8
	v_lshlrev_b64 v[8:9], 2, v[8:9]
	v_mov_b32_e32 v10, s21
	v_add_co_u32_e32 v8, vcc, s20, v8
	v_addc_co_u32_e32 v9, vcc, v10, v9, vcc
	global_load_dword v10, v[8:9], off
	s_load_dwordx2 s[8:9], s[8:9], 0x0
	v_max_f32_e32 v8, v7, v7
	s_waitcnt lgkmcnt(0)
	v_max_f32_e64 v9, s8, s8
	v_max_f32_e32 v8, v8, v9
	v_sub_f32_e32 v9, v7, v8
	v_sub_f32_e32 v11, s8, v8
	v_mul_f32_e32 v12, 0x3fb8aa3b, v9
	v_mul_f32_e32 v13, 0x3fb8aa3b, v11
	v_fma_f32 v14, v9, s2, -v12
	v_rndne_f32_e32 v15, v12
	v_fma_f32 v16, v11, s2, -v13
	v_rndne_f32_e32 v17, v13
	v_fmac_f32_e32 v14, 0x32a5705f, v9
	v_sub_f32_e32 v12, v12, v15
	v_fmac_f32_e32 v16, 0x32a5705f, v11
	v_sub_f32_e32 v13, v13, v17
	v_add_f32_e32 v12, v12, v14
	v_cvt_i32_f32_e32 v15, v15
	v_add_f32_e32 v13, v13, v16
	v_exp_f32_e32 v12, v12
	v_cvt_i32_f32_e32 v17, v17
	v_exp_f32_e32 v13, v13
	v_cmp_ngt_f32_e32 vcc, s16, v9
	v_ldexp_f32 v12, v12, v15
	v_cndmask_b32_e32 v12, 0, v12, vcc
	v_ldexp_f32 v13, v13, v17
	v_cmp_ngt_f32_e32 vcc, s16, v11
	v_cndmask_b32_e32 v13, 0, v13, vcc
	v_cmp_nlt_f32_e32 vcc, s17, v9
	v_cndmask_b32_e32 v12, v5, v12, vcc
	v_cmp_nlt_f32_e32 vcc, s17, v11
	v_cndmask_b32_e32 v13, v5, v13, vcc
	v_cmp_le_f32_e32 vcc, s23, v9
	v_cndmask_b32_e32 v12, 0, v12, vcc
	v_cmp_le_f32_e32 vcc, s23, v11
	v_cndmask_b32_e32 v11, 0, v13, vcc
	v_mul_f32_e32 v9, s9, v11
	v_fmac_f32_e32 v9, v6, v12
	s_waitcnt vmcnt(0)
	v_mul_f32_e32 v10, v10, v11
	v_fmac_f32_e32 v10, v3, v12
	s_cbranch_execnz .LBB48_13
.LBB48_17:
	s_add_i32 s5, s24, -1
	s_mov_b32 s7, s10
	v_mov_b32_e32 v9, v6
	v_mov_b32_e32 v8, v7
	s_waitcnt vmcnt(0)
	v_mov_b32_e32 v10, v3
	s_cbranch_execz .LBB48_22
.LBB48_18:
	s_mov_b32 s10, s7
	s_mov_b32 s24, s5
	v_mov_b32_e32 v6, v9
	v_mov_b32_e32 v7, v8
	s_waitcnt vmcnt(0)
	v_mov_b32_e32 v3, v10
	s_mul_hi_i32 s5, s24, s3
	s_cmp_lg_u64 s[4:5], 0
	s_mul_i32 s8, s24, s3
	s_cbranch_scc1 .LBB48_9
.LBB48_19:
                                        ; implicit-def: $sgpr6_sgpr7
	s_branch .LBB48_10
.LBB48_20:
                                        ; implicit-def: $sgpr10_sgpr11
	s_load_dwordx4 s[12:15], s[4:5], 0x44
	s_branch .LBB48_2
.LBB48_21:
                                        ; implicit-def: $sgpr18_sgpr19
	s_branch .LBB48_5
.LBB48_22:
	v_div_scale_f32 v0, s[0:1], v9, v9, v10
	s_waitcnt vmcnt(0)
	v_div_scale_f32 v3, vcc, v10, v9, v10
	v_rcp_f32_e32 v4, v0
	v_fma_f32 v5, -v0, v4, 1.0
	v_fmac_f32_e32 v4, v5, v4
	v_mul_f32_e32 v5, v3, v4
	v_fma_f32 v6, -v0, v5, v3
	v_fmac_f32_e32 v5, v6, v4
	v_fma_f32 v0, -v0, v5, v3
	v_div_fmas_f32 v0, v0, v4, v5
	v_div_fixup_f32 v0, v0, v9, v10
	global_store_dword v[1:2], v0, off
.LBB48_23:
	s_endpgm
	.section	.rodata,"a",@progbits
	.p2align	6, 0x0
	.amdhsa_kernel _ZL33flash_attn_stream_k_fixup_generalILi128ELi2ELi2EEvPfPK15HIP_vector_typeIfLj2EEiiiiS1_IjLj3EES5_S5_S5_
		.amdhsa_group_segment_fixed_size 0
		.amdhsa_private_segment_fixed_size 0
		.amdhsa_kernarg_size 336
		.amdhsa_user_sgpr_count 6
		.amdhsa_user_sgpr_private_segment_buffer 1
		.amdhsa_user_sgpr_dispatch_ptr 0
		.amdhsa_user_sgpr_queue_ptr 0
		.amdhsa_user_sgpr_kernarg_segment_ptr 1
		.amdhsa_user_sgpr_dispatch_id 0
		.amdhsa_user_sgpr_flat_scratch_init 0
		.amdhsa_user_sgpr_private_segment_size 0
		.amdhsa_uses_dynamic_stack 0
		.amdhsa_system_sgpr_private_segment_wavefront_offset 0
		.amdhsa_system_sgpr_workgroup_id_x 1
		.amdhsa_system_sgpr_workgroup_id_y 1
		.amdhsa_system_sgpr_workgroup_id_z 1
		.amdhsa_system_sgpr_workgroup_info 0
		.amdhsa_system_vgpr_workitem_id 0
		.amdhsa_next_free_vgpr 18
		.amdhsa_next_free_sgpr 36
		.amdhsa_reserve_vcc 1
		.amdhsa_reserve_flat_scratch 0
		.amdhsa_float_round_mode_32 0
		.amdhsa_float_round_mode_16_64 0
		.amdhsa_float_denorm_mode_32 3
		.amdhsa_float_denorm_mode_16_64 3
		.amdhsa_dx10_clamp 1
		.amdhsa_ieee_mode 1
		.amdhsa_fp16_overflow 0
		.amdhsa_exception_fp_ieee_invalid_op 0
		.amdhsa_exception_fp_denorm_src 0
		.amdhsa_exception_fp_ieee_div_zero 0
		.amdhsa_exception_fp_ieee_overflow 0
		.amdhsa_exception_fp_ieee_underflow 0
		.amdhsa_exception_fp_ieee_inexact 0
		.amdhsa_exception_int_div_zero 0
	.end_amdhsa_kernel
	.section	.text._ZL33flash_attn_stream_k_fixup_generalILi128ELi2ELi2EEvPfPK15HIP_vector_typeIfLj2EEiiiiS1_IjLj3EES5_S5_S5_,"axG",@progbits,_ZL33flash_attn_stream_k_fixup_generalILi128ELi2ELi2EEvPfPK15HIP_vector_typeIfLj2EEiiiiS1_IjLj3EES5_S5_S5_,comdat
.Lfunc_end48:
	.size	_ZL33flash_attn_stream_k_fixup_generalILi128ELi2ELi2EEvPfPK15HIP_vector_typeIfLj2EEiiiiS1_IjLj3EES5_S5_S5_, .Lfunc_end48-_ZL33flash_attn_stream_k_fixup_generalILi128ELi2ELi2EEvPfPK15HIP_vector_typeIfLj2EEiiiiS1_IjLj3EES5_S5_S5_
                                        ; -- End function
	.set _ZL33flash_attn_stream_k_fixup_generalILi128ELi2ELi2EEvPfPK15HIP_vector_typeIfLj2EEiiiiS1_IjLj3EES5_S5_S5_.num_vgpr, 18
	.set _ZL33flash_attn_stream_k_fixup_generalILi128ELi2ELi2EEvPfPK15HIP_vector_typeIfLj2EEiiiiS1_IjLj3EES5_S5_S5_.num_agpr, 0
	.set _ZL33flash_attn_stream_k_fixup_generalILi128ELi2ELi2EEvPfPK15HIP_vector_typeIfLj2EEiiiiS1_IjLj3EES5_S5_S5_.numbered_sgpr, 36
	.set _ZL33flash_attn_stream_k_fixup_generalILi128ELi2ELi2EEvPfPK15HIP_vector_typeIfLj2EEiiiiS1_IjLj3EES5_S5_S5_.num_named_barrier, 0
	.set _ZL33flash_attn_stream_k_fixup_generalILi128ELi2ELi2EEvPfPK15HIP_vector_typeIfLj2EEiiiiS1_IjLj3EES5_S5_S5_.private_seg_size, 0
	.set _ZL33flash_attn_stream_k_fixup_generalILi128ELi2ELi2EEvPfPK15HIP_vector_typeIfLj2EEiiiiS1_IjLj3EES5_S5_S5_.uses_vcc, 1
	.set _ZL33flash_attn_stream_k_fixup_generalILi128ELi2ELi2EEvPfPK15HIP_vector_typeIfLj2EEiiiiS1_IjLj3EES5_S5_S5_.uses_flat_scratch, 0
	.set _ZL33flash_attn_stream_k_fixup_generalILi128ELi2ELi2EEvPfPK15HIP_vector_typeIfLj2EEiiiiS1_IjLj3EES5_S5_S5_.has_dyn_sized_stack, 0
	.set _ZL33flash_attn_stream_k_fixup_generalILi128ELi2ELi2EEvPfPK15HIP_vector_typeIfLj2EEiiiiS1_IjLj3EES5_S5_S5_.has_recursion, 0
	.set _ZL33flash_attn_stream_k_fixup_generalILi128ELi2ELi2EEvPfPK15HIP_vector_typeIfLj2EEiiiiS1_IjLj3EES5_S5_S5_.has_indirect_call, 0
	.section	.AMDGPU.csdata,"",@progbits
; Kernel info:
; codeLenInByte = 2940
; TotalNumSgprs: 40
; NumVgprs: 18
; ScratchSize: 0
; MemoryBound: 0
; FloatMode: 240
; IeeeMode: 1
; LDSByteSize: 0 bytes/workgroup (compile time only)
; SGPRBlocks: 4
; VGPRBlocks: 4
; NumSGPRsForWavesPerEU: 40
; NumVGPRsForWavesPerEU: 18
; Occupancy: 10
; WaveLimiterHint : 0
; COMPUTE_PGM_RSRC2:SCRATCH_EN: 0
; COMPUTE_PGM_RSRC2:USER_SGPR: 6
; COMPUTE_PGM_RSRC2:TRAP_HANDLER: 0
; COMPUTE_PGM_RSRC2:TGID_X_EN: 1
; COMPUTE_PGM_RSRC2:TGID_Y_EN: 1
; COMPUTE_PGM_RSRC2:TGID_Z_EN: 1
; COMPUTE_PGM_RSRC2:TIDIG_COMP_CNT: 0
	.section	.text._ZL15flash_attn_tileILi128ELi128ELi1ELi2ELb0EEvPKcS1_S1_S1_S1_PKiPfP15HIP_vector_typeIfLj2EEffffjfiS5_IjLj3EEiiiiiiiiiiiliiliiiiil,"axG",@progbits,_ZL15flash_attn_tileILi128ELi128ELi1ELi2ELb0EEvPKcS1_S1_S1_S1_PKiPfP15HIP_vector_typeIfLj2EEffffjfiS5_IjLj3EEiiiiiiiiiiiliiliiiiil,comdat
	.globl	_ZL15flash_attn_tileILi128ELi128ELi1ELi2ELb0EEvPKcS1_S1_S1_S1_PKiPfP15HIP_vector_typeIfLj2EEffffjfiS5_IjLj3EEiiiiiiiiiiiliiliiiiil ; -- Begin function _ZL15flash_attn_tileILi128ELi128ELi1ELi2ELb0EEvPKcS1_S1_S1_S1_PKiPfP15HIP_vector_typeIfLj2EEffffjfiS5_IjLj3EEiiiiiiiiiiiliiliiiiil
	.p2align	8
	.type	_ZL15flash_attn_tileILi128ELi128ELi1ELi2ELb0EEvPKcS1_S1_S1_S1_PKiPfP15HIP_vector_typeIfLj2EEffffjfiS5_IjLj3EEiiiiiiiiiiiliiliiiiil,@function
_ZL15flash_attn_tileILi128ELi128ELi1ELi2ELb0EEvPKcS1_S1_S1_S1_PKiPfP15HIP_vector_typeIfLj2EEffffjfiS5_IjLj3EEiiiiiiiiiiiliiliiiiil: ; @_ZL15flash_attn_tileILi128ELi128ELi1ELi2ELb0EEvPKcS1_S1_S1_S1_PKiPfP15HIP_vector_typeIfLj2EEffffjfiS5_IjLj3EEiiiiiiiiiiiliiliiiiil
; %bb.0:
	s_load_dwordx4 s[24:27], s[4:5], 0x5c
	s_load_dwordx2 s[28:29], s[4:5], 0x80
	s_load_dwordx2 s[34:35], s[4:5], 0xb8
	s_mov_b64 s[30:31], 0
	s_waitcnt lgkmcnt(0)
	s_lshr_b32 s0, s27, 31
	s_add_i32 s0, s27, s0
	s_ashr_i32 s0, s0, 1
	v_cvt_f32_u32_e32 v2, s0
	s_sub_i32 s1, 0, s0
	v_rcp_iflag_f32_e32 v2, v2
	v_mul_f32_e32 v2, 0x4f7ffffe, v2
	v_cvt_u32_f32_e32 v2, v2
	v_readfirstlane_b32 s2, v2
	s_mul_i32 s1, s1, s2
	s_mul_hi_u32 s1, s2, s1
	s_add_i32 s2, s2, s1
	s_mul_hi_u32 s1, s8, s2
	s_mul_i32 s2, s1, s0
	s_sub_i32 s2, s8, s2
	s_add_i32 s3, s1, 1
	s_sub_i32 s9, s2, s0
	s_cmp_ge_u32 s2, s0
	s_cselect_b32 s1, s3, s1
	s_cselect_b32 s2, s9, s2
	s_add_i32 s3, s1, 1
	s_cmp_ge_u32 s2, s0
	s_cselect_b32 s33, s3, s1
	s_abs_i32 s1, s29
	v_cvt_f32_u32_e32 v2, s1
	s_lshl_b32 s0, s8, 1
	s_sub_i32 s8, 0, s1
	s_abs_i32 s3, s27
	v_rcp_iflag_f32_e32 v2, v2
	s_xor_b32 s2, s27, s29
	s_ashr_i32 s2, s2, 31
	v_mul_f32_e32 v2, 0x4f7ffffe, v2
	v_cvt_u32_f32_e32 v2, v2
	v_readfirstlane_b32 s9, v2
	s_mul_i32 s8, s8, s9
	s_mul_hi_u32 s8, s9, s8
	s_add_i32 s9, s9, s8
	s_mul_hi_u32 s8, s3, s9
	s_mul_i32 s9, s8, s1
	s_sub_i32 s3, s3, s9
	s_add_i32 s10, s8, 1
	s_sub_i32 s9, s3, s1
	s_cmp_ge_u32 s3, s1
	s_cselect_b32 s8, s10, s8
	s_cselect_b32 s3, s9, s3
	s_add_i32 s9, s8, 1
	s_cmp_ge_u32 s3, s1
	s_cselect_b32 s1, s9, s8
	s_xor_b32 s1, s1, s2
	s_sub_i32 s37, s1, s2
	s_abs_i32 s36, s37
	v_cvt_f32_u32_e32 v2, s36
	s_load_dwordx16 s[8:23], s[4:5], 0x0
	s_mul_i32 s1, s33, s27
	v_rcp_iflag_f32_e32 v2, v2
	s_waitcnt lgkmcnt(0)
	s_cmp_eq_u64 s[14:15], 0
	v_mul_f32_e32 v2, 0x4f7ffffe, v2
	v_cvt_u32_f32_e32 v2, v2
	v_readfirstlane_b32 s38, v2
	s_cbranch_scc1 .LBB49_2
; %bb.1:
	s_abs_i32 s29, s34
	v_cvt_f32_u32_e32 v2, s29
	s_sub_i32 s34, 0, s29
	s_abs_i32 s31, s33
	s_ashr_i32 s30, s33, 31
	v_rcp_iflag_f32_e32 v2, v2
	s_load_dwordx2 s[2:3], s[4:5], 0xc8
	v_mul_f32_e32 v2, 0x4f7ffffe, v2
	v_cvt_u32_f32_e32 v2, v2
	v_readfirstlane_b32 s39, v2
	s_mul_i32 s34, s34, s39
	s_mul_hi_u32 s34, s39, s34
	s_add_i32 s39, s39, s34
	s_mul_hi_u32 s34, s31, s39
	s_mul_i32 s34, s34, s29
	s_sub_i32 s31, s31, s34
	s_sub_i32 s34, s31, s29
	s_cmp_ge_u32 s31, s29
	s_cselect_b32 s31, s34, s31
	s_sub_i32 s34, s31, s29
	s_cmp_ge_u32 s31, s29
	s_cselect_b32 s29, s34, s31
	s_xor_b32 s29, s29, s30
	s_sub_i32 s29, s29, s30
	s_ashr_i32 s30, s29, 31
	s_waitcnt lgkmcnt(0)
	s_mul_hi_u32 s31, s2, s29
	s_mul_i32 s30, s2, s30
	s_mul_i32 s3, s3, s29
	s_add_i32 s30, s31, s30
	s_add_i32 s3, s30, s3
	s_mul_i32 s2, s2, s29
	s_add_u32 s30, s14, s2
	s_addc_u32 s31, s15, s3
.LBB49_2:
	v_lshlrev_b32_e32 v2, 7, v1
	v_and_b32_e32 v2, 0x180, v2
	v_lshlrev_b32_e32 v24, 2, v0
	s_sub_i32 s29, s0, s1
	v_add_u32_e32 v3, v2, v24
	s_movk_i32 s0, 0x80
	v_cmp_gt_u32_e32 vcc, s0, v3
	v_and_b32_e32 v23, 3, v1
	v_lshlrev_b32_e32 v27, 3, v0
	v_bfe_u32 v26, v1, 2, 1
	v_lshrrev_b32_e32 v25, 3, v1
	s_and_saveexec_b64 s[14:15], vcc
	s_cbranch_execz .LBB49_4
; %bb.3:
	s_load_dwordx4 s[0:3], s[4:5], 0x70
	v_add_u32_e32 v5, s6, v25
	v_mul_hi_u32 v3, s24, v5
	v_lshlrev_b32_e32 v2, 2, v2
	s_waitcnt lgkmcnt(0)
	s_mul_i32 s3, s33, s2
	s_ashr_i32 s39, s3, 31
	s_mul_i32 s34, s29, s1
	s_add_u32 s3, s8, s3
	v_add_u32_e32 v3, v5, v3
	s_addc_u32 s8, s9, s39
	s_ashr_i32 s9, s34, 31
	v_lshrrev_b32_e32 v3, s25, v3
	s_add_u32 s34, s3, s34
	v_mul_lo_u32 v6, v3, s26
	s_addc_u32 s39, s8, s9
	s_ashr_i32 s3, s1, 31
	s_mov_b32 s2, s1
	s_lshr_b32 s1, s3, 2
	v_mul_lo_u32 v4, s1, v26
	s_ashr_i32 s1, s0, 31
	s_lshr_b64 s[8:9], s[2:3], 2
	s_lshr_b64 s[2:3], s[0:1], 2
	v_sub_u32_e32 v7, v5, v6
	v_mad_u64_u32 v[5:6], s[2:3], s2, v7, 0
	v_mul_lo_u32 v3, s8, v26
	s_lshr_b32 s0, s1, 2
	v_mad_u64_u32 v[6:7], s[0:1], s0, v7, v[6:7]
	v_lshlrev_b64 v[3:4], 2, v[3:4]
	v_mov_b32_e32 v8, s39
	v_add_co_u32_e32 v7, vcc, s34, v3
	v_addc_co_u32_e32 v8, vcc, v8, v4, vcc
	v_lshlrev_b64 v[3:4], 2, v[5:6]
	s_load_dword s0, s[4:5], 0x40
	v_add_co_u32_e32 v3, vcc, v7, v3
	v_addc_co_u32_e32 v4, vcc, v8, v4, vcc
	v_add_co_u32_e32 v2, vcc, v3, v2
	v_addc_co_u32_e32 v3, vcc, 0, v4, vcc
	v_lshlrev_b32_e32 v4, 2, v24
	v_add_co_u32_e32 v2, vcc, v2, v4
	v_addc_co_u32_e32 v3, vcc, 0, v3, vcc
	global_load_dwordx4 v[2:5], v[2:3], off
	v_lshrrev_b32_e32 v6, 2, v1
	v_add_u32_e32 v6, v6, v23
	v_lshl_add_u32 v6, v6, 8, v27
	s_waitcnt vmcnt(0) lgkmcnt(0)
	v_fma_mixlo_f16 v2, s0, v2, 0
	v_fma_mixlo_f16 v3, s0, v3, 0
	;; [unrolled: 1-line block ×4, first 2 shown]
	v_lshlrev_b32_e32 v3, 16, v3
	v_and_b32_e32 v2, 0xffff, v2
	v_lshlrev_b32_e32 v5, 16, v5
	v_and_b32_e32 v4, 0xffff, v4
	v_or_b32_e32 v2, v3, v2
	v_or3_b32 v3, v5, v4, 0
	v_or3_b32 v2, 0, 0, v2
	ds_write_b64 v6, v[2:3] offset:18944
.LBB49_4:
	s_or_b64 exec, exec, s[14:15]
	s_cmp_eq_u64 s[18:19], 0
	s_waitcnt lgkmcnt(0)
	s_barrier
	s_cbranch_scc1 .LBB49_6
; %bb.5:
	s_load_dword s0, s[4:5], 0xd0
	s_mov_b32 s1, 0
	s_waitcnt lgkmcnt(0)
	s_mul_i32 s0, s0, s33
	s_add_i32 s0, s0, s6
	s_lshl_b64 s[0:1], s[0:1], 2
	s_add_u32 s0, s18, s0
	s_addc_u32 s1, s19, s1
	s_load_dword s28, s[0:1], 0x0
.LBB49_6:
	s_lshl_b32 s14, s7, 7
	s_waitcnt lgkmcnt(0)
	s_cmp_lt_i32 s14, s28
	v_mbcnt_lo_u32_b32 v5, -1, 0
	s_cbranch_scc1 .LBB49_13
; %bb.7:
	v_mbcnt_hi_u32_b32 v3, -1, v5
	v_and_b32_e32 v2, 0x60, v3
	v_add_u32_e32 v29, 32, v2
	v_xor_b32_e32 v38, 16, v3
	v_xor_b32_e32 v34, 8, v3
	;; [unrolled: 1-line block ×5, first 2 shown]
	v_lshlrev_b32_e32 v28, 2, v1
	v_cmp_eq_u32_e64 s[0:1], 0, v0
	s_cbranch_execz .LBB49_14
; %bb.8:
	v_mov_b32_e32 v5, 0
	v_mov_b32_e32 v44, 0
	v_mov_b32_e32 v22, 0xfeffffff
	v_mov_b32_e32 v4, v5
.LBB49_9:
	v_cmp_lt_i32_e32 vcc, v38, v29
	v_cndmask_b32_e32 v2, v3, v38, vcc
	v_lshlrev_b32_e32 v2, 2, v2
	ds_bpermute_b32 v2, v2, v44
	v_cmp_lt_i32_e32 vcc, v34, v29
	v_cndmask_b32_e32 v6, v3, v34, vcc
	v_lshlrev_b32_e32 v6, 2, v6
	v_cmp_lt_i32_e32 vcc, v33, v29
	s_waitcnt lgkmcnt(0)
	v_add_f32_e32 v2, v44, v2
	ds_bpermute_b32 v6, v6, v2
	v_cndmask_b32_e32 v7, v3, v33, vcc
	v_lshlrev_b32_e32 v7, 2, v7
	v_cmp_lt_i32_e32 vcc, v31, v29
	v_cmp_ne_u32_e64 s[0:1], 0, v23
	s_waitcnt lgkmcnt(0)
	v_add_f32_e32 v2, v2, v6
	ds_bpermute_b32 v6, v7, v2
	v_cndmask_b32_e32 v7, v3, v31, vcc
	v_lshlrev_b32_e32 v7, 2, v7
	v_cmp_lt_i32_e32 vcc, v30, v29
	v_cndmask_b32_e32 v3, v3, v30, vcc
	s_waitcnt lgkmcnt(0)
	v_add_f32_e32 v2, v2, v6
	ds_bpermute_b32 v6, v7, v2
	v_lshlrev_b32_e32 v3, 2, v3
	v_cmp_eq_u32_e32 vcc, 0, v23
	v_lshl_add_u32 v1, v1, 8, v27
	s_waitcnt lgkmcnt(0)
	v_add_f32_e32 v2, v2, v6
	ds_bpermute_b32 v3, v3, v2
	s_waitcnt lgkmcnt(0)
	v_add_f32_e32 v23, v2, v3
	s_and_saveexec_b64 s[2:3], s[0:1]
	s_xor_b64 s[2:3], exec, s[2:3]
	s_cbranch_execnz .LBB49_19
; %bb.10:
	s_andn2_saveexec_b64 s[0:1], s[2:3]
	s_cbranch_execnz .LBB49_22
.LBB49_11:
	s_or_b64 exec, exec, s[0:1]
	s_and_saveexec_b64 s[0:1], vcc
	s_cbranch_execnz .LBB49_23
.LBB49_12:
	s_endpgm
.LBB49_13:
                                        ; implicit-def: $vgpr3
                                        ; implicit-def: $vgpr29
                                        ; implicit-def: $vgpr38
                                        ; implicit-def: $vgpr34
                                        ; implicit-def: $vgpr33
                                        ; implicit-def: $vgpr31
                                        ; implicit-def: $vgpr30
	v_lshlrev_b32_e32 v28, 2, v1
	v_cmp_eq_u32_e64 s[0:1], 0, v0
.LBB49_14:
	s_sub_i32 s2, 0, s36
	s_mul_i32 s2, s2, s38
	s_mul_hi_u32 s2, s38, s2
	s_add_i32 s38, s38, s2
	s_load_dwordx2 s[2:3], s[4:5], 0x8c
	s_load_dwordx4 s[40:43], s[4:5], 0x98
	s_abs_i32 s19, s29
	s_mul_hi_u32 s34, s19, s38
	s_ashr_i32 s38, s29, 31
	s_waitcnt lgkmcnt(0)
	s_ashr_i32 s18, s2, 2
	s_ashr_i32 s2, s33, 31
	;; [unrolled: 1-line block ×3, first 2 shown]
	s_mul_hi_u32 s39, s40, s33
	s_mul_i32 s42, s40, s2
	s_add_i32 s39, s39, s42
	s_mul_i32 s41, s41, s33
	s_ashr_i32 s37, s37, 31
	s_ashr_i32 s35, s35, 1
	s_add_i32 s39, s39, s41
	s_mul_i32 s40, s40, s33
	s_add_u32 s10, s10, s40
	s_addc_u32 s11, s11, s39
	s_xor_b32 s37, s38, s37
	s_mul_i32 s38, s34, s36
	s_sub_i32 s19, s19, s38
	s_add_i32 s38, s34, 1
	s_sub_i32 s39, s19, s36
	s_cmp_ge_u32 s19, s36
	s_cselect_b32 s34, s38, s34
	s_cselect_b32 s19, s39, s19
	s_add_i32 s38, s34, 1
	s_cmp_ge_u32 s19, s36
	s_load_dwordx2 s[8:9], s[4:5], 0xa8
	s_cselect_b32 s19, s38, s34
	s_xor_b32 s19, s19, s37
	s_sub_i32 s19, s19, s37
	s_mul_i32 s3, s19, s3
	s_ashr_i32 s34, s3, 31
	s_add_u32 s10, s10, s3
	s_waitcnt lgkmcnt(0)
	s_mul_hi_u32 s3, s8, s33
	s_mul_i32 s2, s8, s2
	s_addc_u32 s11, s11, s34
	s_add_i32 s2, s3, s2
	s_mul_i32 s3, s9, s33
	s_add_i32 s2, s2, s3
	s_mul_i32 s3, s8, s33
	s_add_u32 s3, s12, s3
	s_mul_i32 s19, s19, s43
	s_addc_u32 s2, s13, s2
	s_ashr_i32 s8, s19, 31
	s_add_u32 s12, s3, s19
	v_lshrrev_b32_e32 v2, 3, v0
	v_and_b32_e32 v22, 28, v24
	s_addc_u32 s13, s2, s8
	v_add_u32_e32 v2, v2, v28
	v_lshlrev_b32_e32 v3, 2, v22
	s_movk_i32 s2, 0x90
	v_mad_u32_u24 v32, v2, s2, v3
	v_add_u32_e32 v3, s6, v25
	v_mul_hi_u32 v14, s24, v3
	v_mul_lo_u32 v6, s18, v2
	s_lshl_b32 s2, s18, 5
	v_lshlrev_b32_e32 v2, 5, v1
	v_add_u32_e32 v14, v3, v14
	v_lshrrev_b32_e32 v14, s25, v14
	v_mul_lo_u32 v14, v14, s26
	v_add_u32_e32 v8, s2, v6
	v_and_b32_e32 v15, 0x60, v2
	v_add_u32_e32 v10, s2, v8
	v_add_u32_e32 v2, v15, v0
	v_sub_u32_e32 v3, v3, v14
	v_add_u32_e32 v12, s2, v10
	v_mul_u32_u24_e32 v39, 0x90, v2
	v_mad_u64_u32 v[2:3], s[2:3], v3, s35, v[2:3]
	v_lshlrev_b32_e32 v16, 6, v1
	v_and_b32_e32 v3, 3, v0
	s_movk_i32 s2, 0xfc
	v_and_b32_e32 v16, 0x3f00, v16
	v_and_or_b32 v3, v1, s2, v3
	v_mov_b32_e32 v14, 0x4c00
	v_lshl_or_b32 v42, v3, 2, v14
	v_add_u32_e32 v3, 0x4800, v16
	v_lshl_or_b32 v14, v15, 1, v3
	v_lshl_add_u32 v43, v0, 1, v14
	v_lshrrev_b32_e32 v14, 4, v0
	v_lshl_add_u32 v15, v1, 1, v14
	v_mul_lo_u32 v14, s15, v15
	v_and_b32_e32 v44, 60, v24
	v_add_u32_e32 v40, 0x4a00, v16
	v_lshlrev_b32_e32 v16, 2, v44
	s_lshl_b32 s2, s15, 4
	v_lshl_or_b32 v45, v15, 8, v16
	v_add_u32_e32 v16, s2, v14
	v_add_u32_e32 v18, s2, v16
	;; [unrolled: 1-line block ×3, first 2 shown]
	v_ashrrev_i32_e32 v7, 31, v6
	v_ashrrev_i32_e32 v9, 31, v8
	;; [unrolled: 1-line block ×8, first 2 shown]
	v_lshl_or_b32 v49, v23, 1, v3
	v_mbcnt_hi_u32_b32 v3, -1, v5
	v_mov_b32_e32 v4, 0
	v_lshlrev_b32_e32 v53, 8, v23
	s_add_u32 s2, s4, 0xd0
	v_lshlrev_b64 v[6:7], 2, v[6:7]
	v_lshlrev_b64 v[8:9], 2, v[8:9]
	;; [unrolled: 1-line block ×4, first 2 shown]
	v_and_b32_e32 v5, 0x60, v3
	v_lshlrev_b64 v[14:15], 2, v[14:15]
	v_lshlrev_b64 v[16:17], 2, v[16:17]
	;; [unrolled: 1-line block ×4, first 2 shown]
	v_add_u32_e32 v35, 0x1200, v32
	v_add_u32_e32 v36, 0x2400, v32
	;; [unrolled: 1-line block ×3, first 2 shown]
	v_or_b32_e32 v41, 0x4c00, v28
	v_add_u32_e32 v46, 0x1000, v45
	v_add_u32_e32 v47, 0x2000, v45
	;; [unrolled: 1-line block ×3, first 2 shown]
	s_addc_u32 s3, s5, 0
	v_mov_b32_e32 v55, 0xfeffffff
	v_lshlrev_b32_e32 v50, 2, v22
	v_mov_b32_e32 v51, s31
	v_add_u32_e32 v29, 32, v5
	v_xor_b32_e32 v38, 16, v3
	v_xor_b32_e32 v34, 8, v3
	;; [unrolled: 1-line block ×5, first 2 shown]
	s_mov_b32 s19, 0x3fb8aa3b
	s_mov_b32 s24, 0xc2ce8ed0
	;; [unrolled: 1-line block ×3, first 2 shown]
	v_lshlrev_b32_e32 v52, 2, v44
	v_add_u32_e32 v53, v27, v53
	v_mov_b32_e32 v54, 0x7f800000
	v_mov_b32_e32 v5, v4
	;; [unrolled: 1-line block ×3, first 2 shown]
.LBB49_15:                              ; =>This Inner Loop Header: Depth=1
	s_mul_hi_i32 s9, s14, s18
	s_mul_i32 s8, s14, s18
	s_lshl_b64 s[8:9], s[8:9], 2
	s_add_u32 s8, s10, s8
	s_addc_u32 s9, s11, s9
	v_mov_b32_e32 v22, s9
	v_add_co_u32_e32 v56, vcc, s8, v6
	v_addc_co_u32_e32 v22, vcc, v22, v7, vcc
	v_add_co_u32_e32 v72, vcc, v56, v50
	v_addc_co_u32_e32 v73, vcc, 0, v22, vcc
	v_mov_b32_e32 v22, s9
	v_add_co_u32_e32 v56, vcc, s8, v8
	v_addc_co_u32_e32 v22, vcc, v22, v9, vcc
	v_add_co_u32_e32 v74, vcc, v56, v50
	v_addc_co_u32_e32 v75, vcc, 0, v22, vcc
	;; [unrolled: 5-line block ×3, first 2 shown]
	v_mov_b32_e32 v22, s9
	v_add_co_u32_e32 v64, vcc, s8, v12
	v_addc_co_u32_e32 v22, vcc, v22, v13, vcc
	v_add_co_u32_e32 v78, vcc, v64, v50
	global_load_dwordx4 v[56:59], v[72:73], off
	global_load_dwordx4 v[60:63], v[74:75], off
	v_addc_co_u32_e32 v79, vcc, 0, v22, vcc
	global_load_dwordx4 v[64:67], v[76:77], off
	global_load_dwordx4 v[68:71], v[78:79], off
	v_mov_b32_e32 v22, 0
	s_waitcnt vmcnt(3)
	ds_write_b128 v32, v[56:59]
	s_waitcnt vmcnt(2)
	ds_write_b128 v35, v[60:63]
	;; [unrolled: 2-line block ×4, first 2 shown]
	s_waitcnt lgkmcnt(0)
	s_barrier
	ds_read_b128 v[56:59], v39
	ds_read_b128 v[60:63], v40
	s_waitcnt lgkmcnt(0)
	;;#ASMSTART
	v_dot2_f32_f16 v22, v56, v60, v22
	;;#ASMEND
	;;#ASMSTART
	v_dot2_f32_f16 v22, v57, v61, v22
	;;#ASMEND
	;;#ASMSTART
	v_dot2_f32_f16 v22, v58, v62, v22
	;;#ASMEND
	;;#ASMSTART
	v_dot2_f32_f16 v22, v59, v63, v22
	;;#ASMEND
	ds_read_b128 v[56:59], v39 offset:16
	ds_read_b128 v[60:63], v40 offset:16
	s_waitcnt lgkmcnt(0)
	;;#ASMSTART
	v_dot2_f32_f16 v22, v56, v60, v22
	;;#ASMEND
	;;#ASMSTART
	v_dot2_f32_f16 v22, v57, v61, v22
	;;#ASMEND
	;;#ASMSTART
	v_dot2_f32_f16 v22, v58, v62, v22
	;;#ASMEND
	;;#ASMSTART
	v_dot2_f32_f16 v22, v59, v63, v22
	;;#ASMEND
	ds_read_b128 v[56:59], v39 offset:32
	ds_read_b128 v[60:63], v40 offset:32
	;; [unrolled: 15-line block ×7, first 2 shown]
	s_waitcnt lgkmcnt(0)
	;;#ASMSTART
	v_dot2_f32_f16 v22, v56, v60, v22
	;;#ASMEND
	;;#ASMSTART
	v_dot2_f32_f16 v22, v57, v61, v22
	;;#ASMEND
	;; [unrolled: 3-line block ×4, first 2 shown]
	s_barrier
	global_load_dwordx4 v[56:59], v[72:73], off offset:128
	global_load_dwordx4 v[60:63], v[74:75], off offset:128
	global_load_dwordx4 v[64:67], v[76:77], off offset:128
	global_load_dwordx4 v[68:71], v[78:79], off offset:128
	s_waitcnt vmcnt(3)
	ds_write_b128 v32, v[56:59]
	s_waitcnt vmcnt(2)
	ds_write_b128 v35, v[60:63]
	;; [unrolled: 2-line block ×4, first 2 shown]
	s_waitcnt lgkmcnt(0)
	s_barrier
	ds_read_b128 v[56:59], v39
	ds_read_b128 v[60:63], v40 offset:128
	s_waitcnt lgkmcnt(0)
	;;#ASMSTART
	v_dot2_f32_f16 v22, v56, v60, v22
	;;#ASMEND
	;;#ASMSTART
	v_dot2_f32_f16 v22, v57, v61, v22
	;;#ASMEND
	;;#ASMSTART
	v_dot2_f32_f16 v22, v58, v62, v22
	;;#ASMEND
	;;#ASMSTART
	v_dot2_f32_f16 v22, v59, v63, v22
	;;#ASMEND
	ds_read_b128 v[56:59], v39 offset:16
	ds_read_b128 v[60:63], v40 offset:144
	s_waitcnt lgkmcnt(0)
	;;#ASMSTART
	v_dot2_f32_f16 v22, v56, v60, v22
	;;#ASMEND
	;;#ASMSTART
	v_dot2_f32_f16 v22, v57, v61, v22
	;;#ASMEND
	;;#ASMSTART
	v_dot2_f32_f16 v22, v58, v62, v22
	;;#ASMEND
	;;#ASMSTART
	v_dot2_f32_f16 v22, v59, v63, v22
	;;#ASMEND
	ds_read_b128 v[56:59], v39 offset:32
	;; [unrolled: 15-line block ×7, first 2 shown]
	ds_read_b128 v[60:63], v40 offset:240
	v_add_u32_e32 v64, s14, v2
	v_ashrrev_i32_e32 v65, 31, v64
	v_lshlrev_b64 v[64:65], 1, v[64:65]
	s_waitcnt lgkmcnt(0)
	;;#ASMSTART
	v_dot2_f32_f16 v22, v56, v60, v22
	;;#ASMEND
	v_add_co_u32_e32 v64, vcc, s30, v64
	;;#ASMSTART
	v_dot2_f32_f16 v22, v57, v61, v22
	;;#ASMEND
	v_addc_co_u32_e32 v65, vcc, v51, v65, vcc
	;;#ASMSTART
	v_dot2_f32_f16 v22, v58, v62, v22
	;;#ASMEND
	;;#ASMSTART
	v_dot2_f32_f16 v22, v59, v63, v22
	;;#ASMEND
	global_load_ushort v56, v[64:65], off
	v_cmp_lt_i32_e32 vcc, v38, v29
	v_cndmask_b32_e32 v57, v3, v38, vcc
	v_max_f32_e32 v58, v55, v55
	v_lshlrev_b32_e32 v57, 2, v57
	v_cmp_lt_i32_e32 vcc, v34, v29
	s_waitcnt vmcnt(0)
	v_cvt_f32_f16_e32 v56, v56
	v_add_f32_e32 v56, v22, v56
	v_add_f32_e32 v22, 0x40051340, v56
	v_max_f32_e32 v22, v58, v22
	ds_bpermute_b32 v57, v57, v22
	v_cndmask_b32_e32 v58, v3, v34, vcc
	v_lshlrev_b32_e32 v58, 2, v58
	v_cmp_lt_i32_e32 vcc, v33, v29
	s_waitcnt lgkmcnt(0)
	v_max_f32_e32 v57, v57, v57
	v_max_f32_e32 v22, v22, v57
	ds_bpermute_b32 v57, v58, v22
	v_cndmask_b32_e32 v58, v3, v33, vcc
	v_lshlrev_b32_e32 v58, 2, v58
	v_cmp_lt_i32_e32 vcc, v31, v29
	s_waitcnt lgkmcnt(0)
	v_max_f32_e32 v57, v57, v57
	;; [unrolled: 7-line block ×3, first 2 shown]
	v_max_f32_e32 v22, v22, v57
	ds_bpermute_b32 v57, v58, v22
	v_cndmask_b32_e32 v58, v3, v30, vcc
	v_lshlrev_b32_e32 v58, 2, v58
	s_waitcnt lgkmcnt(0)
	v_max_f32_e32 v57, v57, v57
	v_max_f32_e32 v22, v22, v57
	ds_bpermute_b32 v57, v58, v22
	s_and_saveexec_b64 s[8:9], s[0:1]
	s_cbranch_execz .LBB49_17
; %bb.16:                               ;   in Loop: Header=BB49_15 Depth=1
	s_waitcnt lgkmcnt(0)
	v_max_f32_e32 v57, v57, v57
	v_max_f32_e32 v22, v22, v22
	;; [unrolled: 1-line block ×3, first 2 shown]
	ds_write_b32 v41, v22
.LBB49_17:                              ;   in Loop: Header=BB49_15 Depth=1
	s_or_b64 exec, exec, s[8:9]
	s_waitcnt lgkmcnt(0)
	s_barrier
	ds_read_b32 v22, v42
	v_and_b32_e32 v57, 0x7c, v3
	v_add_u32_e32 v57, 4, v57
	v_cmp_lt_i32_e32 vcc, v31, v57
	v_cndmask_b32_e32 v58, v3, v31, vcc
	v_lshlrev_b32_e32 v58, 2, v58
	s_waitcnt lgkmcnt(0)
	ds_bpermute_b32 v58, v58, v22
	v_cmp_lt_i32_e32 vcc, v30, v57
	v_max_f32_e32 v22, v22, v22
	v_cndmask_b32_e32 v57, v3, v30, vcc
	v_lshlrev_b32_e32 v57, 2, v57
	s_waitcnt lgkmcnt(0)
	v_max_f32_e32 v58, v58, v58
	v_max_f32_e32 v22, v22, v58
	ds_bpermute_b32 v57, v57, v22
	s_mul_hi_i32 s9, s14, s15
	s_mul_i32 s8, s14, s15
	s_lshl_b64 s[8:9], s[8:9], 2
	s_add_u32 s8, s12, s8
	s_waitcnt lgkmcnt(0)
	v_max_f32_e32 v57, v57, v57
	v_max_f32_e32 v22, v22, v57
	v_sub_f32_e32 v56, v56, v22
	v_mul_f32_e32 v57, 0x3fb8aa3b, v56
	v_fma_f32 v58, v56, s19, -v57
	v_rndne_f32_e32 v59, v57
	v_fmac_f32_e32 v58, 0x32a5705f, v56
	v_sub_f32_e32 v57, v57, v59
	v_add_f32_e32 v57, v57, v58
	v_exp_f32_e32 v57, v57
	v_cvt_i32_f32_e32 v58, v59
	v_cmp_ngt_f32_e32 vcc, s24, v56
	v_sub_f32_e32 v55, v55, v22
	s_addc_u32 s9, s13, s9
	v_ldexp_f32 v57, v57, v58
	v_cndmask_b32_e32 v57, 0, v57, vcc
	v_cmp_nlt_f32_e32 vcc, s25, v56
	v_cndmask_b32_e32 v56, v54, v57, vcc
	v_mul_f32_e32 v57, 0x3fb8aa3b, v55
	v_fma_f32 v58, v55, s19, -v57
	v_rndne_f32_e32 v59, v57
	v_fmac_f32_e32 v58, 0x32a5705f, v55
	v_sub_f32_e32 v57, v57, v59
	v_add_f32_e32 v57, v57, v58
	v_exp_f32_e32 v57, v57
	v_cvt_i32_f32_e32 v58, v59
	v_cmp_ngt_f32_e32 vcc, s24, v55
	v_ldexp_f32 v57, v57, v58
	v_cndmask_b32_e32 v57, 0, v57, vcc
	v_cmp_nlt_f32_e32 vcc, s25, v55
	v_cndmask_b32_e32 v55, v54, v57, vcc
	v_fma_f32 v44, v44, v55, v56
	v_cvt_f16_f32_e32 v55, v55
	v_mul_u32_u24_e32 v59, 0x10001, v55
	v_cvt_f16_f32_e32 v55, v56
	v_mov_b32_e32 v56, s9
	ds_write_b16 v43, v55
	v_add_co_u32_e32 v55, vcc, s8, v14
	v_addc_co_u32_e32 v56, vcc, v56, v15, vcc
	v_add_co_u32_e32 v55, vcc, v55, v52
	v_addc_co_u32_e32 v56, vcc, 0, v56, vcc
	global_load_dwordx4 v[55:58], v[55:56], off
	s_waitcnt vmcnt(0)
	ds_write_b128 v45, v[55:58]
	v_add_co_u32_e32 v55, vcc, s8, v16
	v_mov_b32_e32 v56, s9
	v_addc_co_u32_e32 v56, vcc, v56, v17, vcc
	v_add_co_u32_e32 v55, vcc, v55, v52
	v_addc_co_u32_e32 v56, vcc, 0, v56, vcc
	global_load_dwordx4 v[55:58], v[55:56], off
	s_waitcnt vmcnt(0)
	ds_write_b128 v46, v[55:58]
	v_add_co_u32_e32 v55, vcc, s8, v18
	v_mov_b32_e32 v56, s9
	;; [unrolled: 8-line block ×3, first 2 shown]
	v_addc_co_u32_e32 v56, vcc, v56, v21, vcc
	v_add_co_u32_e32 v55, vcc, v55, v52
	v_addc_co_u32_e32 v56, vcc, 0, v56, vcc
	global_load_dwordx4 v[55:58], v[55:56], off
	s_or_b32 s8, s14, 64
	s_mul_hi_i32 s9, s8, s15
	s_mul_i32 s8, s8, s15
	s_lshl_b64 s[8:9], s[8:9], 2
	s_add_u32 s8, s12, s8
	s_addc_u32 s9, s13, s9
	s_waitcnt vmcnt(0)
	ds_write_b128 v48, v[55:58]
	s_waitcnt lgkmcnt(0)
	s_barrier
	ds_read2st64_b64 v[55:58], v53 offset1:2
	ds_read_u16 v60, v49
	ds_read_u16 v61, v49 offset:8
	ds_read_u16 v62, v49 offset:16
	;; [unrolled: 1-line block ×7, first 2 shown]
	s_waitcnt lgkmcnt(7)
	v_mul_u32_u24_e32 v60, 0x10001, v60
	v_pk_mul_f16 v55, v55, v60
	v_pk_fma_f16 v4, v4, v59, v55
	v_pk_mul_f16 v55, v56, v60
	v_pk_fma_f16 v5, v5, v59, v55
	s_waitcnt lgkmcnt(6)
	v_mul_u32_u24_e32 v55, 0x10001, v61
	v_pk_fma_f16 v4, v57, v55, v4
	v_pk_fma_f16 v5, v58, v55, v5
	ds_read2st64_b64 v[55:58], v53 offset0:4 offset1:6
	s_waitcnt lgkmcnt(6)
	v_mul_u32_u24_e32 v59, 0x10001, v62
	s_waitcnt lgkmcnt(0)
	v_pk_fma_f16 v4, v55, v59, v4
	v_pk_fma_f16 v5, v56, v59, v5
	v_mul_u32_u24_e32 v55, 0x10001, v63
	v_pk_fma_f16 v4, v57, v55, v4
	v_pk_fma_f16 v5, v58, v55, v5
	ds_read2st64_b64 v[55:58], v53 offset0:8 offset1:10
	v_mul_u32_u24_e32 v59, 0x10001, v64
	s_waitcnt lgkmcnt(0)
	v_pk_fma_f16 v4, v55, v59, v4
	v_pk_fma_f16 v5, v56, v59, v5
	v_mul_u32_u24_e32 v55, 0x10001, v65
	v_pk_fma_f16 v4, v57, v55, v4
	v_pk_fma_f16 v5, v58, v55, v5
	ds_read2st64_b64 v[55:58], v53 offset0:12 offset1:14
	;; [unrolled: 8-line block ×3, first 2 shown]
	ds_read_u16 v59, v49 offset:64
	s_waitcnt lgkmcnt(0)
	v_mul_u32_u24_e32 v59, 0x10001, v59
	v_pk_fma_f16 v4, v55, v59, v4
	ds_read_u16 v55, v49 offset:72
	v_pk_fma_f16 v5, v56, v59, v5
	s_waitcnt lgkmcnt(0)
	v_mul_u32_u24_e32 v55, 0x10001, v55
	v_pk_fma_f16 v4, v57, v55, v4
	v_pk_fma_f16 v5, v58, v55, v5
	ds_read2st64_b64 v[55:58], v53 offset0:20 offset1:22
	ds_read_u16 v59, v49 offset:80
	s_waitcnt lgkmcnt(0)
	v_mul_u32_u24_e32 v59, 0x10001, v59
	v_pk_fma_f16 v4, v55, v59, v4
	ds_read_u16 v55, v49 offset:88
	v_pk_fma_f16 v5, v56, v59, v5
	s_waitcnt lgkmcnt(0)
	v_mul_u32_u24_e32 v55, 0x10001, v55
	v_pk_fma_f16 v4, v57, v55, v4
	v_pk_fma_f16 v5, v58, v55, v5
	ds_read2st64_b64 v[55:58], v53 offset0:24 offset1:26
	;; [unrolled: 11-line block ×3, first 2 shown]
	ds_read_u16 v59, v49 offset:112
	s_waitcnt lgkmcnt(0)
	v_mul_u32_u24_e32 v59, 0x10001, v59
	v_pk_fma_f16 v4, v55, v59, v4
	ds_read_u16 v55, v49 offset:120
	v_pk_fma_f16 v5, v56, v59, v5
	s_waitcnt lgkmcnt(0)
	s_barrier
	v_mul_u32_u24_e32 v55, 0x10001, v55
	v_pk_fma_f16 v59, v57, v55, v4
	v_pk_fma_f16 v60, v58, v55, v5
	v_add_co_u32_e32 v4, vcc, s8, v14
	v_mov_b32_e32 v5, s9
	v_addc_co_u32_e32 v5, vcc, v5, v15, vcc
	v_add_co_u32_e32 v4, vcc, v4, v52
	v_addc_co_u32_e32 v5, vcc, 0, v5, vcc
	global_load_dwordx4 v[55:58], v[4:5], off
	v_add_co_u32_e32 v4, vcc, s8, v16
	v_mov_b32_e32 v5, s9
	v_addc_co_u32_e32 v5, vcc, v5, v17, vcc
	v_add_co_u32_e32 v4, vcc, v4, v52
	v_addc_co_u32_e32 v5, vcc, 0, v5, vcc
	s_waitcnt vmcnt(0)
	ds_write_b128 v45, v[55:58]
	global_load_dwordx4 v[55:58], v[4:5], off
	v_add_co_u32_e32 v4, vcc, s8, v18
	v_mov_b32_e32 v5, s9
	v_addc_co_u32_e32 v5, vcc, v5, v19, vcc
	v_add_co_u32_e32 v4, vcc, v4, v52
	v_addc_co_u32_e32 v5, vcc, 0, v5, vcc
	s_waitcnt vmcnt(0)
	ds_write_b128 v46, v[55:58]
	;; [unrolled: 8-line block ×3, first 2 shown]
	global_load_dwordx4 v[55:58], v[4:5], off
	s_waitcnt vmcnt(0)
	ds_write_b128 v48, v[55:58]
	s_waitcnt lgkmcnt(0)
	s_barrier
	ds_read2st64_b64 v[55:58], v53 offset1:2
	ds_read_u16 v4, v49 offset:128
	ds_read_u16 v5, v49 offset:136
	;; [unrolled: 1-line block ×8, first 2 shown]
	s_waitcnt lgkmcnt(7)
	v_mul_u32_u24_e32 v4, 0x10001, v4
	v_pk_fma_f16 v55, v55, v4, v59
	v_pk_fma_f16 v4, v56, v4, v60
	s_waitcnt lgkmcnt(6)
	v_mul_u32_u24_e32 v5, 0x10001, v5
	v_pk_fma_f16 v59, v57, v5, v55
	v_pk_fma_f16 v4, v58, v5, v4
	ds_read2st64_b64 v[55:58], v53 offset0:4 offset1:6
	s_waitcnt lgkmcnt(6)
	v_mul_u32_u24_e32 v5, 0x10001, v61
	s_waitcnt lgkmcnt(0)
	v_pk_fma_f16 v55, v55, v5, v59
	v_pk_fma_f16 v4, v56, v5, v4
	v_mul_u32_u24_e32 v5, 0x10001, v62
	v_pk_fma_f16 v59, v57, v5, v55
	v_pk_fma_f16 v4, v58, v5, v4
	ds_read2st64_b64 v[55:58], v53 offset0:8 offset1:10
	v_mul_u32_u24_e32 v5, 0x10001, v63
	s_waitcnt lgkmcnt(0)
	v_pk_fma_f16 v55, v55, v5, v59
	v_pk_fma_f16 v4, v56, v5, v4
	v_mul_u32_u24_e32 v5, 0x10001, v64
	v_pk_fma_f16 v59, v57, v5, v55
	v_pk_fma_f16 v4, v58, v5, v4
	ds_read2st64_b64 v[55:58], v53 offset0:12 offset1:14
	;; [unrolled: 8-line block ×3, first 2 shown]
	ds_read_u16 v5, v49 offset:192
	s_waitcnt lgkmcnt(0)
	v_mul_u32_u24_e32 v5, 0x10001, v5
	v_pk_fma_f16 v55, v55, v5, v59
	v_pk_fma_f16 v4, v56, v5, v4
	ds_read_u16 v5, v49 offset:200
	s_waitcnt lgkmcnt(0)
	v_mul_u32_u24_e32 v5, 0x10001, v5
	v_pk_fma_f16 v59, v57, v5, v55
	v_pk_fma_f16 v4, v58, v5, v4
	ds_read2st64_b64 v[55:58], v53 offset0:20 offset1:22
	ds_read_u16 v5, v49 offset:208
	s_waitcnt lgkmcnt(0)
	v_mul_u32_u24_e32 v5, 0x10001, v5
	v_pk_fma_f16 v55, v55, v5, v59
	v_pk_fma_f16 v4, v56, v5, v4
	ds_read_u16 v5, v49 offset:216
	s_waitcnt lgkmcnt(0)
	v_mul_u32_u24_e32 v5, 0x10001, v5
	v_pk_fma_f16 v59, v57, v5, v55
	v_pk_fma_f16 v4, v58, v5, v4
	ds_read2st64_b64 v[55:58], v53 offset0:24 offset1:26
	;; [unrolled: 11-line block ×3, first 2 shown]
	ds_read_u16 v5, v49 offset:240
	s_waitcnt lgkmcnt(0)
	v_mul_u32_u24_e32 v5, 0x10001, v5
	v_pk_fma_f16 v55, v55, v5, v59
	v_pk_fma_f16 v5, v56, v5, v4
	ds_read_u16 v4, v49 offset:248
	s_waitcnt lgkmcnt(0)
	s_barrier
	s_load_dword s8, s[2:3], 0x4
	v_mul_u32_u24_e32 v56, 0x10001, v4
	v_pk_fma_f16 v4, v57, v56, v55
	v_pk_fma_f16 v5, v58, v56, v5
	s_waitcnt lgkmcnt(0)
	s_lshl_b32 s8, s8, 7
	s_add_i32 s14, s8, s14
	s_cmp_ge_i32 s14, s28
	s_cbranch_scc1 .LBB49_9
; %bb.18:                               ;   in Loop: Header=BB49_15 Depth=1
	v_mov_b32_e32 v55, v22
	s_branch .LBB49_15
.LBB49_19:
	v_cmp_eq_u32_e64 s[0:1], 0, v0
	ds_write_b64 v1, v[4:5]
	s_and_saveexec_b64 s[8:9], s[0:1]
; %bb.20:
	ds_write_b32 v28, v23 offset:18944
; %bb.21:
	s_or_b64 exec, exec, s[8:9]
                                        ; implicit-def: $vgpr1
                                        ; implicit-def: $vgpr28
	s_andn2_saveexec_b64 s[0:1], s[2:3]
	s_cbranch_execz .LBB49_11
.LBB49_22:
	s_waitcnt lgkmcnt(0)
	s_barrier
	ds_read2_b64 v[6:9], v1 offset0:32 offset1:64
	v_add_u32_e32 v2, 0x4a04, v28
	ds_read2_b32 v[2:3], v2 offset1:1
	s_waitcnt lgkmcnt(1)
	v_pk_add_f16 v6, v6, v4
	v_pk_add_f16 v7, v7, v5
	ds_read_b64 v[4:5], v1 offset:768
	ds_read_b32 v1, v28 offset:18956
	s_waitcnt lgkmcnt(2)
	v_add_f32_e32 v2, v23, v2
	v_pk_add_f16 v6, v8, v6
	v_pk_add_f16 v7, v9, v7
	v_add_f32_e32 v2, v2, v3
	s_waitcnt lgkmcnt(1)
	v_pk_add_f16 v4, v4, v6
	v_pk_add_f16 v5, v5, v7
	s_waitcnt lgkmcnt(0)
	v_add_f32_e32 v23, v2, v1
	s_or_b64 exec, exec, s[0:1]
	s_and_saveexec_b64 s[0:1], vcc
	s_cbranch_execz .LBB49_12
.LBB49_23:
	s_cmp_eq_u64 s[16:17], 0
	s_cselect_b64 s[0:1], -1, 0
	s_cmp_lg_u32 s7, 0
	s_cselect_b64 s[2:3], -1, 0
	s_or_b64 s[0:1], s[2:3], s[0:1]
	v_add_u32_e32 v1, s29, v26
	s_and_b64 vcc, exec, s[0:1]
	s_cbranch_vccnz .LBB49_25
; %bb.24:
	v_ashrrev_i32_e32 v2, 31, v1
	v_lshlrev_b64 v[2:3], 2, v[1:2]
	v_mov_b32_e32 v6, s17
	v_add_co_u32_e32 v2, vcc, s16, v2
	v_addc_co_u32_e32 v3, vcc, v6, v3, vcc
	global_load_dword v2, v[2:3], off
	v_max_f32_e32 v3, v22, v22
	s_mov_b32 s0, 0x3fb8aa3b
	s_mov_b32 s1, 0xc2ce8ed0
	s_waitcnt vmcnt(0)
	v_max_f32_e32 v6, v2, v2
	v_max_f32_e32 v3, v3, v6
	v_sub_f32_e32 v6, v22, v3
	v_sub_f32_e32 v2, v2, v3
	v_mul_f32_e32 v7, 0x3fb8aa3b, v6
	v_mul_f32_e32 v8, 0x3fb8aa3b, v2
	v_fma_f32 v9, v6, s0, -v7
	v_rndne_f32_e32 v10, v7
	v_fma_f32 v11, v2, s0, -v8
	v_rndne_f32_e32 v12, v8
	v_fmac_f32_e32 v9, 0x32a5705f, v6
	v_sub_f32_e32 v7, v7, v10
	v_fmac_f32_e32 v11, 0x32a5705f, v2
	v_sub_f32_e32 v8, v8, v12
	v_add_f32_e32 v7, v7, v9
	v_cvt_i32_f32_e32 v10, v10
	v_add_f32_e32 v8, v8, v11
	v_exp_f32_e32 v7, v7
	v_cvt_i32_f32_e32 v12, v12
	v_exp_f32_e32 v8, v8
	v_cmp_ngt_f32_e32 vcc, s1, v6
	v_ldexp_f32 v7, v7, v10
	s_mov_b32 s0, 0x42b17218
	v_ldexp_f32 v8, v8, v12
	v_cndmask_b32_e32 v7, 0, v7, vcc
	v_cmp_ngt_f32_e32 vcc, s1, v2
	v_mov_b32_e32 v9, 0x7f800000
	v_cndmask_b32_e32 v8, 0, v8, vcc
	v_cmp_nlt_f32_e32 vcc, s0, v6
	v_cndmask_b32_e32 v6, v9, v7, vcc
	v_cvt_f16_f32_e32 v7, v6
	v_cmp_nlt_f32_e32 vcc, s0, v2
	v_cndmask_b32_e32 v2, v9, v8, vcc
	v_fmac_f32_e32 v2, v23, v6
	v_mov_b32_e32 v23, v2
	v_mul_u32_u24_e32 v2, 0x10001, v7
	v_pk_mul_f16 v4, v4, v2
	v_pk_mul_f16 v5, v5, v2
	v_mov_b32_e32 v22, v3
.LBB49_25:
	v_div_scale_f32 v2, s[0:1], v23, v23, 1.0
	v_div_scale_f32 v3, vcc, 1.0, v23, 1.0
	s_load_dword s4, s[4:5], 0xd4
	s_mul_i32 s0, s33, s26
	s_waitcnt lgkmcnt(0)
	s_cmp_lg_u32 s4, 1
	s_cselect_b64 s[2:3], -1, 0
	s_add_i32 s0, s0, s6
	v_rcp_f32_e32 v6, v2
	v_fma_f32 v7, -v2, v6, 1.0
	v_fmac_f32_e32 v6, v7, v6
	v_mul_f32_e32 v7, v3, v6
	v_fma_f32 v8, -v2, v7, v3
	v_fmac_f32_e32 v7, v8, v6
	v_fma_f32 v2, -v2, v7, v3
	v_div_fmas_f32 v2, v2, v6, v7
	v_cmp_eq_u32_e32 vcc, 0, v0
	v_add_u32_e32 v0, s0, v25
	v_cvt_f32_f16_e32 v3, v4
	v_cvt_f32_f16_sdwa v4, v4 dst_sel:DWORD dst_unused:UNUSED_PAD src0_sel:WORD_1
	v_cvt_f32_f16_e32 v7, v5
	v_cvt_f32_f16_sdwa v5, v5 dst_sel:DWORD dst_unused:UNUSED_PAD src0_sel:WORD_1
	v_mov_b32_e32 v6, 0
	v_mov_b32_e32 v8, s21
	v_div_fixup_f32 v2, v2, v23, 1.0
	v_mad_u64_u32 v[0:1], s[0:1], v0, s27, v[1:2]
	v_cndmask_b32_e64 v9, v2, 1.0, s[2:3]
	v_mul_f32_e32 v2, v9, v4
	v_mul_lo_u32 v0, s4, v0
	v_mul_f32_e32 v4, v9, v5
	v_mul_f32_e32 v1, v9, v3
	;; [unrolled: 1-line block ×3, first 2 shown]
	v_add_u32_e32 v0, s7, v0
	v_lshl_add_u32 v5, v0, 7, v24
	v_lshlrev_b64 v[5:6], 2, v[5:6]
	v_add_co_u32_e64 v5, s[0:1], s20, v5
	v_addc_co_u32_e64 v6, s[0:1], v8, v6, s[0:1]
	s_and_b64 s[0:1], vcc, s[2:3]
	global_store_dwordx4 v[5:6], v[1:4], off
	s_and_b64 exec, exec, s[0:1]
	s_cbranch_execz .LBB49_12
; %bb.26:
	v_ashrrev_i32_e32 v1, 31, v0
	v_lshlrev_b64 v[0:1], 3, v[0:1]
	v_mov_b32_e32 v2, s23
	v_add_co_u32_e32 v0, vcc, s22, v0
	v_addc_co_u32_e32 v1, vcc, v2, v1, vcc
	global_store_dwordx2 v[0:1], v[22:23], off
	s_endpgm
	.section	.rodata,"a",@progbits
	.p2align	6, 0x0
	.amdhsa_kernel _ZL15flash_attn_tileILi128ELi128ELi1ELi2ELb0EEvPKcS1_S1_S1_S1_PKiPfP15HIP_vector_typeIfLj2EEffffjfiS5_IjLj3EEiiiiiiiiiiiliiliiiiil
		.amdhsa_group_segment_fixed_size 19488
		.amdhsa_private_segment_fixed_size 0
		.amdhsa_kernarg_size 464
		.amdhsa_user_sgpr_count 6
		.amdhsa_user_sgpr_private_segment_buffer 1
		.amdhsa_user_sgpr_dispatch_ptr 0
		.amdhsa_user_sgpr_queue_ptr 0
		.amdhsa_user_sgpr_kernarg_segment_ptr 1
		.amdhsa_user_sgpr_dispatch_id 0
		.amdhsa_user_sgpr_flat_scratch_init 0
		.amdhsa_user_sgpr_private_segment_size 0
		.amdhsa_uses_dynamic_stack 0
		.amdhsa_system_sgpr_private_segment_wavefront_offset 0
		.amdhsa_system_sgpr_workgroup_id_x 1
		.amdhsa_system_sgpr_workgroup_id_y 1
		.amdhsa_system_sgpr_workgroup_id_z 1
		.amdhsa_system_sgpr_workgroup_info 0
		.amdhsa_system_vgpr_workitem_id 1
		.amdhsa_next_free_vgpr 80
		.amdhsa_next_free_sgpr 98
		.amdhsa_reserve_vcc 1
		.amdhsa_reserve_flat_scratch 0
		.amdhsa_float_round_mode_32 0
		.amdhsa_float_round_mode_16_64 0
		.amdhsa_float_denorm_mode_32 3
		.amdhsa_float_denorm_mode_16_64 3
		.amdhsa_dx10_clamp 1
		.amdhsa_ieee_mode 1
		.amdhsa_fp16_overflow 0
		.amdhsa_exception_fp_ieee_invalid_op 0
		.amdhsa_exception_fp_denorm_src 0
		.amdhsa_exception_fp_ieee_div_zero 0
		.amdhsa_exception_fp_ieee_overflow 0
		.amdhsa_exception_fp_ieee_underflow 0
		.amdhsa_exception_fp_ieee_inexact 0
		.amdhsa_exception_int_div_zero 0
	.end_amdhsa_kernel
	.section	.text._ZL15flash_attn_tileILi128ELi128ELi1ELi2ELb0EEvPKcS1_S1_S1_S1_PKiPfP15HIP_vector_typeIfLj2EEffffjfiS5_IjLj3EEiiiiiiiiiiiliiliiiiil,"axG",@progbits,_ZL15flash_attn_tileILi128ELi128ELi1ELi2ELb0EEvPKcS1_S1_S1_S1_PKiPfP15HIP_vector_typeIfLj2EEffffjfiS5_IjLj3EEiiiiiiiiiiiliiliiiiil,comdat
.Lfunc_end49:
	.size	_ZL15flash_attn_tileILi128ELi128ELi1ELi2ELb0EEvPKcS1_S1_S1_S1_PKiPfP15HIP_vector_typeIfLj2EEffffjfiS5_IjLj3EEiiiiiiiiiiiliiliiiiil, .Lfunc_end49-_ZL15flash_attn_tileILi128ELi128ELi1ELi2ELb0EEvPKcS1_S1_S1_S1_PKiPfP15HIP_vector_typeIfLj2EEffffjfiS5_IjLj3EEiiiiiiiiiiiliiliiiiil
                                        ; -- End function
	.set _ZL15flash_attn_tileILi128ELi128ELi1ELi2ELb0EEvPKcS1_S1_S1_S1_PKiPfP15HIP_vector_typeIfLj2EEffffjfiS5_IjLj3EEiiiiiiiiiiiliiliiiiil.num_vgpr, 80
	.set _ZL15flash_attn_tileILi128ELi128ELi1ELi2ELb0EEvPKcS1_S1_S1_S1_PKiPfP15HIP_vector_typeIfLj2EEffffjfiS5_IjLj3EEiiiiiiiiiiiliiliiiiil.num_agpr, 0
	.set _ZL15flash_attn_tileILi128ELi128ELi1ELi2ELb0EEvPKcS1_S1_S1_S1_PKiPfP15HIP_vector_typeIfLj2EEffffjfiS5_IjLj3EEiiiiiiiiiiiliiliiiiil.numbered_sgpr, 44
	.set _ZL15flash_attn_tileILi128ELi128ELi1ELi2ELb0EEvPKcS1_S1_S1_S1_PKiPfP15HIP_vector_typeIfLj2EEffffjfiS5_IjLj3EEiiiiiiiiiiiliiliiiiil.num_named_barrier, 0
	.set _ZL15flash_attn_tileILi128ELi128ELi1ELi2ELb0EEvPKcS1_S1_S1_S1_PKiPfP15HIP_vector_typeIfLj2EEffffjfiS5_IjLj3EEiiiiiiiiiiiliiliiiiil.private_seg_size, 0
	.set _ZL15flash_attn_tileILi128ELi128ELi1ELi2ELb0EEvPKcS1_S1_S1_S1_PKiPfP15HIP_vector_typeIfLj2EEffffjfiS5_IjLj3EEiiiiiiiiiiiliiliiiiil.uses_vcc, 1
	.set _ZL15flash_attn_tileILi128ELi128ELi1ELi2ELb0EEvPKcS1_S1_S1_S1_PKiPfP15HIP_vector_typeIfLj2EEffffjfiS5_IjLj3EEiiiiiiiiiiiliiliiiiil.uses_flat_scratch, 0
	.set _ZL15flash_attn_tileILi128ELi128ELi1ELi2ELb0EEvPKcS1_S1_S1_S1_PKiPfP15HIP_vector_typeIfLj2EEffffjfiS5_IjLj3EEiiiiiiiiiiiliiliiiiil.has_dyn_sized_stack, 0
	.set _ZL15flash_attn_tileILi128ELi128ELi1ELi2ELb0EEvPKcS1_S1_S1_S1_PKiPfP15HIP_vector_typeIfLj2EEffffjfiS5_IjLj3EEiiiiiiiiiiiliiliiiiil.has_recursion, 0
	.set _ZL15flash_attn_tileILi128ELi128ELi1ELi2ELb0EEvPKcS1_S1_S1_S1_PKiPfP15HIP_vector_typeIfLj2EEffffjfiS5_IjLj3EEiiiiiiiiiiiliiliiiiil.has_indirect_call, 0
	.section	.AMDGPU.csdata,"",@progbits
; Kernel info:
; codeLenInByte = 6024
; TotalNumSgprs: 48
; NumVgprs: 80
; ScratchSize: 0
; MemoryBound: 0
; FloatMode: 240
; IeeeMode: 1
; LDSByteSize: 19488 bytes/workgroup (compile time only)
; SGPRBlocks: 12
; VGPRBlocks: 19
; NumSGPRsForWavesPerEU: 102
; NumVGPRsForWavesPerEU: 80
; Occupancy: 3
; WaveLimiterHint : 1
; COMPUTE_PGM_RSRC2:SCRATCH_EN: 0
; COMPUTE_PGM_RSRC2:USER_SGPR: 6
; COMPUTE_PGM_RSRC2:TRAP_HANDLER: 0
; COMPUTE_PGM_RSRC2:TGID_X_EN: 1
; COMPUTE_PGM_RSRC2:TGID_Y_EN: 1
; COMPUTE_PGM_RSRC2:TGID_Z_EN: 1
; COMPUTE_PGM_RSRC2:TIDIG_COMP_CNT: 1
	.section	.text._ZL33flash_attn_stream_k_fixup_uniformILi128ELi1ELi2EEvPfPK15HIP_vector_typeIfLj2EEiiiiiiS1_IjLj3EES5_S5_,"axG",@progbits,_ZL33flash_attn_stream_k_fixup_uniformILi128ELi1ELi2EEvPfPK15HIP_vector_typeIfLj2EEiiiiiiS1_IjLj3EES5_S5_,comdat
	.globl	_ZL33flash_attn_stream_k_fixup_uniformILi128ELi1ELi2EEvPfPK15HIP_vector_typeIfLj2EEiiiiiiS1_IjLj3EES5_S5_ ; -- Begin function _ZL33flash_attn_stream_k_fixup_uniformILi128ELi1ELi2EEvPfPK15HIP_vector_typeIfLj2EEiiiiiiS1_IjLj3EES5_S5_
	.p2align	8
	.type	_ZL33flash_attn_stream_k_fixup_uniformILi128ELi1ELi2EEvPfPK15HIP_vector_typeIfLj2EEiiiiiiS1_IjLj3EES5_S5_,@function
_ZL33flash_attn_stream_k_fixup_uniformILi128ELi1ELi2EEvPfPK15HIP_vector_typeIfLj2EEiiiiiiS1_IjLj3EES5_S5_: ; @_ZL33flash_attn_stream_k_fixup_uniformILi128ELi1ELi2EEvPfPK15HIP_vector_typeIfLj2EEiiiiiiS1_IjLj3EES5_S5_
; %bb.0:
	s_load_dwordx8 s[12:19], s[4:5], 0x1c
	s_load_dwordx2 s[10:11], s[4:5], 0x10
	s_load_dwordx4 s[0:3], s[4:5], 0x3c
	s_waitcnt lgkmcnt(0)
	s_mul_hi_u32 s9, s15, s6
	s_add_i32 s9, s6, s9
	s_lshr_b32 s9, s9, s16
	s_mul_i32 s15, s9, s17
	s_sub_i32 s16, s6, s15
	s_mul_hi_u32 s15, s16, s18
	s_add_i32 s15, s16, s15
	s_lshr_b32 s15, s15, s19
	s_mul_i32 s0, s15, s0
	s_sub_i32 s0, s16, s0
	;; [unrolled: 5-line block ×3, first 2 shown]
	s_lshl_b32 s17, s1, 1
	s_add_i32 s16, s16, s7
	s_cmp_lt_i32 s16, s10
	s_cselect_b64 s[0:1], -1, 0
	s_add_i32 s17, s17, s8
	s_cmp_lt_i32 s17, s13
	s_cselect_b64 s[2:3], -1, 0
	s_and_b64 s[0:1], s[0:1], s[2:3]
	s_andn2_b64 vcc, exec, s[0:1]
	s_cbranch_vccnz .LBB50_6
; %bb.1:
	s_mul_i32 s9, s9, s10
	s_load_dwordx4 s[0:3], s[4:5], 0x0
	s_mul_i32 s15, s15, s13
	s_add_i32 s4, s16, s9
	s_mul_i32 s4, s4, s11
	s_add_i32 s5, s17, s15
	s_add_i32 s5, s5, s4
	v_lshl_or_b32 v1, s5, 7, v0
	v_ashrrev_i32_e32 v2, 31, v1
	v_lshlrev_b64 v[1:2], 2, v[1:2]
	s_waitcnt lgkmcnt(0)
	v_mov_b32_e32 v3, s1
	v_add_co_u32_e32 v1, vcc, s0, v1
	v_addc_co_u32_e32 v2, vcc, v3, v2, vcc
	global_load_dword v8, v[1:2], off
	s_mul_i32 s9, s14, s6
	s_add_i32 s4, s9, s14
	s_add_i32 s0, s7, s4
	s_lshl_b32 s0, s0, 1
	s_add_i32 s0, s0, s8
	s_add_i32 s0, s0, -2
	s_ashr_i32 s1, s0, 31
	s_lshl_b64 s[0:1], s[0:1], 3
	s_add_u32 s0, s2, s0
	s_addc_u32 s1, s3, s1
	s_load_dword s5, s[0:1], 0x4
	s_add_i32 s10, s4, -2
	s_cmp_lt_i32 s10, s9
	s_cbranch_scc1 .LBB50_4
; %bb.2:
	s_lshl_b32 s10, s12, 3
	s_ashr_i32 s11, s10, 31
	s_lshl_b64 s[10:11], s[10:11], 2
	s_add_u32 s10, s2, s10
	s_addc_u32 s13, s3, s11
	s_load_dword s0, s[0:1], 0x0
	s_add_i32 s6, s6, 1
	s_lshl_b32 s1, s8, 7
	s_add_i32 s12, s7, s12
	s_mul_i32 s6, s14, s6
	s_lshl_b32 s7, s7, 8
	s_add_i32 s12, s12, s4
	s_lshl_b32 s6, s6, 8
	s_add_i32 s1, s1, s7
	s_add_i32 s11, s4, -1
	s_lshl_b32 s4, s12, 1
	s_add_i32 s1, s1, s6
	s_add_i32 s4, s8, s4
	v_or_b32_e32 v0, s1, v0
	s_add_i32 s4, s4, -4
	v_add_u32_e32 v3, 0xfffffe00, v0
	s_waitcnt lgkmcnt(0)
	v_mov_b32_e32 v7, s5
	v_mov_b32_e32 v6, s0
	;; [unrolled: 1-line block ×3, first 2 shown]
	s_mov_b32 s6, 0x3fb8aa3b
	s_mov_b32 s7, 0xc2ce8ed0
	;; [unrolled: 1-line block ×3, first 2 shown]
	v_mov_b32_e32 v5, 0x7f800000
	s_mov_b32 s12, 0xc1a00000
.LBB50_3:                               ; =>This Inner Loop Header: Depth=1
	v_ashrrev_i32_e32 v4, 31, v3
	v_lshlrev_b64 v[9:10], 2, v[3:4]
	s_ashr_i32 s5, s4, 31
	v_add_co_u32_e32 v9, vcc, s10, v9
	v_addc_co_u32_e32 v10, vcc, v0, v10, vcc
	global_load_dword v4, v[9:10], off
	s_lshl_b64 s[0:1], s[4:5], 3
	s_add_u32 s0, s2, s0
	s_addc_u32 s1, s3, s1
	s_load_dwordx2 s[14:15], s[0:1], 0x0
	s_waitcnt vmcnt(1)
	v_mov_b32_e32 v9, v8
	v_max_f32_e32 v8, v6, v6
	v_mov_b32_e32 v10, v7
	s_add_i32 s11, s11, -1
	s_waitcnt lgkmcnt(0)
	v_max_f32_e64 v7, s14, s14
	v_max_f32_e32 v7, v8, v7
	v_sub_f32_e32 v11, s14, v7
	v_sub_f32_e32 v8, v6, v7
	v_mul_f32_e32 v12, 0x3fb8aa3b, v11
	v_mov_b32_e32 v6, v7
	v_mul_f32_e32 v7, 0x3fb8aa3b, v8
	v_fma_f32 v15, v11, s6, -v12
	v_rndne_f32_e32 v16, v12
	v_fma_f32 v13, v8, s6, -v7
	v_rndne_f32_e32 v14, v7
	v_fmac_f32_e32 v15, 0x32a5705f, v11
	v_sub_f32_e32 v12, v12, v16
	v_fmac_f32_e32 v13, 0x32a5705f, v8
	v_sub_f32_e32 v7, v7, v14
	v_add_f32_e32 v12, v12, v15
	v_cvt_i32_f32_e32 v16, v16
	v_add_f32_e32 v7, v7, v13
	v_exp_f32_e32 v12, v12
	v_cvt_i32_f32_e32 v14, v14
	v_exp_f32_e32 v7, v7
	v_cmp_ngt_f32_e32 vcc, s7, v11
	v_ldexp_f32 v12, v12, v16
	v_cmp_ngt_f32_e64 s[0:1], s7, v8
	v_ldexp_f32 v7, v7, v14
	v_cndmask_b32_e32 v12, 0, v12, vcc
	v_cmp_nlt_f32_e32 vcc, s8, v11
	v_cndmask_b32_e64 v7, 0, v7, s[0:1]
	v_cmp_nlt_f32_e64 s[0:1], s8, v8
	v_cndmask_b32_e32 v12, v5, v12, vcc
	v_cmp_le_f32_e32 vcc, s12, v11
	v_cndmask_b32_e64 v7, v5, v7, s[0:1]
	v_cmp_le_f32_e64 s[0:1], s12, v8
	v_cndmask_b32_e32 v8, 0, v12, vcc
	s_add_i32 s4, s4, -2
	v_cndmask_b32_e64 v11, 0, v7, s[0:1]
	v_mul_f32_e32 v7, s15, v8
	v_add_u32_e32 v3, 0xffffff00, v3
	s_cmp_le_i32 s11, s9
	v_fmac_f32_e32 v7, v10, v11
	s_waitcnt vmcnt(0)
	v_mul_f32_e32 v8, v4, v8
	v_fmac_f32_e32 v8, v9, v11
	s_cbranch_scc0 .LBB50_3
	s_branch .LBB50_5
.LBB50_4:
	s_waitcnt lgkmcnt(0)
	v_mov_b32_e32 v7, s5
.LBB50_5:
	s_waitcnt vmcnt(0)
	v_div_scale_f32 v0, s[0:1], v7, v7, v8
	v_div_scale_f32 v3, vcc, v8, v7, v8
	v_rcp_f32_e32 v4, v0
	v_fma_f32 v5, -v0, v4, 1.0
	v_fmac_f32_e32 v4, v5, v4
	v_mul_f32_e32 v5, v3, v4
	v_fma_f32 v6, -v0, v5, v3
	v_fmac_f32_e32 v5, v6, v4
	v_fma_f32 v0, -v0, v5, v3
	v_div_fmas_f32 v0, v0, v4, v5
	v_div_fixup_f32 v0, v0, v7, v8
	global_store_dword v[1:2], v0, off
.LBB50_6:
	s_endpgm
	.section	.rodata,"a",@progbits
	.p2align	6, 0x0
	.amdhsa_kernel _ZL33flash_attn_stream_k_fixup_uniformILi128ELi1ELi2EEvPfPK15HIP_vector_typeIfLj2EEiiiiiiS1_IjLj3EES5_S5_
		.amdhsa_group_segment_fixed_size 0
		.amdhsa_private_segment_fixed_size 0
		.amdhsa_kernarg_size 76
		.amdhsa_user_sgpr_count 6
		.amdhsa_user_sgpr_private_segment_buffer 1
		.amdhsa_user_sgpr_dispatch_ptr 0
		.amdhsa_user_sgpr_queue_ptr 0
		.amdhsa_user_sgpr_kernarg_segment_ptr 1
		.amdhsa_user_sgpr_dispatch_id 0
		.amdhsa_user_sgpr_flat_scratch_init 0
		.amdhsa_user_sgpr_private_segment_size 0
		.amdhsa_uses_dynamic_stack 0
		.amdhsa_system_sgpr_private_segment_wavefront_offset 0
		.amdhsa_system_sgpr_workgroup_id_x 1
		.amdhsa_system_sgpr_workgroup_id_y 1
		.amdhsa_system_sgpr_workgroup_id_z 1
		.amdhsa_system_sgpr_workgroup_info 0
		.amdhsa_system_vgpr_workitem_id 0
		.amdhsa_next_free_vgpr 17
		.amdhsa_next_free_sgpr 20
		.amdhsa_reserve_vcc 1
		.amdhsa_reserve_flat_scratch 0
		.amdhsa_float_round_mode_32 0
		.amdhsa_float_round_mode_16_64 0
		.amdhsa_float_denorm_mode_32 3
		.amdhsa_float_denorm_mode_16_64 3
		.amdhsa_dx10_clamp 1
		.amdhsa_ieee_mode 1
		.amdhsa_fp16_overflow 0
		.amdhsa_exception_fp_ieee_invalid_op 0
		.amdhsa_exception_fp_denorm_src 0
		.amdhsa_exception_fp_ieee_div_zero 0
		.amdhsa_exception_fp_ieee_overflow 0
		.amdhsa_exception_fp_ieee_underflow 0
		.amdhsa_exception_fp_ieee_inexact 0
		.amdhsa_exception_int_div_zero 0
	.end_amdhsa_kernel
	.section	.text._ZL33flash_attn_stream_k_fixup_uniformILi128ELi1ELi2EEvPfPK15HIP_vector_typeIfLj2EEiiiiiiS1_IjLj3EES5_S5_,"axG",@progbits,_ZL33flash_attn_stream_k_fixup_uniformILi128ELi1ELi2EEvPfPK15HIP_vector_typeIfLj2EEiiiiiiS1_IjLj3EES5_S5_,comdat
.Lfunc_end50:
	.size	_ZL33flash_attn_stream_k_fixup_uniformILi128ELi1ELi2EEvPfPK15HIP_vector_typeIfLj2EEiiiiiiS1_IjLj3EES5_S5_, .Lfunc_end50-_ZL33flash_attn_stream_k_fixup_uniformILi128ELi1ELi2EEvPfPK15HIP_vector_typeIfLj2EEiiiiiiS1_IjLj3EES5_S5_
                                        ; -- End function
	.set _ZL33flash_attn_stream_k_fixup_uniformILi128ELi1ELi2EEvPfPK15HIP_vector_typeIfLj2EEiiiiiiS1_IjLj3EES5_S5_.num_vgpr, 17
	.set _ZL33flash_attn_stream_k_fixup_uniformILi128ELi1ELi2EEvPfPK15HIP_vector_typeIfLj2EEiiiiiiS1_IjLj3EES5_S5_.num_agpr, 0
	.set _ZL33flash_attn_stream_k_fixup_uniformILi128ELi1ELi2EEvPfPK15HIP_vector_typeIfLj2EEiiiiiiS1_IjLj3EES5_S5_.numbered_sgpr, 20
	.set _ZL33flash_attn_stream_k_fixup_uniformILi128ELi1ELi2EEvPfPK15HIP_vector_typeIfLj2EEiiiiiiS1_IjLj3EES5_S5_.num_named_barrier, 0
	.set _ZL33flash_attn_stream_k_fixup_uniformILi128ELi1ELi2EEvPfPK15HIP_vector_typeIfLj2EEiiiiiiS1_IjLj3EES5_S5_.private_seg_size, 0
	.set _ZL33flash_attn_stream_k_fixup_uniformILi128ELi1ELi2EEvPfPK15HIP_vector_typeIfLj2EEiiiiiiS1_IjLj3EES5_S5_.uses_vcc, 1
	.set _ZL33flash_attn_stream_k_fixup_uniformILi128ELi1ELi2EEvPfPK15HIP_vector_typeIfLj2EEiiiiiiS1_IjLj3EES5_S5_.uses_flat_scratch, 0
	.set _ZL33flash_attn_stream_k_fixup_uniformILi128ELi1ELi2EEvPfPK15HIP_vector_typeIfLj2EEiiiiiiS1_IjLj3EES5_S5_.has_dyn_sized_stack, 0
	.set _ZL33flash_attn_stream_k_fixup_uniformILi128ELi1ELi2EEvPfPK15HIP_vector_typeIfLj2EEiiiiiiS1_IjLj3EES5_S5_.has_recursion, 0
	.set _ZL33flash_attn_stream_k_fixup_uniformILi128ELi1ELi2EEvPfPK15HIP_vector_typeIfLj2EEiiiiiiS1_IjLj3EES5_S5_.has_indirect_call, 0
	.section	.AMDGPU.csdata,"",@progbits
; Kernel info:
; codeLenInByte = 828
; TotalNumSgprs: 24
; NumVgprs: 17
; ScratchSize: 0
; MemoryBound: 0
; FloatMode: 240
; IeeeMode: 1
; LDSByteSize: 0 bytes/workgroup (compile time only)
; SGPRBlocks: 2
; VGPRBlocks: 4
; NumSGPRsForWavesPerEU: 24
; NumVGPRsForWavesPerEU: 17
; Occupancy: 10
; WaveLimiterHint : 0
; COMPUTE_PGM_RSRC2:SCRATCH_EN: 0
; COMPUTE_PGM_RSRC2:USER_SGPR: 6
; COMPUTE_PGM_RSRC2:TRAP_HANDLER: 0
; COMPUTE_PGM_RSRC2:TGID_X_EN: 1
; COMPUTE_PGM_RSRC2:TGID_Y_EN: 1
; COMPUTE_PGM_RSRC2:TGID_Z_EN: 1
; COMPUTE_PGM_RSRC2:TIDIG_COMP_CNT: 0
	.section	.text._ZL33flash_attn_stream_k_fixup_generalILi128ELi1ELi2EEvPfPK15HIP_vector_typeIfLj2EEiiiiS1_IjLj3EES5_S5_S5_,"axG",@progbits,_ZL33flash_attn_stream_k_fixup_generalILi128ELi1ELi2EEvPfPK15HIP_vector_typeIfLj2EEiiiiS1_IjLj3EES5_S5_S5_,comdat
	.globl	_ZL33flash_attn_stream_k_fixup_generalILi128ELi1ELi2EEvPfPK15HIP_vector_typeIfLj2EEiiiiS1_IjLj3EES5_S5_S5_ ; -- Begin function _ZL33flash_attn_stream_k_fixup_generalILi128ELi1ELi2EEvPfPK15HIP_vector_typeIfLj2EEiiiiS1_IjLj3EES5_S5_S5_
	.p2align	8
	.type	_ZL33flash_attn_stream_k_fixup_generalILi128ELi1ELi2EEvPfPK15HIP_vector_typeIfLj2EEiiiiS1_IjLj3EES5_S5_S5_,@function
_ZL33flash_attn_stream_k_fixup_generalILi128ELi1ELi2EEvPfPK15HIP_vector_typeIfLj2EEiiiiS1_IjLj3EES5_S5_S5_: ; @_ZL33flash_attn_stream_k_fixup_generalILi128ELi1ELi2EEvPfPK15HIP_vector_typeIfLj2EEiiiiS1_IjLj3EES5_S5_S5_
; %bb.0:
	s_load_dwordx4 s[0:3], s[4:5], 0x10
	s_load_dword s9, s[4:5], 0x50
	s_mov_b32 s12, 0
	s_waitcnt lgkmcnt(0)
	s_mul_hi_i32 s13, s3, s6
	s_cmp_lg_u64 s[12:13], 0
	s_mul_i32 s18, s3, s6
	s_cbranch_scc0 .LBB51_20
; %bb.1:
	s_add_u32 s10, s9, 0
	s_addc_u32 s11, 0, 0
	s_xor_b64 s[10:11], s[10:11], 0
	v_cvt_f32_u32_e32 v1, s10
	v_cvt_f32_u32_e32 v2, s11
	s_sub_u32 s12, 0, s10
	s_subb_u32 s19, 0, s11
	v_madmk_f32 v1, v2, 0x4f800000, v1
	v_rcp_f32_e32 v1, v1
	v_mul_f32_e32 v1, 0x5f7ffffc, v1
	v_mul_f32_e32 v2, 0x2f800000, v1
	v_trunc_f32_e32 v2, v2
	v_madmk_f32 v1, v2, 0xcf800000, v1
	v_cvt_u32_f32_e32 v2, v2
	v_cvt_u32_f32_e32 v1, v1
	v_readfirstlane_b32 s20, v2
	v_readfirstlane_b32 s14, v1
	s_mul_i32 s15, s12, s20
	s_mul_hi_u32 s22, s12, s14
	s_mul_i32 s21, s19, s14
	s_add_i32 s15, s22, s15
	s_add_i32 s15, s15, s21
	s_mul_i32 s23, s12, s14
	s_mul_i32 s22, s14, s15
	s_mul_hi_u32 s24, s14, s23
	s_mul_hi_u32 s21, s14, s15
	s_add_u32 s22, s24, s22
	s_addc_u32 s21, 0, s21
	s_mul_hi_u32 s25, s20, s23
	s_mul_i32 s23, s20, s23
	s_add_u32 s22, s22, s23
	s_mul_hi_u32 s24, s20, s15
	s_addc_u32 s21, s21, s25
	s_addc_u32 s22, s24, 0
	s_mul_i32 s15, s20, s15
	s_add_u32 s15, s21, s15
	s_addc_u32 s21, 0, s22
	s_add_u32 s22, s14, s15
	s_cselect_b64 s[14:15], -1, 0
	s_cmp_lg_u64 s[14:15], 0
	s_addc_u32 s20, s20, s21
	s_mul_i32 s14, s12, s20
	s_mul_hi_u32 s15, s12, s22
	s_add_i32 s14, s15, s14
	s_mul_i32 s19, s19, s22
	s_add_i32 s14, s14, s19
	s_mul_i32 s12, s12, s22
	s_mul_hi_u32 s19, s20, s12
	s_mul_i32 s21, s20, s12
	s_mul_i32 s24, s22, s14
	s_mul_hi_u32 s12, s22, s12
	s_mul_hi_u32 s23, s22, s14
	s_add_u32 s12, s12, s24
	s_addc_u32 s23, 0, s23
	s_add_u32 s12, s12, s21
	s_mul_hi_u32 s15, s20, s14
	s_addc_u32 s12, s23, s19
	s_addc_u32 s15, s15, 0
	s_mul_i32 s14, s20, s14
	s_add_u32 s12, s12, s14
	s_addc_u32 s19, 0, s15
	s_add_u32 s21, s22, s12
	s_cselect_b64 s[14:15], -1, 0
	s_cmp_lg_u64 s[14:15], 0
	s_addc_u32 s19, s20, s19
	s_ashr_i32 s14, s13, 31
	s_add_u32 s12, s18, s14
	s_mov_b32 s15, s14
	s_addc_u32 s13, s13, s14
	s_xor_b64 s[12:13], s[12:13], s[14:15]
	s_mul_i32 s22, s12, s19
	s_mul_hi_u32 s23, s12, s21
	s_mul_hi_u32 s20, s12, s19
	s_add_u32 s22, s23, s22
	s_addc_u32 s20, 0, s20
	s_mul_hi_u32 s24, s13, s21
	s_mul_i32 s21, s13, s21
	s_add_u32 s21, s22, s21
	s_mul_hi_u32 s23, s13, s19
	s_addc_u32 s20, s20, s24
	s_addc_u32 s21, s23, 0
	s_mul_i32 s19, s13, s19
	s_add_u32 s19, s20, s19
	s_addc_u32 s24, 0, s21
	s_mul_i32 s20, s10, s24
	s_mul_hi_u32 s21, s10, s19
	s_add_i32 s20, s21, s20
	s_mul_i32 s21, s11, s19
	s_add_i32 s25, s20, s21
	s_sub_i32 s22, s13, s25
	s_mul_i32 s20, s10, s19
	s_sub_u32 s12, s12, s20
	s_cselect_b64 s[20:21], -1, 0
	s_cmp_lg_u64 s[20:21], 0
	s_subb_u32 s26, s22, s11
	s_sub_u32 s27, s12, s10
	s_cselect_b64 s[22:23], -1, 0
	s_cmp_lg_u64 s[22:23], 0
	s_subb_u32 s22, s26, 0
	s_cmp_ge_u32 s22, s11
	s_cselect_b32 s23, -1, 0
	s_cmp_ge_u32 s27, s10
	s_cselect_b32 s26, -1, 0
	s_cmp_eq_u32 s22, s11
	s_cselect_b32 s22, s26, s23
	s_add_u32 s23, s19, 1
	s_addc_u32 s26, s24, 0
	s_add_u32 s27, s19, 2
	s_addc_u32 s28, s24, 0
	s_cmp_lg_u32 s22, 0
	s_cselect_b32 s22, s27, s23
	s_cselect_b32 s23, s28, s26
	s_cmp_lg_u64 s[20:21], 0
	s_subb_u32 s13, s13, s25
	s_cmp_ge_u32 s13, s11
	s_cselect_b32 s20, -1, 0
	s_cmp_ge_u32 s12, s10
	s_cselect_b32 s10, -1, 0
	s_cmp_eq_u32 s13, s11
	s_cselect_b32 s10, s10, s20
	s_cmp_lg_u32 s10, 0
	s_cselect_b32 s11, s23, s24
	s_cselect_b32 s10, s22, s19
	s_xor_b64 s[12:13], s[14:15], 0
	s_xor_b64 s[10:11], s[10:11], s[12:13]
	s_sub_u32 s10, s10, s12
	s_load_dwordx4 s[12:15], s[4:5], 0x44
	s_cbranch_execnz .LBB51_3
.LBB51_2:
	v_cvt_f32_u32_e32 v1, s9
	s_sub_i32 s10, 0, s9
	v_rcp_iflag_f32_e32 v1, v1
	v_mul_f32_e32 v1, 0x4f7ffffe, v1
	v_cvt_u32_f32_e32 v1, v1
	v_readfirstlane_b32 s11, v1
	s_mul_i32 s10, s10, s11
	s_mul_hi_u32 s10, s11, s10
	s_add_i32 s11, s11, s10
	s_mul_hi_u32 s10, s18, s11
	s_waitcnt lgkmcnt(0)
	s_mul_i32 s15, s10, s9
	s_sub_i32 s15, s18, s15
	s_add_i32 s11, s10, 1
	s_sub_i32 s16, s15, s9
	s_cmp_ge_u32 s15, s9
	s_cselect_b32 s10, s11, s10
	s_cselect_b32 s15, s16, s15
	s_add_i32 s11, s10, 1
	s_cmp_ge_u32 s15, s9
	s_cselect_b32 s10, s11, s10
.LBB51_3:
	s_add_i32 s11, s6, 1
	s_mul_hi_i32 s21, s3, s11
	s_mov_b32 s20, 0
	s_cmp_lg_u64 s[20:21], 0
	s_mul_i32 s11, s3, s11
	s_cbranch_scc0 .LBB51_21
; %bb.4:
	s_add_u32 s16, s9, 0
	s_addc_u32 s17, 0, 0
	s_xor_b64 s[18:19], s[16:17], 0
	v_cvt_f32_u32_e32 v1, s18
	v_cvt_f32_u32_e32 v2, s19
	s_waitcnt lgkmcnt(0)
	s_sub_u32 s15, 0, s18
	s_subb_u32 s20, 0, s19
	v_madmk_f32 v1, v2, 0x4f800000, v1
	v_rcp_f32_e32 v1, v1
	v_mul_f32_e32 v1, 0x5f7ffffc, v1
	v_mul_f32_e32 v2, 0x2f800000, v1
	v_trunc_f32_e32 v2, v2
	v_madmk_f32 v1, v2, 0xcf800000, v1
	v_cvt_u32_f32_e32 v2, v2
	v_cvt_u32_f32_e32 v1, v1
	v_readfirstlane_b32 s24, v2
	v_readfirstlane_b32 s22, v1
	s_mul_i32 s23, s15, s24
	s_mul_hi_u32 s26, s15, s22
	s_mul_i32 s25, s20, s22
	s_add_i32 s23, s26, s23
	s_add_i32 s23, s23, s25
	s_mul_i32 s27, s15, s22
	s_mul_i32 s26, s22, s23
	s_mul_hi_u32 s28, s22, s27
	s_mul_hi_u32 s25, s22, s23
	s_add_u32 s26, s28, s26
	s_addc_u32 s25, 0, s25
	s_mul_hi_u32 s29, s24, s27
	s_mul_i32 s27, s24, s27
	s_add_u32 s26, s26, s27
	s_mul_hi_u32 s28, s24, s23
	s_addc_u32 s25, s25, s29
	s_addc_u32 s26, s28, 0
	s_mul_i32 s23, s24, s23
	s_add_u32 s23, s25, s23
	s_addc_u32 s25, 0, s26
	s_add_u32 s26, s22, s23
	s_cselect_b64 s[22:23], -1, 0
	s_cmp_lg_u64 s[22:23], 0
	s_addc_u32 s24, s24, s25
	s_mul_i32 s22, s15, s24
	s_mul_hi_u32 s23, s15, s26
	s_add_i32 s22, s23, s22
	s_mul_i32 s20, s20, s26
	s_add_i32 s22, s22, s20
	s_mul_i32 s15, s15, s26
	s_mul_hi_u32 s23, s24, s15
	s_mul_i32 s25, s24, s15
	s_mul_i32 s28, s26, s22
	s_mul_hi_u32 s15, s26, s15
	s_mul_hi_u32 s27, s26, s22
	s_add_u32 s15, s15, s28
	s_addc_u32 s27, 0, s27
	s_add_u32 s15, s15, s25
	s_mul_hi_u32 s20, s24, s22
	s_addc_u32 s15, s27, s23
	s_addc_u32 s20, s20, 0
	s_mul_i32 s22, s24, s22
	s_add_u32 s15, s15, s22
	s_addc_u32 s20, 0, s20
	s_add_u32 s15, s26, s15
	s_cselect_b64 s[22:23], -1, 0
	s_cmp_lg_u64 s[22:23], 0
	s_addc_u32 s24, s24, s20
	s_ashr_i32 s22, s21, 31
	s_add_u32 s20, s11, s22
	s_mov_b32 s23, s22
	s_addc_u32 s21, s21, s22
	s_xor_b64 s[20:21], s[20:21], s[22:23]
	s_mul_i32 s26, s20, s24
	s_mul_hi_u32 s27, s20, s15
	s_mul_hi_u32 s25, s20, s24
	s_add_u32 s26, s27, s26
	s_addc_u32 s25, 0, s25
	s_mul_hi_u32 s28, s21, s15
	s_mul_i32 s15, s21, s15
	s_add_u32 s15, s26, s15
	s_mul_hi_u32 s27, s21, s24
	s_addc_u32 s15, s25, s28
	s_addc_u32 s25, s27, 0
	s_mul_i32 s24, s21, s24
	s_add_u32 s15, s15, s24
	s_addc_u32 s28, 0, s25
	s_mul_i32 s24, s18, s28
	s_mul_hi_u32 s25, s18, s15
	s_add_i32 s24, s25, s24
	s_mul_i32 s25, s19, s15
	s_add_i32 s29, s24, s25
	s_sub_i32 s26, s21, s29
	s_mul_i32 s24, s18, s15
	s_sub_u32 s20, s20, s24
	s_cselect_b64 s[24:25], -1, 0
	s_cmp_lg_u64 s[24:25], 0
	s_subb_u32 s30, s26, s19
	s_sub_u32 s31, s20, s18
	s_cselect_b64 s[26:27], -1, 0
	s_cmp_lg_u64 s[26:27], 0
	s_subb_u32 s26, s30, 0
	s_cmp_ge_u32 s26, s19
	s_cselect_b32 s27, -1, 0
	s_cmp_ge_u32 s31, s18
	s_cselect_b32 s30, -1, 0
	s_cmp_eq_u32 s26, s19
	s_cselect_b32 s26, s30, s27
	s_add_u32 s27, s15, 1
	s_addc_u32 s30, s28, 0
	s_add_u32 s31, s15, 2
	s_addc_u32 s33, s28, 0
	s_cmp_lg_u32 s26, 0
	s_cselect_b32 s26, s31, s27
	s_cselect_b32 s27, s33, s30
	s_cmp_lg_u64 s[24:25], 0
	s_subb_u32 s21, s21, s29
	s_cmp_ge_u32 s21, s19
	s_cselect_b32 s24, -1, 0
	s_cmp_ge_u32 s20, s18
	s_cselect_b32 s18, -1, 0
	s_cmp_eq_u32 s21, s19
	s_cselect_b32 s18, s18, s24
	s_cmp_lg_u32 s18, 0
	s_cselect_b32 s19, s27, s28
	s_cselect_b32 s18, s26, s15
	s_xor_b64 s[20:21], s[22:23], 0
	s_xor_b64 s[18:19], s[18:19], s[20:21]
	s_sub_u32 s18, s18, s20
	s_cbranch_execnz .LBB51_6
.LBB51_5:
	v_cvt_f32_u32_e32 v1, s9
	s_waitcnt lgkmcnt(0)
	s_sub_i32 s15, 0, s9
	v_rcp_iflag_f32_e32 v1, v1
	v_mul_f32_e32 v1, 0x4f7ffffe, v1
	v_cvt_u32_f32_e32 v1, v1
	v_readfirstlane_b32 s16, v1
	s_mul_i32 s15, s15, s16
	s_mul_hi_u32 s15, s16, s15
	s_add_i32 s16, s16, s15
	s_mul_hi_u32 s15, s11, s16
	s_mul_i32 s17, s15, s9
	s_sub_i32 s11, s11, s17
	s_add_i32 s16, s15, 1
	s_sub_i32 s17, s11, s9
	s_cmp_ge_u32 s11, s9
	s_cselect_b32 s15, s16, s15
	s_cselect_b32 s11, s17, s11
	s_add_i32 s16, s15, 1
	s_cmp_ge_u32 s11, s9
	s_cselect_b32 s18, s16, s15
.LBB51_6:
	s_cmp_eq_u32 s10, s18
	s_waitcnt lgkmcnt(0)
	s_mul_hi_u32 s11, s10, s12
	s_cselect_b64 s[16:17], -1, 0
	s_add_i32 s11, s11, s10
	s_lshr_b32 s11, s11, s13
	s_mul_i32 s15, s11, s14
	s_cmp_eq_u32 s15, s10
	s_mul_hi_u32 s15, s18, s12
	s_cselect_b64 s[20:21], -1, 0
	s_add_i32 s15, s15, s18
	s_lshr_b32 s15, s15, s13
	s_cmp_eq_u32 s11, s15
	s_mul_i32 s15, s15, s14
	s_cselect_b64 s[22:23], -1, 0
	s_cmp_lg_u32 s15, s18
	s_cselect_b64 s[18:19], -1, 0
	s_and_b64 s[18:19], s[22:23], s[18:19]
	s_or_b64 s[16:17], s[16:17], s[20:21]
	s_or_b64 s[16:17], s[16:17], s[18:19]
	s_and_b64 vcc, exec, s[16:17]
	s_cbranch_vccnz .LBB51_23
; %bb.7:
	s_load_dwordx8 s[20:27], s[4:5], 0x20
	s_load_dword s15, s[4:5], 0x40
	s_waitcnt lgkmcnt(0)
	s_mul_hi_u32 s16, s10, s20
	s_add_i32 s16, s16, s10
	s_lshr_b32 s20, s16, s21
	s_mul_i32 s16, s20, s22
	s_sub_i32 s16, s10, s16
	s_mul_hi_u32 s17, s16, s23
	s_add_i32 s17, s16, s17
	s_lshr_b32 s21, s17, s24
	s_mul_i32 s17, s21, s25
	s_sub_i32 s16, s16, s17
	;; [unrolled: 5-line block ×3, first 2 shown]
	s_mul_hi_u32 s16, s15, s12
	s_add_i32 s15, s15, s16
	s_lshr_b32 s23, s15, s13
	s_lshl_b32 s24, s17, 1
	s_add_i32 s23, s23, s7
	s_cmp_lt_i32 s23, s0
	s_cselect_b64 s[16:17], -1, 0
	s_add_i32 s24, s24, s8
	s_cmp_lt_i32 s24, s2
	s_cselect_b64 s[18:19], -1, 0
	s_and_b64 s[16:17], s[16:17], s[18:19]
	s_andn2_b64 vcc, exec, s[16:17]
	s_cbranch_vccnz .LBB51_23
; %bb.8:
	s_load_dwordx4 s[16:19], s[4:5], 0x0
	s_mov_b32 s4, 0
	s_lshl_b32 s26, s9, 3
	s_mov_b32 s27, s4
	s_lshl_b64 s[26:27], s[26:27], 2
	s_waitcnt lgkmcnt(0)
	s_add_u32 s15, s18, s26
	s_mul_i32 s20, s20, s0
	s_addc_u32 s22, s19, s27
	s_mul_i32 s21, s21, s2
	s_add_i32 s0, s23, s20
	s_mul_i32 s0, s0, s1
	s_add_i32 s1, s24, s21
	s_add_i32 s1, s1, s0
	v_lshl_or_b32 v1, s1, 7, v0
	v_ashrrev_i32_e32 v2, 31, v1
	v_lshlrev_b64 v[1:2], 2, v[1:2]
	v_mov_b32_e32 v3, s17
	v_add_co_u32_e32 v1, vcc, s16, v1
	v_addc_co_u32_e32 v2, vcc, v3, v2, vcc
	global_load_dword v3, v[1:2], off
	s_add_i32 s0, s7, s6
	v_cvt_f32_u32_e32 v4, s9
	s_lshl_b32 s0, s0, 1
	s_add_i32 s0, s0, s8
	s_ashr_i32 s1, s0, 31
	s_lshl_b64 s[0:1], s[0:1], 3
	v_rcp_iflag_f32_e32 v4, v4
	s_add_u32 s0, s18, s0
	s_addc_u32 s1, s19, s1
	s_load_dwordx2 s[0:1], s[0:1], 0x0
	v_mul_f32_e32 v4, 0x4f7ffffe, v4
	v_cvt_u32_f32_e32 v4, v4
	s_add_i32 s25, s6, -1
	v_lshl_or_b32 v0, s8, 7, v0
	s_waitcnt lgkmcnt(0)
	v_mov_b32_e32 v6, s1
	v_mov_b32_e32 v7, s0
	s_mov_b32 s2, 0x3fb8aa3b
	s_mov_b32 s6, 0xc2ce8ed0
	;; [unrolled: 1-line block ×4, first 2 shown]
	v_mov_b32_e32 v5, 0x7f800000
	s_mul_hi_i32 s5, s25, s3
	s_cmp_lg_u64 s[4:5], 0
	s_mul_i32 s20, s25, s3
	s_cbranch_scc0 .LBB51_19
.LBB51_9:
	s_add_u32 s0, s9, 0
	s_addc_u32 s1, 0, 0
	s_xor_b64 s[0:1], s[0:1], 0
	v_cvt_f32_u32_e32 v8, s0
	v_cvt_f32_u32_e32 v9, s1
	s_sub_u32 s21, 0, s0
	s_subb_u32 s26, 0, s1
	v_mac_f32_e32 v8, 0x4f800000, v9
	v_rcp_f32_e32 v8, v8
	v_mul_f32_e32 v8, 0x5f7ffffc, v8
	v_mul_f32_e32 v9, 0x2f800000, v8
	v_trunc_f32_e32 v9, v9
	v_mac_f32_e32 v8, 0xcf800000, v9
	v_cvt_u32_f32_e32 v9, v9
	v_cvt_u32_f32_e32 v8, v8
	v_readfirstlane_b32 s27, v9
	v_readfirstlane_b32 s16, v8
	s_mul_i32 s17, s21, s27
	s_mul_hi_u32 s29, s21, s16
	s_mul_i32 s28, s26, s16
	s_add_i32 s17, s29, s17
	s_mul_i32 s30, s21, s16
	s_add_i32 s17, s17, s28
	s_mul_i32 s29, s16, s17
	s_mul_hi_u32 s31, s16, s30
	s_mul_hi_u32 s28, s16, s17
	s_add_u32 s29, s31, s29
	s_addc_u32 s28, 0, s28
	s_mul_hi_u32 s33, s27, s30
	s_mul_i32 s30, s27, s30
	s_add_u32 s29, s29, s30
	s_mul_hi_u32 s31, s27, s17
	s_addc_u32 s28, s28, s33
	s_addc_u32 s29, s31, 0
	s_mul_i32 s17, s27, s17
	s_add_u32 s17, s28, s17
	s_addc_u32 s28, 0, s29
	s_add_u32 s29, s16, s17
	s_cselect_b64 s[16:17], -1, 0
	s_cmp_lg_u64 s[16:17], 0
	s_addc_u32 s27, s27, s28
	s_mul_i32 s16, s21, s27
	s_mul_hi_u32 s17, s21, s29
	s_add_i32 s16, s17, s16
	s_mul_i32 s26, s26, s29
	s_add_i32 s16, s16, s26
	s_mul_i32 s21, s21, s29
	s_mul_hi_u32 s26, s27, s21
	s_mul_i32 s28, s27, s21
	s_mul_i32 s31, s29, s16
	s_mul_hi_u32 s21, s29, s21
	s_mul_hi_u32 s30, s29, s16
	s_add_u32 s21, s21, s31
	s_addc_u32 s30, 0, s30
	s_add_u32 s21, s21, s28
	s_mul_hi_u32 s17, s27, s16
	s_addc_u32 s21, s30, s26
	s_addc_u32 s17, s17, 0
	s_mul_i32 s16, s27, s16
	s_add_u32 s16, s21, s16
	s_addc_u32 s21, 0, s17
	s_add_u32 s28, s29, s16
	s_cselect_b64 s[16:17], -1, 0
	s_cmp_lg_u64 s[16:17], 0
	s_addc_u32 s21, s27, s21
	s_ashr_i32 s16, s5, 31
	s_add_u32 s26, s20, s16
	s_mov_b32 s17, s16
	s_addc_u32 s27, s5, s16
	s_xor_b64 s[26:27], s[26:27], s[16:17]
	s_mul_i32 s29, s26, s21
	s_mul_hi_u32 s30, s26, s28
	s_mul_hi_u32 s5, s26, s21
	s_add_u32 s29, s30, s29
	s_addc_u32 s5, 0, s5
	s_mul_hi_u32 s31, s27, s28
	s_mul_i32 s28, s27, s28
	s_add_u32 s28, s29, s28
	s_mul_hi_u32 s30, s27, s21
	s_addc_u32 s5, s5, s31
	s_addc_u32 s28, s30, 0
	s_mul_i32 s21, s27, s21
	s_add_u32 s5, s5, s21
	s_addc_u32 s21, 0, s28
	s_mul_i32 s28, s0, s21
	s_mul_hi_u32 s29, s0, s5
	s_add_i32 s28, s29, s28
	s_mul_i32 s29, s1, s5
	s_add_i32 s33, s28, s29
	s_sub_i32 s30, s27, s33
	s_mul_i32 s28, s0, s5
	s_sub_u32 s26, s26, s28
	s_cselect_b64 s[28:29], -1, 0
	s_cmp_lg_u64 s[28:29], 0
	s_subb_u32 s34, s30, s1
	s_sub_u32 s35, s26, s0
	s_cselect_b64 s[30:31], -1, 0
	s_cmp_lg_u64 s[30:31], 0
	s_subb_u32 s30, s34, 0
	s_cmp_ge_u32 s30, s1
	s_cselect_b32 s31, -1, 0
	s_cmp_ge_u32 s35, s0
	s_cselect_b32 s34, -1, 0
	s_cmp_eq_u32 s30, s1
	s_cselect_b32 s30, s34, s31
	s_add_u32 s31, s5, 1
	s_addc_u32 s34, s21, 0
	s_add_u32 s35, s5, 2
	s_addc_u32 s36, s21, 0
	s_cmp_lg_u32 s30, 0
	s_cselect_b32 s30, s35, s31
	s_cselect_b32 s31, s36, s34
	s_cmp_lg_u64 s[28:29], 0
	s_subb_u32 s27, s27, s33
	s_cmp_ge_u32 s27, s1
	s_cselect_b32 s28, -1, 0
	s_cmp_ge_u32 s26, s0
	s_cselect_b32 s0, -1, 0
	s_cmp_eq_u32 s27, s1
	s_cselect_b32 s0, s0, s28
	s_cmp_lg_u32 s0, 0
	s_cselect_b32 s1, s31, s21
	s_cselect_b32 s0, s30, s5
	s_xor_b64 s[16:17], s[16:17], 0
	s_xor_b64 s[0:1], s[0:1], s[16:17]
	s_sub_u32 s16, s0, s16
	s_cbranch_execnz .LBB51_11
.LBB51_10:
	s_sub_i32 s0, 0, s9
	v_readfirstlane_b32 s1, v4
	s_mul_i32 s0, s0, s1
	s_mul_hi_u32 s0, s1, s0
	s_add_i32 s1, s1, s0
	s_mul_hi_u32 s0, s20, s1
	s_mul_i32 s5, s0, s9
	s_sub_i32 s5, s20, s5
	s_add_i32 s1, s0, 1
	s_sub_i32 s16, s5, s9
	s_cmp_ge_u32 s5, s9
	s_cselect_b32 s0, s1, s0
	s_cselect_b32 s5, s16, s5
	s_add_i32 s1, s0, 1
	s_cmp_ge_u32 s5, s9
	s_cselect_b32 s16, s1, s0
.LBB51_11:
	s_cmp_lg_u32 s10, s16
	s_mov_b64 s[20:21], -1
                                        ; implicit-def: $sgpr0_sgpr1
                                        ; implicit-def: $vgpr10
                                        ; implicit-def: $vgpr8
                                        ; implicit-def: $vgpr9
                                        ; implicit-def: $sgpr5
                                        ; implicit-def: $sgpr17
	s_cbranch_scc1 .LBB51_14
; %bb.12:
	s_andn2_b64 vcc, exec, s[20:21]
	s_cbranch_vccz .LBB51_17
.LBB51_13:
	s_andn2_b64 vcc, exec, s[0:1]
	s_cbranch_vccnz .LBB51_18
	s_branch .LBB51_22
.LBB51_14:
	s_add_i32 s26, s25, s7
	s_add_i32 s0, s26, s9
	s_lshl_b32 s0, s0, 1
	s_add_i32 s0, s0, s8
	s_mov_b32 s1, s4
	s_lshl_b64 s[0:1], s[0:1], 3
	s_add_u32 s20, s18, s0
	s_mul_hi_u32 s0, s16, s12
	s_addc_u32 s21, s19, s1
	s_add_i32 s0, s0, s16
	s_lshr_b32 s5, s0, s13
	s_mul_i32 s0, s5, s14
	s_cmp_eq_u32 s0, s16
	s_cselect_b64 s[0:1], -1, 0
	s_cmp_lt_u32 s5, s11
	s_cselect_b64 s[28:29], -1, 0
	s_or_b64 s[28:29], s[28:29], s[0:1]
	s_mov_b64 s[0:1], -1
	s_and_b64 vcc, exec, s[28:29]
	s_mov_b32 s5, s25
	s_mov_b32 s17, s10
	s_cbranch_vccnz .LBB51_16
; %bb.15:
	s_add_i32 s5, s25, -1
	s_mov_b64 s[0:1], 0
	s_mov_b32 s17, s16
.LBB51_16:
	v_lshl_add_u32 v8, s26, 8, v0
	v_ashrrev_i32_e32 v9, 31, v8
	v_lshlrev_b64 v[8:9], 2, v[8:9]
	v_mov_b32_e32 v10, s22
	v_add_co_u32_e32 v8, vcc, s15, v8
	v_addc_co_u32_e32 v9, vcc, v10, v9, vcc
	global_load_dword v10, v[8:9], off
	s_load_dwordx2 s[20:21], s[20:21], 0x0
	v_max_f32_e32 v8, v7, v7
	s_waitcnt lgkmcnt(0)
	v_max_f32_e64 v9, s20, s20
	v_max_f32_e32 v8, v8, v9
	v_sub_f32_e32 v9, v7, v8
	v_sub_f32_e32 v11, s20, v8
	v_mul_f32_e32 v12, 0x3fb8aa3b, v9
	v_mul_f32_e32 v13, 0x3fb8aa3b, v11
	v_fma_f32 v14, v9, s2, -v12
	v_rndne_f32_e32 v15, v12
	v_fma_f32 v16, v11, s2, -v13
	v_rndne_f32_e32 v17, v13
	v_fmac_f32_e32 v14, 0x32a5705f, v9
	v_sub_f32_e32 v12, v12, v15
	v_fmac_f32_e32 v16, 0x32a5705f, v11
	v_sub_f32_e32 v13, v13, v17
	v_add_f32_e32 v12, v12, v14
	v_cvt_i32_f32_e32 v15, v15
	v_add_f32_e32 v13, v13, v16
	v_exp_f32_e32 v12, v12
	v_cvt_i32_f32_e32 v17, v17
	v_exp_f32_e32 v13, v13
	v_cmp_ngt_f32_e32 vcc, s6, v9
	v_ldexp_f32 v12, v12, v15
	v_cndmask_b32_e32 v12, 0, v12, vcc
	v_ldexp_f32 v13, v13, v17
	v_cmp_ngt_f32_e32 vcc, s6, v11
	v_cndmask_b32_e32 v13, 0, v13, vcc
	v_cmp_nlt_f32_e32 vcc, s23, v9
	v_cndmask_b32_e32 v12, v5, v12, vcc
	v_cmp_nlt_f32_e32 vcc, s23, v11
	v_cndmask_b32_e32 v13, v5, v13, vcc
	v_cmp_le_f32_e32 vcc, s24, v9
	v_cndmask_b32_e32 v12, 0, v12, vcc
	v_cmp_le_f32_e32 vcc, s24, v11
	v_cndmask_b32_e32 v11, 0, v13, vcc
	v_mul_f32_e32 v9, s21, v11
	v_fmac_f32_e32 v9, v6, v12
	s_waitcnt vmcnt(0)
	v_mul_f32_e32 v10, v10, v11
	v_fmac_f32_e32 v10, v3, v12
	s_cbranch_execnz .LBB51_13
.LBB51_17:
	s_add_i32 s5, s25, -1
	s_mov_b32 s17, s10
	v_mov_b32_e32 v9, v6
	v_mov_b32_e32 v8, v7
	s_waitcnt vmcnt(0)
	v_mov_b32_e32 v10, v3
	s_cbranch_execz .LBB51_22
.LBB51_18:
	s_mov_b32 s10, s17
	s_mov_b32 s25, s5
	v_mov_b32_e32 v6, v9
	v_mov_b32_e32 v7, v8
	s_waitcnt vmcnt(0)
	v_mov_b32_e32 v3, v10
	s_mul_hi_i32 s5, s25, s3
	s_cmp_lg_u64 s[4:5], 0
	s_mul_i32 s20, s25, s3
	s_cbranch_scc1 .LBB51_9
.LBB51_19:
                                        ; implicit-def: $sgpr16_sgpr17
	s_branch .LBB51_10
.LBB51_20:
                                        ; implicit-def: $sgpr10_sgpr11
	s_load_dwordx4 s[12:15], s[4:5], 0x44
	s_branch .LBB51_2
.LBB51_21:
                                        ; implicit-def: $sgpr18_sgpr19
	s_branch .LBB51_5
.LBB51_22:
	v_div_scale_f32 v0, s[0:1], v9, v9, v10
	s_waitcnt vmcnt(0)
	v_div_scale_f32 v3, vcc, v10, v9, v10
	v_rcp_f32_e32 v4, v0
	v_fma_f32 v5, -v0, v4, 1.0
	v_fmac_f32_e32 v4, v5, v4
	v_mul_f32_e32 v5, v3, v4
	v_fma_f32 v6, -v0, v5, v3
	v_fmac_f32_e32 v5, v6, v4
	v_fma_f32 v0, -v0, v5, v3
	v_div_fmas_f32 v0, v0, v4, v5
	v_div_fixup_f32 v0, v0, v9, v10
	global_store_dword v[1:2], v0, off
.LBB51_23:
	s_endpgm
	.section	.rodata,"a",@progbits
	.p2align	6, 0x0
	.amdhsa_kernel _ZL33flash_attn_stream_k_fixup_generalILi128ELi1ELi2EEvPfPK15HIP_vector_typeIfLj2EEiiiiS1_IjLj3EES5_S5_S5_
		.amdhsa_group_segment_fixed_size 0
		.amdhsa_private_segment_fixed_size 0
		.amdhsa_kernarg_size 336
		.amdhsa_user_sgpr_count 6
		.amdhsa_user_sgpr_private_segment_buffer 1
		.amdhsa_user_sgpr_dispatch_ptr 0
		.amdhsa_user_sgpr_queue_ptr 0
		.amdhsa_user_sgpr_kernarg_segment_ptr 1
		.amdhsa_user_sgpr_dispatch_id 0
		.amdhsa_user_sgpr_flat_scratch_init 0
		.amdhsa_user_sgpr_private_segment_size 0
		.amdhsa_uses_dynamic_stack 0
		.amdhsa_system_sgpr_private_segment_wavefront_offset 0
		.amdhsa_system_sgpr_workgroup_id_x 1
		.amdhsa_system_sgpr_workgroup_id_y 1
		.amdhsa_system_sgpr_workgroup_id_z 1
		.amdhsa_system_sgpr_workgroup_info 0
		.amdhsa_system_vgpr_workitem_id 0
		.amdhsa_next_free_vgpr 18
		.amdhsa_next_free_sgpr 37
		.amdhsa_reserve_vcc 1
		.amdhsa_reserve_flat_scratch 0
		.amdhsa_float_round_mode_32 0
		.amdhsa_float_round_mode_16_64 0
		.amdhsa_float_denorm_mode_32 3
		.amdhsa_float_denorm_mode_16_64 3
		.amdhsa_dx10_clamp 1
		.amdhsa_ieee_mode 1
		.amdhsa_fp16_overflow 0
		.amdhsa_exception_fp_ieee_invalid_op 0
		.amdhsa_exception_fp_denorm_src 0
		.amdhsa_exception_fp_ieee_div_zero 0
		.amdhsa_exception_fp_ieee_overflow 0
		.amdhsa_exception_fp_ieee_underflow 0
		.amdhsa_exception_fp_ieee_inexact 0
		.amdhsa_exception_int_div_zero 0
	.end_amdhsa_kernel
	.section	.text._ZL33flash_attn_stream_k_fixup_generalILi128ELi1ELi2EEvPfPK15HIP_vector_typeIfLj2EEiiiiS1_IjLj3EES5_S5_S5_,"axG",@progbits,_ZL33flash_attn_stream_k_fixup_generalILi128ELi1ELi2EEvPfPK15HIP_vector_typeIfLj2EEiiiiS1_IjLj3EES5_S5_S5_,comdat
.Lfunc_end51:
	.size	_ZL33flash_attn_stream_k_fixup_generalILi128ELi1ELi2EEvPfPK15HIP_vector_typeIfLj2EEiiiiS1_IjLj3EES5_S5_S5_, .Lfunc_end51-_ZL33flash_attn_stream_k_fixup_generalILi128ELi1ELi2EEvPfPK15HIP_vector_typeIfLj2EEiiiiS1_IjLj3EES5_S5_S5_
                                        ; -- End function
	.set _ZL33flash_attn_stream_k_fixup_generalILi128ELi1ELi2EEvPfPK15HIP_vector_typeIfLj2EEiiiiS1_IjLj3EES5_S5_S5_.num_vgpr, 18
	.set _ZL33flash_attn_stream_k_fixup_generalILi128ELi1ELi2EEvPfPK15HIP_vector_typeIfLj2EEiiiiS1_IjLj3EES5_S5_S5_.num_agpr, 0
	.set _ZL33flash_attn_stream_k_fixup_generalILi128ELi1ELi2EEvPfPK15HIP_vector_typeIfLj2EEiiiiS1_IjLj3EES5_S5_S5_.numbered_sgpr, 37
	.set _ZL33flash_attn_stream_k_fixup_generalILi128ELi1ELi2EEvPfPK15HIP_vector_typeIfLj2EEiiiiS1_IjLj3EES5_S5_S5_.num_named_barrier, 0
	.set _ZL33flash_attn_stream_k_fixup_generalILi128ELi1ELi2EEvPfPK15HIP_vector_typeIfLj2EEiiiiS1_IjLj3EES5_S5_S5_.private_seg_size, 0
	.set _ZL33flash_attn_stream_k_fixup_generalILi128ELi1ELi2EEvPfPK15HIP_vector_typeIfLj2EEiiiiS1_IjLj3EES5_S5_S5_.uses_vcc, 1
	.set _ZL33flash_attn_stream_k_fixup_generalILi128ELi1ELi2EEvPfPK15HIP_vector_typeIfLj2EEiiiiS1_IjLj3EES5_S5_S5_.uses_flat_scratch, 0
	.set _ZL33flash_attn_stream_k_fixup_generalILi128ELi1ELi2EEvPfPK15HIP_vector_typeIfLj2EEiiiiS1_IjLj3EES5_S5_S5_.has_dyn_sized_stack, 0
	.set _ZL33flash_attn_stream_k_fixup_generalILi128ELi1ELi2EEvPfPK15HIP_vector_typeIfLj2EEiiiiS1_IjLj3EES5_S5_S5_.has_recursion, 0
	.set _ZL33flash_attn_stream_k_fixup_generalILi128ELi1ELi2EEvPfPK15HIP_vector_typeIfLj2EEiiiiS1_IjLj3EES5_S5_S5_.has_indirect_call, 0
	.section	.AMDGPU.csdata,"",@progbits
; Kernel info:
; codeLenInByte = 2920
; TotalNumSgprs: 41
; NumVgprs: 18
; ScratchSize: 0
; MemoryBound: 0
; FloatMode: 240
; IeeeMode: 1
; LDSByteSize: 0 bytes/workgroup (compile time only)
; SGPRBlocks: 5
; VGPRBlocks: 4
; NumSGPRsForWavesPerEU: 41
; NumVGPRsForWavesPerEU: 18
; Occupancy: 10
; WaveLimiterHint : 0
; COMPUTE_PGM_RSRC2:SCRATCH_EN: 0
; COMPUTE_PGM_RSRC2:USER_SGPR: 6
; COMPUTE_PGM_RSRC2:TRAP_HANDLER: 0
; COMPUTE_PGM_RSRC2:TGID_X_EN: 1
; COMPUTE_PGM_RSRC2:TGID_Y_EN: 1
; COMPUTE_PGM_RSRC2:TGID_Z_EN: 1
; COMPUTE_PGM_RSRC2:TIDIG_COMP_CNT: 0
	.section	.text._ZL15flash_attn_tileILi128ELi128ELi64ELi1ELb0EEvPKcS1_S1_S1_S1_PKiPfP15HIP_vector_typeIfLj2EEffffjfiS5_IjLj3EEiiiiiiiiiiiliiliiiiil,"axG",@progbits,_ZL15flash_attn_tileILi128ELi128ELi64ELi1ELb0EEvPKcS1_S1_S1_S1_PKiPfP15HIP_vector_typeIfLj2EEffffjfiS5_IjLj3EEiiiiiiiiiiiliiliiiiil,comdat
	.globl	_ZL15flash_attn_tileILi128ELi128ELi64ELi1ELb0EEvPKcS1_S1_S1_S1_PKiPfP15HIP_vector_typeIfLj2EEffffjfiS5_IjLj3EEiiiiiiiiiiiliiliiiiil ; -- Begin function _ZL15flash_attn_tileILi128ELi128ELi64ELi1ELb0EEvPKcS1_S1_S1_S1_PKiPfP15HIP_vector_typeIfLj2EEffffjfiS5_IjLj3EEiiiiiiiiiiiliiliiiiil
	.p2align	8
	.type	_ZL15flash_attn_tileILi128ELi128ELi64ELi1ELb0EEvPKcS1_S1_S1_S1_PKiPfP15HIP_vector_typeIfLj2EEffffjfiS5_IjLj3EEiiiiiiiiiiiliiliiiiil,@function
_ZL15flash_attn_tileILi128ELi128ELi64ELi1ELb0EEvPKcS1_S1_S1_S1_PKiPfP15HIP_vector_typeIfLj2EEffffjfiS5_IjLj3EEiiiiiiiiiiiliiliiiiil: ; @_ZL15flash_attn_tileILi128ELi128ELi64ELi1ELb0EEvPKcS1_S1_S1_S1_PKiPfP15HIP_vector_typeIfLj2EEffffjfiS5_IjLj3EEiiiiiiiiiiiliiliiiiil
; %bb.0:
	s_load_dwordx4 s[28:31], s[4:5], 0x5c
	s_load_dwordx2 s[42:43], s[4:5], 0x80
	s_add_u32 flat_scratch_lo, s6, s11
	s_addc_u32 flat_scratch_hi, s7, 0
	s_add_u32 s0, s0, s11
	s_waitcnt lgkmcnt(0)
	v_cvt_f32_u32_e32 v2, s31
	s_addc_u32 s1, s1, 0
	s_sub_i32 s6, 0, s31
	s_load_dwordx2 s[44:45], s[4:5], 0xb8
	v_rcp_iflag_f32_e32 v2, v2
	s_mov_b64 s[40:41], 0
	v_mul_f32_e32 v2, 0x4f7ffffe, v2
	v_cvt_u32_f32_e32 v2, v2
	v_readfirstlane_b32 s7, v2
	s_mul_i32 s6, s6, s7
	s_mul_hi_u32 s6, s7, s6
	s_add_i32 s7, s7, s6
	s_mul_hi_u32 s6, s10, s7
	s_mul_i32 s7, s6, s31
	s_sub_i32 s7, s10, s7
	s_add_i32 s11, s6, 1
	s_sub_i32 s12, s7, s31
	s_cmp_ge_u32 s7, s31
	s_cselect_b32 s6, s11, s6
	s_cselect_b32 s7, s12, s7
	s_add_i32 s11, s6, 1
	s_cmp_ge_u32 s7, s31
	s_cselect_b32 s33, s11, s6
	s_abs_i32 s6, s43
	v_cvt_f32_u32_e32 v2, s6
	s_mul_i32 s12, s33, s31
	s_sub_i32 s13, 0, s6
	s_sub_i32 s34, s10, s12
	v_rcp_iflag_f32_e32 v2, v2
	s_abs_i32 s11, s31
	s_xor_b32 s7, s31, s43
	s_ashr_i32 s7, s7, 31
	v_mul_f32_e32 v2, 0x4f7ffffe, v2
	v_cvt_u32_f32_e32 v2, v2
	v_readfirstlane_b32 s10, v2
	s_mul_i32 s13, s13, s10
	s_mul_hi_u32 s12, s10, s13
	s_add_i32 s10, s10, s12
	s_mul_hi_u32 s10, s11, s10
	s_mul_i32 s12, s10, s6
	s_sub_i32 s11, s11, s12
	s_add_i32 s13, s10, 1
	s_sub_i32 s12, s11, s6
	s_cmp_ge_u32 s11, s6
	s_cselect_b32 s10, s13, s10
	s_cselect_b32 s11, s12, s11
	s_add_i32 s12, s10, 1
	s_cmp_ge_u32 s11, s6
	s_cselect_b32 s6, s12, s10
	s_xor_b32 s6, s6, s7
	s_sub_i32 s47, s6, s7
	s_abs_i32 s43, s47
	v_cvt_f32_u32_e32 v2, s43
	s_load_dwordx16 s[12:27], s[4:5], 0x0
	s_sub_i32 s6, 0, s43
	s_abs_i32 s46, s34
	v_rcp_iflag_f32_e32 v2, v2
	v_mul_f32_e32 v2, 0x4f7ffffe, v2
	v_cvt_u32_f32_e32 v2, v2
	v_readfirstlane_b32 s7, v2
	s_mul_i32 s6, s6, s7
	s_mul_hi_u32 s6, s7, s6
	s_add_i32 s6, s7, s6
	s_waitcnt lgkmcnt(0)
	s_cmp_eq_u64 s[18:19], 0
	s_cbranch_scc1 .LBB52_2
; %bb.1:
	s_abs_i32 s7, s44
	v_cvt_f32_u32_e32 v2, s7
	s_sub_i32 s37, 0, s7
	s_abs_i32 s36, s33
	s_ashr_i32 s35, s33, 31
	v_rcp_iflag_f32_e32 v2, v2
	s_load_dwordx2 s[10:11], s[4:5], 0xc8
	v_mul_f32_e32 v2, 0x4f7ffffe, v2
	v_cvt_u32_f32_e32 v2, v2
	v_readfirstlane_b32 s38, v2
	s_mul_i32 s37, s37, s38
	s_mul_hi_u32 s37, s38, s37
	s_add_i32 s38, s38, s37
	s_mul_hi_u32 s37, s36, s38
	s_mul_i32 s37, s37, s7
	s_sub_i32 s36, s36, s37
	s_sub_i32 s37, s36, s7
	s_cmp_ge_u32 s36, s7
	s_cselect_b32 s36, s37, s36
	s_sub_i32 s37, s36, s7
	s_cmp_ge_u32 s36, s7
	s_cselect_b32 s7, s37, s36
	s_xor_b32 s7, s7, s35
	s_sub_i32 s7, s7, s35
	s_ashr_i32 s35, s7, 31
	s_waitcnt lgkmcnt(0)
	s_mul_hi_u32 s36, s10, s7
	s_mul_i32 s35, s10, s35
	s_mul_i32 s11, s11, s7
	s_add_i32 s35, s36, s35
	s_add_i32 s35, s35, s11
	s_mul_i32 s7, s10, s7
	s_add_u32 s40, s18, s7
	s_addc_u32 s41, s19, s35
.LBB52_2:
	s_load_dwordx4 s[36:39], s[4:5], 0x40
	s_mul_hi_u32 s19, s46, s6
	s_load_dword s6, s[4:5], 0x50
	v_mov_b32_e32 v21, 1.0
	s_waitcnt lgkmcnt(0)
	v_cmp_le_f32_e64 s[10:11], s37, 0
	s_and_b64 vcc, exec, s[10:11]
	s_cbranch_vccnz .LBB52_4
; %bb.3:
	v_mov_b32_e32 v2, s6
	v_sub_co_u32_e32 v2, vcc, s34, v2
	v_mov_b32_e32 v3, s39
	v_mov_b32_e32 v4, s38
	s_add_i32 s6, s34, 1
	v_lshlrev_b32_e32 v2, 1, v2
	v_cndmask_b32_e32 v3, v3, v4, vcc
	v_or_b32_e32 v2, 1, v2
	v_mov_b32_e32 v4, s6
	v_cndmask_b32_e32 v2, v2, v4, vcc
	v_cvt_f32_i32_e32 v2, v2
	v_cmp_neq_f32_e32 vcc, 1.0, v3
	s_mov_b32 s6, 0x3f2aaaab
	s_movk_i32 s10, 0x204
	v_cndmask_b32_e32 v4, 1.0, v2, vcc
	v_cmp_neq_f32_e32 vcc, 0, v4
	v_cndmask_b32_e32 v5, 1.0, v3, vcc
	v_frexp_mant_f32_e64 v2, |v5|
	v_cmp_gt_f32_e32 vcc, s6, v2
	v_cndmask_b32_e64 v3, 1.0, 2.0, vcc
	v_mul_f32_e32 v2, v2, v3
	v_add_f32_e32 v3, 1.0, v2
	v_rcp_f32_e32 v6, v3
	v_add_f32_e32 v7, -1.0, v2
	v_add_f32_e32 v8, -1.0, v3
	v_sub_f32_e32 v2, v2, v8
	v_mul_f32_e32 v8, v7, v6
	v_mul_f32_e32 v9, v3, v8
	v_fma_f32 v3, v8, v3, -v9
	v_fmac_f32_e32 v3, v8, v2
	v_add_f32_e32 v2, v9, v3
	v_sub_f32_e32 v10, v7, v2
	v_sub_f32_e32 v9, v2, v9
	;; [unrolled: 1-line block ×5, first 2 shown]
	v_add_f32_e32 v2, v3, v2
	v_add_f32_e32 v2, v10, v2
	v_mul_f32_e32 v2, v6, v2
	v_add_f32_e32 v6, v8, v2
	v_sub_f32_e32 v3, v6, v8
	v_sub_f32_e32 v7, v2, v3
	v_mul_f32_e32 v2, v6, v6
	v_fma_f32 v3, v6, v6, -v2
	v_add_f32_e32 v8, v7, v7
	v_fmac_f32_e32 v3, v6, v8
	v_add_f32_e32 v8, v2, v3
	v_mov_b32_e32 v9, 0x3e91f4c4
	v_sub_f32_e32 v2, v8, v2
	v_fmac_f32_e32 v9, 0x3e76c4e1, v8
	v_mov_b32_e32 v10, 0x3ecccdef
	v_sub_f32_e32 v2, v3, v2
	v_mul_f32_e32 v3, v6, v8
	v_fmac_f32_e32 v10, v8, v9
	v_fma_f32 v9, v8, v6, -v3
	v_fmac_f32_e32 v9, v8, v7
	v_fmac_f32_e32 v9, v2, v6
	v_add_f32_e32 v11, v3, v9
	v_sub_f32_e32 v3, v11, v3
	v_sub_f32_e32 v9, v9, v3
	v_mul_f32_e32 v3, v8, v10
	v_fma_f32 v8, v8, v10, -v3
	v_fmac_f32_e32 v8, v2, v10
	v_add_f32_e32 v10, v3, v8
	v_sub_f32_e32 v2, v10, v3
	v_sub_f32_e32 v8, v8, v2
	v_cvt_f64_f32_e64 v[2:3], |v5|
	v_add_f32_e32 v12, 0x3f2aaaaa, v10
	v_add_f32_e32 v13, 0xbf2aaaaa, v12
	;; [unrolled: 1-line block ×3, first 2 shown]
	v_frexp_exp_i32_f64_e32 v2, v[2:3]
	v_sub_f32_e32 v10, v10, v13
	v_add_f32_e32 v3, v8, v10
	v_add_f32_e32 v8, v12, v3
	v_sub_f32_e32 v10, v12, v8
	v_add_f32_e32 v3, v3, v10
	v_mul_f32_e32 v10, v11, v8
	v_fma_f32 v12, v11, v8, -v10
	v_subbrev_co_u32_e32 v2, vcc, 0, v2, vcc
	v_cvt_f32_i32_e32 v2, v2
	v_fmac_f32_e32 v12, v11, v3
	s_mov_b32 s6, 0x3f317218
	v_fmac_f32_e32 v12, v9, v8
	v_mul_f32_e32 v3, 0x3f317218, v2
	v_fma_f32 v8, v2, s6, -v3
	v_fmac_f32_e32 v8, 0xb102e308, v2
	v_ldexp_f32 v2, v7, 1
	v_add_f32_e32 v7, v3, v8
	v_sub_f32_e32 v3, v7, v3
	v_ldexp_f32 v6, v6, 1
	v_sub_f32_e32 v3, v8, v3
	v_add_f32_e32 v8, v10, v12
	v_sub_f32_e32 v9, v8, v10
	v_add_f32_e32 v10, v6, v8
	v_sub_f32_e32 v9, v12, v9
	v_sub_f32_e32 v6, v10, v6
	;; [unrolled: 1-line block ×3, first 2 shown]
	v_add_f32_e32 v2, v2, v9
	v_add_f32_e32 v2, v2, v6
	;; [unrolled: 1-line block ×3, first 2 shown]
	v_sub_f32_e32 v8, v6, v10
	v_sub_f32_e32 v2, v2, v8
	v_add_f32_e32 v8, v7, v6
	v_sub_f32_e32 v9, v8, v7
	v_sub_f32_e32 v10, v8, v9
	;; [unrolled: 1-line block ×4, first 2 shown]
	v_add_f32_e32 v6, v6, v7
	v_add_f32_e32 v7, v3, v2
	v_sub_f32_e32 v9, v7, v3
	v_sub_f32_e32 v10, v7, v9
	;; [unrolled: 1-line block ×4, first 2 shown]
	v_add_f32_e32 v2, v2, v3
	v_add_f32_e32 v3, v7, v6
	;; [unrolled: 1-line block ×3, first 2 shown]
	v_sub_f32_e32 v7, v6, v8
	v_sub_f32_e32 v3, v3, v7
	v_add_f32_e32 v2, v2, v3
	v_add_f32_e32 v3, v6, v2
	v_sub_f32_e32 v6, v3, v6
	v_sub_f32_e32 v2, v2, v6
	v_mul_f32_e32 v6, v4, v3
	v_fma_f32 v3, v4, v3, -v6
	v_fmac_f32_e32 v3, v4, v2
	v_add_f32_e32 v2, v6, v3
	v_cmp_class_f32_e64 vcc, v6, s10
	v_sub_f32_e32 v7, v2, v6
	v_cndmask_b32_e32 v2, v2, v6, vcc
	s_mov_b32 s7, 0x42b17218
	v_mov_b32_e32 v6, 0x37000000
	v_cmp_eq_f32_e32 vcc, s7, v2
	v_cndmask_b32_e32 v6, 0, v6, vcc
	v_sub_f32_e32 v3, v3, v7
	v_sub_f32_e32 v7, v2, v6
	s_mov_b32 s11, 0x3fb8aa3b
	v_mul_f32_e32 v8, 0x3fb8aa3b, v7
	v_fma_f32 v9, v7, s11, -v8
	v_rndne_f32_e32 v10, v8
	v_fmac_f32_e32 v9, 0x32a5705f, v7
	v_sub_f32_e32 v8, v8, v10
	v_add_f32_e32 v8, v8, v9
	v_exp_f32_e32 v8, v8
	v_cvt_i32_f32_e32 v9, v10
	s_mov_b32 s6, 0x7f800000
	v_cmp_neq_f32_e64 vcc, |v2|, s6
	s_mov_b32 s6, 0xc2ce8ed0
	v_cndmask_b32_e32 v2, 0, v3, vcc
	v_ldexp_f32 v3, v8, v9
	v_cmp_ngt_f32_e32 vcc, s6, v7
	v_add_f32_e32 v2, v6, v2
	v_cndmask_b32_e32 v3, 0, v3, vcc
	v_mov_b32_e32 v6, 0x7f800000
	v_cmp_nlt_f32_e32 vcc, s7, v7
	v_cndmask_b32_e32 v3, v6, v3, vcc
	v_fma_f32 v2, v3, v2, v3
	v_cmp_class_f32_e64 vcc, v3, s10
	v_cndmask_b32_e32 v2, v2, v3, vcc
	v_trunc_f32_e32 v3, v4
	v_cmp_eq_f32_e32 vcc, v3, v4
	v_mul_f32_e32 v3, 0.5, v4
	v_trunc_f32_e32 v8, v3
	v_cmp_neq_f32_e64 s[6:7], v8, v3
	s_and_b64 s[6:7], vcc, s[6:7]
	v_cndmask_b32_e64 v3, 1.0, v5, s[6:7]
	s_brev_b32 s18, -2
	v_mov_b32_e32 v7, 0x7fc00000
	v_bfi_b32 v2, s18, v2, v3
	v_cndmask_b32_e32 v3, v7, v2, vcc
	v_cmp_gt_f32_e32 vcc, 0, v5
	v_cndmask_b32_e32 v2, v2, v3, vcc
	v_cmp_class_f32_e64 s[38:39], v5, s10
	v_cmp_eq_f32_e32 vcc, 0, v5
	v_cmp_gt_f32_e64 s[10:11], 0, v4
	s_xor_b64 s[10:11], s[10:11], vcc
	v_cndmask_b32_e64 v3, v6, 0, s[10:11]
	v_cndmask_b32_e64 v4, 0, v5, s[6:7]
	v_bfi_b32 v3, s18, v3, v4
	s_or_b64 vcc, vcc, s[38:39]
	v_cndmask_b32_e32 v2, v2, v3, vcc
	v_cmp_o_f32_e32 vcc, v5, v5
	v_cndmask_b32_e32 v21, v7, v2, vcc
.LBB52_4:
	s_lshl_b32 s18, s8, 6
	v_lshlrev_b32_e32 v39, 3, v1
	s_load_dwordx4 s[48:51], s[4:5], 0x70
	v_add_u32_e32 v41, s18, v39
	v_mul_hi_u32 v2, v41, s28
	s_ashr_i32 s35, s34, 31
	s_ashr_i32 s10, s47, 31
	s_waitcnt lgkmcnt(0)
	s_mul_i32 s6, s33, s50
	v_add_u32_e32 v2, v41, v2
	s_ashr_i32 s7, s6, 31
	v_lshrrev_b32_e32 v2, s29, v2
	s_add_u32 s6, s12, s6
	s_mul_i32 s11, s34, s49
	v_mul_lo_u32 v2, v2, s30
	s_addc_u32 s7, s13, s7
	s_ashr_i32 s12, s11, 31
	s_add_u32 s11, s6, s11
	s_addc_u32 s37, s7, s12
	s_ashr_i32 s49, s48, 31
	s_lshr_b64 s[6:7], s[48:49], 2
	v_sub_u32_e32 v3, v41, v2
	v_mad_u64_u32 v[6:7], s[12:13], s6, v3, 0
	v_mov_b32_e32 v5, s37
	s_lshr_b32 s7, s49, 2
	v_mov_b32_e32 v4, v7
	v_mad_u64_u32 v[7:8], s[12:13], s7, v3, v[4:5]
	v_lshlrev_b32_e32 v2, 4, v0
	v_add_co_u32_e32 v4, vcc, s11, v2
	v_lshlrev_b64 v[6:7], 2, v[6:7]
	v_addc_co_u32_e32 v5, vcc, 0, v5, vcc
	v_add_co_u32_e32 v6, vcc, v4, v6
	v_addc_co_u32_e32 v7, vcc, v5, v7, vcc
	global_load_dwordx4 v[7:10], v[6:7], off
	v_or_b32_e32 v123, 1, v39
	v_or_b32_e32 v121, 2, v39
	;; [unrolled: 1-line block ×3, first 2 shown]
	v_add_u32_e32 v42, s18, v123
	v_add_u32_e32 v40, s18, v121
	;; [unrolled: 1-line block ×3, first 2 shown]
	v_mul_hi_u32 v11, v42, s28
	v_mul_hi_u32 v12, v40, s28
	;; [unrolled: 1-line block ×3, first 2 shown]
	v_or_b32_e32 v116, 4, v39
	v_add_u32_e32 v11, v42, v11
	v_add_u32_e32 v12, v40, v12
	;; [unrolled: 1-line block ×3, first 2 shown]
	v_lshrrev_b32_e32 v11, s29, v11
	v_lshrrev_b32_e32 v12, s29, v12
	v_add_u32_e32 v119, s18, v116
	v_lshrrev_b32_e32 v13, s29, v13
	v_mul_lo_u32 v11, v11, s30
	v_mul_lo_u32 v12, v12, s30
	v_mul_hi_u32 v14, v119, s28
	v_mul_lo_u32 v13, v13, s30
	v_sub_u32_e32 v19, v42, v11
	v_sub_u32_e32 v22, v40, v12
	v_add_u32_e32 v17, v119, v14
	v_sub_u32_e32 v24, v122, v13
	v_mad_u64_u32 v[11:12], s[12:13], s6, v19, 0
	v_mad_u64_u32 v[13:14], s[12:13], s6, v22, 0
	v_mad_u64_u32 v[15:16], s[12:13], s6, v24, 0
	v_mad_u64_u32 v[19:20], s[12:13], s7, v19, v[12:13]
	v_mad_u64_u32 v[22:23], s[12:13], s7, v22, v[14:15]
	v_mov_b32_e32 v12, v19
	v_lshrrev_b32_e32 v25, s29, v17
	v_mad_u64_u32 v[16:17], s[12:13], s7, v24, v[16:17]
	v_lshlrev_b64 v[11:12], 2, v[11:12]
	v_mov_b32_e32 v14, v22
	v_mul_lo_u32 v17, v25, s30
	v_lshlrev_b64 v[13:14], 2, v[13:14]
	v_add_co_u32_e32 v19, vcc, v4, v11
	v_addc_co_u32_e32 v20, vcc, v5, v12, vcc
	v_lshlrev_b64 v[15:16], 2, v[15:16]
	v_add_co_u32_e32 v26, vcc, v4, v13
	v_addc_co_u32_e32 v27, vcc, v5, v14, vcc
	v_or_b32_e32 v115, 5, v39
	v_add_u32_e32 v118, s18, v115
	global_load_dwordx4 v[11:14], v[19:20], off
	global_load_dwordx4 v[22:25], v[26:27], off
	v_mul_hi_u32 v19, v118, s28
	v_or_b32_e32 v114, 6, v39
	v_lshlrev_b32_e32 v18, 3, v0
	v_add_u32_e32 v38, s18, v114
	v_or_b32_e32 v112, 7, v39
	v_add_u32_e32 v113, s18, v112
	v_lshlrev_b32_e32 v49, 11, v1
	v_or_b32_e32 v6, v18, v49
	v_mov_b32_e32 v65, 0
	s_cmp_eq_u64 s[22:23], 0
	s_waitcnt vmcnt(2)
	v_fma_mixlo_f16 v7, s36, v7, 0
	v_fma_mixlo_f16 v8, s36, v8, 0
	v_lshlrev_b32_e32 v8, 16, v8
	v_and_b32_e32 v7, 0xffff, v7
	v_fma_mixlo_f16 v29, s36, v10, 0
	v_or_b32_e32 v30, v8, v7
	v_add_co_u32_e32 v7, vcc, v4, v15
	v_sub_u32_e32 v10, v119, v17
	v_addc_co_u32_e32 v8, vcc, v5, v16, vcc
	v_mad_u64_u32 v[15:16], s[12:13], s6, v10, 0
	v_fma_mixlo_f16 v28, s36, v9, 0
	v_mov_b32_e32 v9, v16
	v_mad_u64_u32 v[16:17], s[12:13], s7, v10, v[9:10]
	v_add_u32_e32 v9, v118, v19
	v_lshrrev_b32_e32 v9, s29, v9
	v_mul_lo_u32 v17, v9, s30
	v_lshlrev_b64 v[15:16], 2, v[15:16]
	global_load_dwordx4 v[7:10], v[7:8], off
	v_add_co_u32_e32 v15, vcc, v4, v15
	v_sub_u32_e32 v26, v118, v17
	v_mad_u64_u32 v[19:20], s[12:13], s6, v26, 0
	v_addc_co_u32_e32 v16, vcc, v5, v16, vcc
	v_mov_b32_e32 v17, v20
	v_mad_u64_u32 v[26:27], s[12:13], s7, v26, v[17:18]
	v_mul_hi_u32 v17, v38, s28
	global_load_dwordx4 v[43:46], v[15:16], off
	v_mov_b32_e32 v20, v26
	v_lshlrev_b64 v[15:16], 2, v[19:20]
	v_add_u32_e32 v17, v38, v17
	v_lshrrev_b32_e32 v17, s29, v17
	v_mul_lo_u32 v17, v17, s30
	v_add_co_u32_e32 v15, vcc, v4, v15
	v_addc_co_u32_e32 v16, vcc, v5, v16, vcc
	v_sub_u32_e32 v17, v38, v17
	global_load_dwordx4 v[50:53], v[15:16], off
	v_mad_u64_u32 v[15:16], s[12:13], s6, v17, 0
	v_mul_hi_u32 v19, v113, s28
	v_lshlrev_b32_e32 v26, 16, v29
	v_mad_u64_u32 v[16:17], s[12:13], s7, v17, v[16:17]
	v_add_u32_e32 v17, v113, v19
	v_lshrrev_b32_e32 v17, s29, v17
	v_mul_lo_u32 v17, v17, s30
	v_lshlrev_b64 v[15:16], 2, v[15:16]
	v_add_co_u32_e32 v15, vcc, v4, v15
	v_sub_u32_e32 v17, v113, v17
	v_mad_u64_u32 v[19:20], s[12:13], s6, v17, 0
	v_addc_co_u32_e32 v16, vcc, v5, v16, vcc
	global_load_dwordx4 v[54:57], v[15:16], off
	v_mov_b32_e32 v15, v20
	v_mad_u64_u32 v[15:16], s[6:7], s7, v17, v[15:16]
	v_and_b32_e32 v16, 0xffff, v28
	v_or3_b32 v17, v26, v16, 0
	v_mov_b32_e32 v20, v15
	v_lshlrev_b64 v[19:20], 2, v[19:20]
	v_or3_b32 v16, 0, 0, v30
	v_add_co_u32_e32 v4, vcc, v4, v19
	v_addc_co_u32_e32 v5, vcc, v5, v20, vcc
	global_load_dwordx4 v[58:61], v[4:5], off
	s_waitcnt vmcnt(6)
	v_fma_mixlo_f16 v4, s36, v11, 0
	v_fma_mixlo_f16 v5, s36, v12, 0
	v_lshlrev_b32_e32 v5, 16, v5
	v_and_b32_e32 v4, 0xffff, v4
	ds_write_b64 v6, v[16:17]
	v_or_b32_e32 v4, v5, v4
	v_fma_mixlo_f16 v5, s36, v13, 0
	v_fma_mixlo_f16 v6, s36, v14, 0
	v_lshlrev_b32_e32 v6, 16, v6
	v_and_b32_e32 v5, 0xffff, v5
	v_lshl_add_u32 v11, v123, 8, v18
	v_or3_b32 v5, v6, v5, 0
	v_or3_b32 v4, 0, 0, v4
	ds_write_b64 v11, v[4:5]
	s_waitcnt vmcnt(5)
	v_fma_mixlo_f16 v4, s36, v22, 0
	v_fma_mixlo_f16 v5, s36, v23, 0
	v_lshlrev_b32_e32 v5, 16, v5
	v_and_b32_e32 v4, 0xffff, v4
	v_or_b32_e32 v4, v5, v4
	v_fma_mixlo_f16 v5, s36, v24, 0
	v_fma_mixlo_f16 v6, s36, v25, 0
	v_lshlrev_b32_e32 v6, 16, v6
	v_and_b32_e32 v5, 0xffff, v5
	v_lshl_add_u32 v11, v121, 8, v18
	v_or3_b32 v5, v6, v5, 0
	v_or3_b32 v4, 0, 0, v4
	ds_write_b64 v11, v[4:5]
	s_waitcnt vmcnt(4)
	v_fma_mixlo_f16 v4, s36, v7, 0
	v_fma_mixlo_f16 v5, s36, v8, 0
	v_lshlrev_b32_e32 v5, 16, v5
	v_and_b32_e32 v4, 0xffff, v4
	;; [unrolled: 14-line block ×6, first 2 shown]
	v_or_b32_e32 v4, v5, v4
	v_fma_mixlo_f16 v5, s36, v60, 0
	v_fma_mixlo_f16 v6, s36, v61, 0
	v_lshlrev_b32_e32 v6, 16, v6
	v_and_b32_e32 v5, 0xffff, v5
	v_lshl_add_u32 v7, v112, 8, v18
	v_or3_b32 v5, v6, v5, 0
	v_or3_b32 v4, 0, 0, v4
	ds_write_b64 v7, v[4:5]
	s_waitcnt lgkmcnt(0)
	s_barrier
	s_cbranch_scc1 .LBB52_6
; %bb.5:
	s_load_dword s6, s[4:5], 0xd0
	s_mov_b32 s7, 0
	s_waitcnt lgkmcnt(0)
	s_mul_i32 s6, s6, s33
	s_add_i32 s6, s6, s8
	s_lshl_b64 s[6:7], s[6:7], 2
	s_add_u32 s6, s22, s6
	s_addc_u32 s7, s23, s7
	s_load_dword s42, s[6:7], 0x0
.LBB52_6:
	s_nop 0
	s_load_dwordx2 s[6:7], s[4:5], 0x8c
	s_load_dwordx4 s[36:39], s[4:5], 0x98
	s_ashr_i32 s22, s45, 1
	s_load_dwordx2 s[48:49], s[4:5], 0xa8
	v_mul_lo_u32 v55, v3, s22
	s_waitcnt lgkmcnt(0)
	s_ashr_i32 s12, s6, 2
	s_ashr_i32 s6, s33, 31
	s_mul_hi_u32 s11, s36, s33
	s_mul_i32 s13, s36, s6
	s_add_i32 s11, s11, s13
	s_mul_i32 s13, s37, s33
	s_ashr_i32 s8, s38, 2
	s_add_i32 s11, s11, s13
	s_mul_i32 s13, s36, s33
	s_add_u32 s13, s14, s13
	s_mul_i32 s14, s19, s43
	s_addc_u32 s11, s15, s11
	s_sub_i32 s14, s46, s14
	s_xor_b32 s10, s35, s10
	s_add_i32 s15, s19, 1
	s_sub_i32 s23, s14, s43
	s_cmp_ge_u32 s14, s43
	s_cselect_b32 s15, s15, s19
	s_cselect_b32 s14, s23, s14
	s_add_i32 s19, s15, 1
	s_cmp_ge_u32 s14, s43
	s_cselect_b32 s14, s19, s15
	s_xor_b32 s14, s14, s10
	s_sub_i32 s10, s14, s10
	s_mul_i32 s7, s10, s7
	s_ashr_i32 s14, s7, 31
	s_add_u32 s13, s13, s7
	s_mul_hi_u32 s7, s48, s33
	s_mul_i32 s6, s48, s6
	s_addc_u32 s14, s11, s14
	s_add_i32 s6, s7, s6
	s_mul_i32 s7, s49, s33
	s_add_i32 s6, s6, s7
	s_mul_i32 s7, s48, s33
	s_add_u32 s7, s16, s7
	s_mul_i32 s10, s10, s39
	s_addc_u32 s6, s17, s6
	s_ashr_i32 s11, s10, 31
	s_add_u32 s17, s7, s10
	v_lshlrev_b32_e32 v117, 2, v0
	s_addc_u32 s19, s6, s11
	s_lshl_b32 s16, s9, 6
	s_sub_i32 s15, s42, 64
	s_cmp_ge_i32 s16, s15
	v_lshrrev_b32_e32 v24, 2, v0
	v_and_b32_e32 v23, 12, v117
	v_or_b32_e32 v52, 1, v41
	v_or_b32_e32 v48, 2, v41
	;; [unrolled: 1-line block ×7, first 2 shown]
	v_lshrrev_b32_e32 v125, 4, v0
	v_and_b32_e32 v124, 60, v117
	v_mbcnt_lo_u32_b32 v22, -1, 0
	s_cbranch_scc1 .LBB52_43
; %bb.7:
	v_add_u32_e32 v3, v24, v39
	v_mul_u32_u24_e32 v4, 0x50, v3
	v_mul_lo_u32 v3, s12, v3
	v_lshlrev_b32_e32 v5, 2, v23
	s_movk_i32 s7, 0x6000
	v_add3_u32 v10, v4, v5, s7
	v_ashrrev_i32_e32 v4, 31, v3
	v_lshlrev_b64 v[3:4], 2, v[3:4]
	v_mov_b32_e32 v6, s14
	v_add_co_u32_e32 v3, vcc, s13, v3
	v_addc_co_u32_e32 v4, vcc, v6, v4, vcc
	v_mul_hi_u32 v6, s28, v52
	v_add_co_u32_e32 v11, vcc, v3, v5
	v_addc_co_u32_e32 v12, vcc, 0, v4, vcc
	v_mul_hi_u32 v4, s28, v48
	s_movk_i32 s6, 0x50
	v_mov_b32_e32 v3, 0x6000
	v_mad_u32_u24 v13, v0, s6, v3
	v_add_u32_e32 v3, v52, v6
	v_lshrrev_b32_e32 v3, s29, v3
	v_mul_lo_u32 v3, v3, s30
	v_add_u32_e32 v4, v48, v4
	v_lshrrev_b32_e32 v4, s29, v4
	v_mul_lo_u32 v4, v4, s30
	v_sub_u32_e32 v3, v52, v3
	v_mul_lo_u32 v14, v3, s22
	v_mul_hi_u32 v3, s28, v47
	v_sub_u32_e32 v4, v48, v4
	v_mul_lo_u32 v15, v4, s22
	v_mul_hi_u32 v4, s28, v8
	v_add_u32_e32 v3, v47, v3
	v_lshrrev_b32_e32 v3, s29, v3
	v_mul_lo_u32 v3, v3, s30
	v_add_u32_e32 v4, v8, v4
	v_lshrrev_b32_e32 v4, s29, v4
	v_mul_lo_u32 v4, v4, s30
	v_sub_u32_e32 v3, v47, v3
	v_mul_lo_u32 v16, v3, s22
	v_mul_hi_u32 v3, s28, v7
	v_sub_u32_e32 v4, v8, v4
	v_mul_hi_u32 v5, s28, v20
	v_mul_lo_u32 v17, v4, s22
	v_mul_hi_u32 v4, s28, v19
	v_add_u32_e32 v3, v7, v3
	v_lshrrev_b32_e32 v3, s29, v3
	v_add_u32_e32 v5, v20, v5
	v_mul_lo_u32 v3, v3, s30
	v_lshrrev_b32_e32 v5, s29, v5
	v_add_u32_e32 v4, v19, v4
	v_mul_lo_u32 v5, v5, s30
	v_lshrrev_b32_e32 v4, s29, v4
	v_mul_lo_u32 v4, v4, s30
	v_sub_u32_e32 v3, v7, v3
	v_mul_lo_u32 v75, v3, s22
	v_sub_u32_e32 v3, v20, v5
	;; [unrolled: 2-line block ×3, first 2 shown]
	v_mul_lo_u32 v77, v3, s22
	v_mov_b32_e32 v3, 0x4000
	v_lshl_add_u32 v4, v1, 1, v125
	v_lshl_add_u32 v78, v1, 10, v3
	v_mul_lo_u32 v3, s8, v4
	v_lshlrev_b32_e32 v5, 2, v124
	v_lshl_or_b32 v4, v4, 8, v5
	v_add_u32_e32 v79, 0x6000, v4
	v_ashrrev_i32_e32 v4, 31, v3
	v_lshlrev_b64 v[3:4], 2, v[3:4]
	s_cmp_lg_u64 s[40:41], 0
	v_mov_b32_e32 v6, s19
	v_add_co_u32_e32 v3, vcc, s17, v3
	s_cselect_b64 s[6:7], -1, 0
	v_addc_co_u32_e32 v4, vcc, v6, v4, vcc
	v_add_co_u32_e32 v80, vcc, v3, v5
	s_add_u32 s10, s4, 0xd0
	v_cndmask_b32_e64 v3, 0, 1, s[6:7]
	v_mov_b32_e32 v53, v113
	v_mov_b32_e32 v73, v23
	;; [unrolled: 1-line block ×4, first 2 shown]
	v_addc_co_u32_e32 v81, vcc, 0, v4, vcc
	v_or_b32_e32 v82, 0x6000, v18
	s_addc_u32 s11, s5, 0
	v_mov_b32_e32 v101, 0xfeffffff
	v_mov_b32_e32 v44, 0
	s_mov_b32 s23, 0x3fb8aa3b
	s_mov_b32 s36, 0xc2ce8ed0
	;; [unrolled: 1-line block ×4, first 2 shown]
	v_add_u32_e32 v83, v78, v2
	v_cmp_ne_u32_e64 s[6:7], 1, v3
	v_mbcnt_hi_u32_b32 v84, -1, v22
	v_mov_b32_e32 v85, 0x7f800000
	v_mov_b32_e32 v43, 0
	;; [unrolled: 1-line block ×30, first 2 shown]
	buffer_store_dword v122, off, s[0:3], 0 offset:16 ; 4-byte Folded Spill
	buffer_store_dword v119, off, s[0:3], 0 offset:20 ; 4-byte Folded Spill
	;; [unrolled: 1-line block ×3, first 2 shown]
.LBB52_8:                               ; =>This Inner Loop Header: Depth=1
	s_mul_hi_i32 s45, s16, s12
	s_mul_i32 s44, s16, s12
	s_lshl_b64 s[44:45], s[44:45], 2
	v_mov_b32_e32 v2, s45
	v_add_co_u32_e32 v6, vcc, s44, v11
	v_addc_co_u32_e32 v7, vcc, v12, v2, vcc
	global_load_dwordx4 v[2:5], v[6:7], off
	v_mov_b32_e32 v105, 0
	v_mov_b32_e32 v102, 0
	;; [unrolled: 1-line block ×16, first 2 shown]
	s_and_b64 vcc, exec, s[6:7]
	s_waitcnt vmcnt(0)
	ds_write_b128 v10, v[2:5]
	s_waitcnt lgkmcnt(0)
	s_barrier
	ds_read_b128 v[2:5], v13
	ds_read_b128 v[108:111], v13 offset:2560
	ds_read_b128 v[112:115], v49
	ds_read_b128 v[116:119], v49 offset:256
	ds_read_b128 v[120:123], v49 offset:512
	;; [unrolled: 1-line block ×7, first 2 shown]
	s_waitcnt lgkmcnt(7)
	;;#ASMSTART
	v_dot2_f32_f16 v105, v2, v112, v105
	;;#ASMEND
	;;#ASMSTART
	v_dot2_f32_f16 v105, v3, v113, v105
	;;#ASMEND
	;;#ASMSTART
	v_dot2_f32_f16 v105, v4, v114, v105
	;;#ASMEND
	;;#ASMSTART
	v_dot2_f32_f16 v105, v5, v115, v105
	;;#ASMEND
	s_waitcnt lgkmcnt(6)
	;;#ASMSTART
	v_dot2_f32_f16 v102, v2, v116, v102
	;;#ASMEND
	;;#ASMSTART
	v_dot2_f32_f16 v102, v3, v117, v102
	;;#ASMEND
	;;#ASMSTART
	v_dot2_f32_f16 v102, v4, v118, v102
	;;#ASMEND
	;;#ASMSTART
	v_dot2_f32_f16 v102, v5, v119, v102
	;;#ASMEND
	;; [unrolled: 13-line block ×8, first 2 shown]
	;;#ASMSTART
	v_dot2_f32_f16 v107, v108, v112, v107
	;;#ASMEND
	;;#ASMSTART
	v_dot2_f32_f16 v107, v109, v113, v107
	;;#ASMEND
	;; [unrolled: 3-line block ×32, first 2 shown]
	ds_read_b128 v[22:25], v13 offset:16
	ds_read_b128 v[2:5], v13 offset:2576
	;; [unrolled: 1-line block ×10, first 2 shown]
	s_waitcnt lgkmcnt(7)
	;;#ASMSTART
	v_dot2_f32_f16 v105, v22, v26, v105
	;;#ASMEND
	;;#ASMSTART
	v_dot2_f32_f16 v105, v23, v27, v105
	;;#ASMEND
	;;#ASMSTART
	v_dot2_f32_f16 v105, v24, v28, v105
	;;#ASMEND
	;;#ASMSTART
	v_dot2_f32_f16 v105, v25, v29, v105
	;;#ASMEND
	s_waitcnt lgkmcnt(6)
	;;#ASMSTART
	v_dot2_f32_f16 v102, v22, v30, v102
	;;#ASMEND
	;;#ASMSTART
	v_dot2_f32_f16 v102, v23, v31, v102
	;;#ASMEND
	;;#ASMSTART
	v_dot2_f32_f16 v102, v24, v32, v102
	;;#ASMEND
	;;#ASMSTART
	v_dot2_f32_f16 v102, v25, v33, v102
	;;#ASMEND
	;; [unrolled: 13-line block ×8, first 2 shown]
	;;#ASMSTART
	v_dot2_f32_f16 v107, v2, v26, v107
	;;#ASMEND
	;;#ASMSTART
	v_dot2_f32_f16 v107, v3, v27, v107
	;;#ASMEND
	;; [unrolled: 3-line block ×32, first 2 shown]
	ds_read_b128 v[22:25], v13 offset:32
	ds_read_b128 v[2:5], v13 offset:2592
	;; [unrolled: 1-line block ×10, first 2 shown]
	s_waitcnt lgkmcnt(7)
	;;#ASMSTART
	v_dot2_f32_f16 v105, v22, v26, v105
	;;#ASMEND
	;;#ASMSTART
	v_dot2_f32_f16 v105, v23, v27, v105
	;;#ASMEND
	;;#ASMSTART
	v_dot2_f32_f16 v105, v24, v28, v105
	;;#ASMEND
	;;#ASMSTART
	v_dot2_f32_f16 v105, v25, v29, v105
	;;#ASMEND
	s_waitcnt lgkmcnt(6)
	;;#ASMSTART
	v_dot2_f32_f16 v102, v22, v30, v102
	;;#ASMEND
	;;#ASMSTART
	v_dot2_f32_f16 v102, v23, v31, v102
	;;#ASMEND
	;;#ASMSTART
	v_dot2_f32_f16 v102, v24, v32, v102
	;;#ASMEND
	;;#ASMSTART
	v_dot2_f32_f16 v102, v25, v33, v102
	;;#ASMEND
	;; [unrolled: 13-line block ×8, first 2 shown]
	;;#ASMSTART
	v_dot2_f32_f16 v107, v2, v26, v107
	;;#ASMEND
	;;#ASMSTART
	v_dot2_f32_f16 v107, v3, v27, v107
	;;#ASMEND
	;; [unrolled: 3-line block ×32, first 2 shown]
	ds_read_b128 v[22:25], v13 offset:48
	ds_read_b128 v[2:5], v13 offset:2608
	;; [unrolled: 1-line block ×10, first 2 shown]
	s_waitcnt lgkmcnt(7)
	;;#ASMSTART
	v_dot2_f32_f16 v105, v22, v26, v105
	;;#ASMEND
	;;#ASMSTART
	v_dot2_f32_f16 v105, v23, v27, v105
	;;#ASMEND
	;;#ASMSTART
	v_dot2_f32_f16 v105, v24, v28, v105
	;;#ASMEND
	;;#ASMSTART
	v_dot2_f32_f16 v105, v25, v29, v105
	;;#ASMEND
	s_waitcnt lgkmcnt(6)
	;;#ASMSTART
	v_dot2_f32_f16 v102, v22, v30, v102
	;;#ASMEND
	;;#ASMSTART
	v_dot2_f32_f16 v102, v23, v31, v102
	;;#ASMEND
	;;#ASMSTART
	v_dot2_f32_f16 v102, v24, v32, v102
	;;#ASMEND
	;;#ASMSTART
	v_dot2_f32_f16 v102, v25, v33, v102
	;;#ASMEND
	;; [unrolled: 13-line block ×8, first 2 shown]
	;;#ASMSTART
	v_dot2_f32_f16 v107, v2, v26, v107
	;;#ASMEND
	;;#ASMSTART
	v_dot2_f32_f16 v107, v3, v27, v107
	;;#ASMEND
	;; [unrolled: 3-line block ×32, first 2 shown]
	s_barrier
	global_load_dwordx4 v[2:5], v[6:7], off offset:64
	s_waitcnt vmcnt(0)
	ds_write_b128 v10, v[2:5]
	s_waitcnt lgkmcnt(0)
	s_barrier
	ds_read_b128 v[22:25], v13
	ds_read_b128 v[2:5], v13 offset:2560
	ds_read_b128 v[26:29], v49 offset:64
	ds_read_b128 v[30:33], v49 offset:320
	ds_read_b128 v[34:37], v49 offset:576
	ds_read_b128 v[108:111], v49 offset:832
	ds_read_b128 v[112:115], v49 offset:1088
	ds_read_b128 v[116:119], v49 offset:1344
	ds_read_b128 v[120:123], v49 offset:1600
	ds_read_b128 v[124:127], v49 offset:1856
	s_waitcnt lgkmcnt(7)
	;;#ASMSTART
	v_dot2_f32_f16 v105, v22, v26, v105
	;;#ASMEND
	;;#ASMSTART
	v_dot2_f32_f16 v105, v23, v27, v105
	;;#ASMEND
	;;#ASMSTART
	v_dot2_f32_f16 v105, v24, v28, v105
	;;#ASMEND
	;;#ASMSTART
	v_dot2_f32_f16 v105, v25, v29, v105
	;;#ASMEND
	s_waitcnt lgkmcnt(6)
	;;#ASMSTART
	v_dot2_f32_f16 v102, v22, v30, v102
	;;#ASMEND
	;;#ASMSTART
	v_dot2_f32_f16 v102, v23, v31, v102
	;;#ASMEND
	;;#ASMSTART
	v_dot2_f32_f16 v102, v24, v32, v102
	;;#ASMEND
	;;#ASMSTART
	v_dot2_f32_f16 v102, v25, v33, v102
	;;#ASMEND
	;; [unrolled: 13-line block ×8, first 2 shown]
	;;#ASMSTART
	v_dot2_f32_f16 v107, v2, v26, v107
	;;#ASMEND
	;;#ASMSTART
	v_dot2_f32_f16 v107, v3, v27, v107
	;;#ASMEND
	;; [unrolled: 3-line block ×32, first 2 shown]
	ds_read_b128 v[22:25], v13 offset:16
	ds_read_b128 v[2:5], v13 offset:2576
	;; [unrolled: 1-line block ×10, first 2 shown]
	s_waitcnt lgkmcnt(7)
	;;#ASMSTART
	v_dot2_f32_f16 v105, v22, v26, v105
	;;#ASMEND
	;;#ASMSTART
	v_dot2_f32_f16 v105, v23, v27, v105
	;;#ASMEND
	;;#ASMSTART
	v_dot2_f32_f16 v105, v24, v28, v105
	;;#ASMEND
	;;#ASMSTART
	v_dot2_f32_f16 v105, v25, v29, v105
	;;#ASMEND
	s_waitcnt lgkmcnt(6)
	;;#ASMSTART
	v_dot2_f32_f16 v102, v22, v30, v102
	;;#ASMEND
	;;#ASMSTART
	v_dot2_f32_f16 v102, v23, v31, v102
	;;#ASMEND
	;;#ASMSTART
	v_dot2_f32_f16 v102, v24, v32, v102
	;;#ASMEND
	;;#ASMSTART
	v_dot2_f32_f16 v102, v25, v33, v102
	;;#ASMEND
	;; [unrolled: 13-line block ×8, first 2 shown]
	;;#ASMSTART
	v_dot2_f32_f16 v107, v2, v26, v107
	;;#ASMEND
	;;#ASMSTART
	v_dot2_f32_f16 v107, v3, v27, v107
	;;#ASMEND
	;; [unrolled: 3-line block ×32, first 2 shown]
	ds_read_b128 v[22:25], v13 offset:32
	ds_read_b128 v[2:5], v13 offset:2592
	;; [unrolled: 1-line block ×10, first 2 shown]
	s_waitcnt lgkmcnt(7)
	;;#ASMSTART
	v_dot2_f32_f16 v105, v22, v26, v105
	;;#ASMEND
	;;#ASMSTART
	v_dot2_f32_f16 v105, v23, v27, v105
	;;#ASMEND
	;;#ASMSTART
	v_dot2_f32_f16 v105, v24, v28, v105
	;;#ASMEND
	;;#ASMSTART
	v_dot2_f32_f16 v105, v25, v29, v105
	;;#ASMEND
	s_waitcnt lgkmcnt(6)
	;;#ASMSTART
	v_dot2_f32_f16 v102, v22, v30, v102
	;;#ASMEND
	;;#ASMSTART
	v_dot2_f32_f16 v102, v23, v31, v102
	;;#ASMEND
	;;#ASMSTART
	v_dot2_f32_f16 v102, v24, v32, v102
	;;#ASMEND
	;;#ASMSTART
	v_dot2_f32_f16 v102, v25, v33, v102
	;;#ASMEND
	;; [unrolled: 13-line block ×8, first 2 shown]
	;;#ASMSTART
	v_dot2_f32_f16 v107, v2, v26, v107
	;;#ASMEND
	;;#ASMSTART
	v_dot2_f32_f16 v107, v3, v27, v107
	;;#ASMEND
	;; [unrolled: 3-line block ×32, first 2 shown]
	ds_read_b128 v[22:25], v13 offset:48
	ds_read_b128 v[2:5], v13 offset:2608
	;; [unrolled: 1-line block ×10, first 2 shown]
	s_waitcnt lgkmcnt(7)
	;;#ASMSTART
	v_dot2_f32_f16 v105, v22, v26, v105
	;;#ASMEND
	;;#ASMSTART
	v_dot2_f32_f16 v105, v23, v27, v105
	;;#ASMEND
	;;#ASMSTART
	v_dot2_f32_f16 v105, v24, v28, v105
	;;#ASMEND
	;;#ASMSTART
	v_dot2_f32_f16 v105, v25, v29, v105
	;;#ASMEND
	s_waitcnt lgkmcnt(6)
	;;#ASMSTART
	v_dot2_f32_f16 v102, v22, v30, v102
	;;#ASMEND
	;;#ASMSTART
	v_dot2_f32_f16 v102, v23, v31, v102
	;;#ASMEND
	;;#ASMSTART
	v_dot2_f32_f16 v102, v24, v32, v102
	;;#ASMEND
	;;#ASMSTART
	v_dot2_f32_f16 v102, v25, v33, v102
	;;#ASMEND
	;; [unrolled: 13-line block ×8, first 2 shown]
	;;#ASMSTART
	v_dot2_f32_f16 v107, v2, v26, v107
	;;#ASMEND
	;;#ASMSTART
	v_dot2_f32_f16 v107, v3, v27, v107
	;;#ASMEND
	;;#ASMSTART
	v_dot2_f32_f16 v107, v4, v28, v107
	;;#ASMEND
	;;#ASMSTART
	v_dot2_f32_f16 v107, v5, v29, v107
	;;#ASMEND
	;;#ASMSTART
	v_dot2_f32_f16 v106, v2, v30, v106
	;;#ASMEND
	;;#ASMSTART
	v_dot2_f32_f16 v106, v3, v31, v106
	;;#ASMEND
	;;#ASMSTART
	v_dot2_f32_f16 v106, v4, v32, v106
	;;#ASMEND
	;;#ASMSTART
	v_dot2_f32_f16 v106, v5, v33, v106
	;;#ASMEND
	;;#ASMSTART
	v_dot2_f32_f16 v104, v2, v34, v104
	;;#ASMEND
	;;#ASMSTART
	v_dot2_f32_f16 v104, v3, v35, v104
	;;#ASMEND
	;;#ASMSTART
	v_dot2_f32_f16 v104, v4, v36, v104
	;;#ASMEND
	;;#ASMSTART
	v_dot2_f32_f16 v104, v5, v37, v104
	;;#ASMEND
	;;#ASMSTART
	v_dot2_f32_f16 v103, v2, v108, v103
	;;#ASMEND
	;;#ASMSTART
	v_dot2_f32_f16 v103, v3, v109, v103
	;;#ASMEND
	;;#ASMSTART
	v_dot2_f32_f16 v103, v4, v110, v103
	;;#ASMEND
	;;#ASMSTART
	v_dot2_f32_f16 v103, v5, v111, v103
	;;#ASMEND
	;;#ASMSTART
	v_dot2_f32_f16 v72, v2, v112, v72
	;;#ASMEND
	;;#ASMSTART
	v_dot2_f32_f16 v72, v3, v113, v72
	;;#ASMEND
	;;#ASMSTART
	v_dot2_f32_f16 v72, v4, v114, v72
	;;#ASMEND
	;;#ASMSTART
	v_dot2_f32_f16 v72, v5, v115, v72
	;;#ASMEND
	;;#ASMSTART
	v_dot2_f32_f16 v70, v2, v116, v70
	;;#ASMEND
	;;#ASMSTART
	v_dot2_f32_f16 v70, v3, v117, v70
	;;#ASMEND
	;;#ASMSTART
	v_dot2_f32_f16 v70, v4, v118, v70
	;;#ASMEND
	;;#ASMSTART
	v_dot2_f32_f16 v70, v5, v119, v70
	;;#ASMEND
	;;#ASMSTART
	v_dot2_f32_f16 v68, v2, v120, v68
	;;#ASMEND
	;;#ASMSTART
	v_dot2_f32_f16 v68, v3, v121, v68
	;;#ASMEND
	;;#ASMSTART
	v_dot2_f32_f16 v68, v4, v122, v68
	;;#ASMEND
	;;#ASMSTART
	v_dot2_f32_f16 v68, v5, v123, v68
	;;#ASMEND
	;;#ASMSTART
	v_dot2_f32_f16 v65, v2, v124, v65
	;;#ASMEND
	;;#ASMSTART
	v_dot2_f32_f16 v65, v3, v125, v65
	;;#ASMEND
	;;#ASMSTART
	v_dot2_f32_f16 v65, v4, v126, v65
	;;#ASMEND
	;;#ASMSTART
	v_dot2_f32_f16 v65, v5, v127, v65
	;;#ASMEND
	s_barrier
	global_load_dwordx4 v[2:5], v[6:7], off offset:128
	s_waitcnt vmcnt(0)
	ds_write_b128 v10, v[2:5]
	s_waitcnt lgkmcnt(0)
	s_barrier
	ds_read_b128 v[22:25], v13
	ds_read_b128 v[2:5], v13 offset:2560
	ds_read_b128 v[26:29], v49 offset:128
	ds_read_b128 v[30:33], v49 offset:384
	ds_read_b128 v[34:37], v49 offset:640
	ds_read_b128 v[108:111], v49 offset:896
	ds_read_b128 v[112:115], v49 offset:1152
	ds_read_b128 v[116:119], v49 offset:1408
	ds_read_b128 v[120:123], v49 offset:1664
	ds_read_b128 v[124:127], v49 offset:1920
	s_waitcnt lgkmcnt(7)
	;;#ASMSTART
	v_dot2_f32_f16 v105, v22, v26, v105
	;;#ASMEND
	;;#ASMSTART
	v_dot2_f32_f16 v105, v23, v27, v105
	;;#ASMEND
	;;#ASMSTART
	v_dot2_f32_f16 v105, v24, v28, v105
	;;#ASMEND
	;;#ASMSTART
	v_dot2_f32_f16 v105, v25, v29, v105
	;;#ASMEND
	s_waitcnt lgkmcnt(6)
	;;#ASMSTART
	v_dot2_f32_f16 v102, v22, v30, v102
	;;#ASMEND
	;;#ASMSTART
	v_dot2_f32_f16 v102, v23, v31, v102
	;;#ASMEND
	;;#ASMSTART
	v_dot2_f32_f16 v102, v24, v32, v102
	;;#ASMEND
	;;#ASMSTART
	v_dot2_f32_f16 v102, v25, v33, v102
	;;#ASMEND
	;; [unrolled: 13-line block ×8, first 2 shown]
	;;#ASMSTART
	v_dot2_f32_f16 v107, v2, v26, v107
	;;#ASMEND
	;;#ASMSTART
	v_dot2_f32_f16 v107, v3, v27, v107
	;;#ASMEND
	;; [unrolled: 3-line block ×32, first 2 shown]
	ds_read_b128 v[22:25], v13 offset:16
	ds_read_b128 v[2:5], v13 offset:2576
	;; [unrolled: 1-line block ×10, first 2 shown]
	s_waitcnt lgkmcnt(7)
	;;#ASMSTART
	v_dot2_f32_f16 v105, v22, v26, v105
	;;#ASMEND
	;;#ASMSTART
	v_dot2_f32_f16 v105, v23, v27, v105
	;;#ASMEND
	;;#ASMSTART
	v_dot2_f32_f16 v105, v24, v28, v105
	;;#ASMEND
	;;#ASMSTART
	v_dot2_f32_f16 v105, v25, v29, v105
	;;#ASMEND
	s_waitcnt lgkmcnt(6)
	;;#ASMSTART
	v_dot2_f32_f16 v102, v22, v30, v102
	;;#ASMEND
	;;#ASMSTART
	v_dot2_f32_f16 v102, v23, v31, v102
	;;#ASMEND
	;;#ASMSTART
	v_dot2_f32_f16 v102, v24, v32, v102
	;;#ASMEND
	;;#ASMSTART
	v_dot2_f32_f16 v102, v25, v33, v102
	;;#ASMEND
	;; [unrolled: 13-line block ×8, first 2 shown]
	;;#ASMSTART
	v_dot2_f32_f16 v107, v2, v26, v107
	;;#ASMEND
	;;#ASMSTART
	v_dot2_f32_f16 v107, v3, v27, v107
	;;#ASMEND
	;;#ASMSTART
	v_dot2_f32_f16 v107, v4, v28, v107
	;;#ASMEND
	;;#ASMSTART
	v_dot2_f32_f16 v107, v5, v29, v107
	;;#ASMEND
	;;#ASMSTART
	v_dot2_f32_f16 v106, v2, v30, v106
	;;#ASMEND
	;;#ASMSTART
	v_dot2_f32_f16 v106, v3, v31, v106
	;;#ASMEND
	;;#ASMSTART
	v_dot2_f32_f16 v106, v4, v32, v106
	;;#ASMEND
	;;#ASMSTART
	v_dot2_f32_f16 v106, v5, v33, v106
	;;#ASMEND
	;;#ASMSTART
	v_dot2_f32_f16 v104, v2, v34, v104
	;;#ASMEND
	;;#ASMSTART
	v_dot2_f32_f16 v104, v3, v35, v104
	;;#ASMEND
	;;#ASMSTART
	v_dot2_f32_f16 v104, v4, v36, v104
	;;#ASMEND
	;;#ASMSTART
	v_dot2_f32_f16 v104, v5, v37, v104
	;;#ASMEND
	;;#ASMSTART
	v_dot2_f32_f16 v103, v2, v108, v103
	;;#ASMEND
	;;#ASMSTART
	v_dot2_f32_f16 v103, v3, v109, v103
	;;#ASMEND
	;;#ASMSTART
	v_dot2_f32_f16 v103, v4, v110, v103
	;;#ASMEND
	;;#ASMSTART
	v_dot2_f32_f16 v103, v5, v111, v103
	;;#ASMEND
	;;#ASMSTART
	v_dot2_f32_f16 v72, v2, v112, v72
	;;#ASMEND
	;;#ASMSTART
	v_dot2_f32_f16 v72, v3, v113, v72
	;;#ASMEND
	;;#ASMSTART
	v_dot2_f32_f16 v72, v4, v114, v72
	;;#ASMEND
	;;#ASMSTART
	v_dot2_f32_f16 v72, v5, v115, v72
	;;#ASMEND
	;;#ASMSTART
	v_dot2_f32_f16 v70, v2, v116, v70
	;;#ASMEND
	;;#ASMSTART
	v_dot2_f32_f16 v70, v3, v117, v70
	;;#ASMEND
	;;#ASMSTART
	v_dot2_f32_f16 v70, v4, v118, v70
	;;#ASMEND
	;;#ASMSTART
	v_dot2_f32_f16 v70, v5, v119, v70
	;;#ASMEND
	;;#ASMSTART
	v_dot2_f32_f16 v68, v2, v120, v68
	;;#ASMEND
	;;#ASMSTART
	v_dot2_f32_f16 v68, v3, v121, v68
	;;#ASMEND
	;;#ASMSTART
	v_dot2_f32_f16 v68, v4, v122, v68
	;;#ASMEND
	;;#ASMSTART
	v_dot2_f32_f16 v68, v5, v123, v68
	;;#ASMEND
	;;#ASMSTART
	v_dot2_f32_f16 v65, v2, v124, v65
	;;#ASMEND
	;;#ASMSTART
	v_dot2_f32_f16 v65, v3, v125, v65
	;;#ASMEND
	;;#ASMSTART
	v_dot2_f32_f16 v65, v4, v126, v65
	;;#ASMEND
	;;#ASMSTART
	v_dot2_f32_f16 v65, v5, v127, v65
	;;#ASMEND
	ds_read_b128 v[22:25], v13 offset:32
	ds_read_b128 v[2:5], v13 offset:2592
	;; [unrolled: 1-line block ×10, first 2 shown]
	s_waitcnt lgkmcnt(7)
	;;#ASMSTART
	v_dot2_f32_f16 v105, v22, v26, v105
	;;#ASMEND
	;;#ASMSTART
	v_dot2_f32_f16 v105, v23, v27, v105
	;;#ASMEND
	;;#ASMSTART
	v_dot2_f32_f16 v105, v24, v28, v105
	;;#ASMEND
	;;#ASMSTART
	v_dot2_f32_f16 v105, v25, v29, v105
	;;#ASMEND
	s_waitcnt lgkmcnt(6)
	;;#ASMSTART
	v_dot2_f32_f16 v102, v22, v30, v102
	;;#ASMEND
	;;#ASMSTART
	v_dot2_f32_f16 v102, v23, v31, v102
	;;#ASMEND
	;;#ASMSTART
	v_dot2_f32_f16 v102, v24, v32, v102
	;;#ASMEND
	;;#ASMSTART
	v_dot2_f32_f16 v102, v25, v33, v102
	;;#ASMEND
	;; [unrolled: 13-line block ×8, first 2 shown]
	;;#ASMSTART
	v_dot2_f32_f16 v107, v2, v26, v107
	;;#ASMEND
	;;#ASMSTART
	v_dot2_f32_f16 v107, v3, v27, v107
	;;#ASMEND
	;; [unrolled: 3-line block ×32, first 2 shown]
	ds_read_b128 v[22:25], v13 offset:48
	ds_read_b128 v[2:5], v13 offset:2608
	;; [unrolled: 1-line block ×10, first 2 shown]
	s_waitcnt lgkmcnt(7)
	;;#ASMSTART
	v_dot2_f32_f16 v105, v22, v26, v105
	;;#ASMEND
	;;#ASMSTART
	v_dot2_f32_f16 v105, v23, v27, v105
	;;#ASMEND
	;;#ASMSTART
	v_dot2_f32_f16 v105, v24, v28, v105
	;;#ASMEND
	;;#ASMSTART
	v_dot2_f32_f16 v105, v25, v29, v105
	;;#ASMEND
	s_waitcnt lgkmcnt(6)
	;;#ASMSTART
	v_dot2_f32_f16 v102, v22, v30, v102
	;;#ASMEND
	;;#ASMSTART
	v_dot2_f32_f16 v102, v23, v31, v102
	;;#ASMEND
	;;#ASMSTART
	v_dot2_f32_f16 v102, v24, v32, v102
	;;#ASMEND
	;;#ASMSTART
	v_dot2_f32_f16 v102, v25, v33, v102
	;;#ASMEND
	;; [unrolled: 13-line block ×8, first 2 shown]
	;;#ASMSTART
	v_dot2_f32_f16 v107, v2, v26, v107
	;;#ASMEND
	;;#ASMSTART
	v_dot2_f32_f16 v107, v3, v27, v107
	;;#ASMEND
	;; [unrolled: 3-line block ×32, first 2 shown]
	s_barrier
	global_load_dwordx4 v[2:5], v[6:7], off offset:192
	v_add_u32_e32 v6, s16, v0
	s_waitcnt vmcnt(0)
	ds_write_b128 v10, v[2:5]
	s_waitcnt lgkmcnt(0)
	s_barrier
	ds_read_b128 v[22:25], v13
	ds_read_b128 v[2:5], v13 offset:2560
	ds_read_b128 v[26:29], v49 offset:192
	;; [unrolled: 1-line block ×9, first 2 shown]
	s_waitcnt lgkmcnt(7)
	;;#ASMSTART
	v_dot2_f32_f16 v105, v22, v26, v105
	;;#ASMEND
	;;#ASMSTART
	v_dot2_f32_f16 v105, v23, v27, v105
	;;#ASMEND
	;;#ASMSTART
	v_dot2_f32_f16 v105, v24, v28, v105
	;;#ASMEND
	;;#ASMSTART
	v_dot2_f32_f16 v105, v25, v29, v105
	;;#ASMEND
	s_waitcnt lgkmcnt(6)
	;;#ASMSTART
	v_dot2_f32_f16 v102, v22, v30, v102
	;;#ASMEND
	;;#ASMSTART
	v_dot2_f32_f16 v102, v23, v31, v102
	;;#ASMEND
	;;#ASMSTART
	v_dot2_f32_f16 v102, v24, v32, v102
	;;#ASMEND
	;;#ASMSTART
	v_dot2_f32_f16 v102, v25, v33, v102
	;;#ASMEND
	;; [unrolled: 13-line block ×8, first 2 shown]
	;;#ASMSTART
	v_dot2_f32_f16 v107, v2, v26, v107
	;;#ASMEND
	;;#ASMSTART
	v_dot2_f32_f16 v107, v3, v27, v107
	;;#ASMEND
	;; [unrolled: 3-line block ×32, first 2 shown]
	ds_read_b128 v[22:25], v13 offset:16
	ds_read_b128 v[2:5], v13 offset:2576
	;; [unrolled: 1-line block ×10, first 2 shown]
	s_waitcnt lgkmcnt(7)
	;;#ASMSTART
	v_dot2_f32_f16 v105, v22, v26, v105
	;;#ASMEND
	;;#ASMSTART
	v_dot2_f32_f16 v105, v23, v27, v105
	;;#ASMEND
	;;#ASMSTART
	v_dot2_f32_f16 v105, v24, v28, v105
	;;#ASMEND
	;;#ASMSTART
	v_dot2_f32_f16 v105, v25, v29, v105
	;;#ASMEND
	s_waitcnt lgkmcnt(6)
	;;#ASMSTART
	v_dot2_f32_f16 v102, v22, v30, v102
	;;#ASMEND
	;;#ASMSTART
	v_dot2_f32_f16 v102, v23, v31, v102
	;;#ASMEND
	;;#ASMSTART
	v_dot2_f32_f16 v102, v24, v32, v102
	;;#ASMEND
	;;#ASMSTART
	v_dot2_f32_f16 v102, v25, v33, v102
	;;#ASMEND
	;; [unrolled: 13-line block ×8, first 2 shown]
	;;#ASMSTART
	v_dot2_f32_f16 v107, v2, v26, v107
	;;#ASMEND
	;;#ASMSTART
	v_dot2_f32_f16 v107, v3, v27, v107
	;;#ASMEND
	;; [unrolled: 3-line block ×32, first 2 shown]
	ds_read_b128 v[22:25], v13 offset:32
	ds_read_b128 v[2:5], v13 offset:2592
	;; [unrolled: 1-line block ×10, first 2 shown]
	s_waitcnt lgkmcnt(7)
	;;#ASMSTART
	v_dot2_f32_f16 v105, v22, v26, v105
	;;#ASMEND
	;;#ASMSTART
	v_dot2_f32_f16 v105, v23, v27, v105
	;;#ASMEND
	;;#ASMSTART
	v_dot2_f32_f16 v105, v24, v28, v105
	;;#ASMEND
	;;#ASMSTART
	v_dot2_f32_f16 v105, v25, v29, v105
	;;#ASMEND
	s_waitcnt lgkmcnt(6)
	;;#ASMSTART
	v_dot2_f32_f16 v102, v22, v30, v102
	;;#ASMEND
	;;#ASMSTART
	v_dot2_f32_f16 v102, v23, v31, v102
	;;#ASMEND
	;;#ASMSTART
	v_dot2_f32_f16 v102, v24, v32, v102
	;;#ASMEND
	;;#ASMSTART
	v_dot2_f32_f16 v102, v25, v33, v102
	;;#ASMEND
	s_waitcnt lgkmcnt(5)
	;;#ASMSTART
	v_dot2_f32_f16 v71, v22, v34, v71
	;;#ASMEND
	;;#ASMSTART
	v_dot2_f32_f16 v71, v23, v35, v71
	;;#ASMEND
	;;#ASMSTART
	v_dot2_f32_f16 v71, v24, v36, v71
	;;#ASMEND
	;;#ASMSTART
	v_dot2_f32_f16 v71, v25, v37, v71
	;;#ASMEND
	s_waitcnt lgkmcnt(4)
	;;#ASMSTART
	v_dot2_f32_f16 v69, v22, v108, v69
	;;#ASMEND
	;;#ASMSTART
	v_dot2_f32_f16 v69, v23, v109, v69
	;;#ASMEND
	;;#ASMSTART
	v_dot2_f32_f16 v69, v24, v110, v69
	;;#ASMEND
	;;#ASMSTART
	v_dot2_f32_f16 v69, v25, v111, v69
	;;#ASMEND
	s_waitcnt lgkmcnt(3)
	;;#ASMSTART
	v_dot2_f32_f16 v67, v22, v112, v67
	;;#ASMEND
	;;#ASMSTART
	v_dot2_f32_f16 v67, v23, v113, v67
	;;#ASMEND
	;;#ASMSTART
	v_dot2_f32_f16 v67, v24, v114, v67
	;;#ASMEND
	;;#ASMSTART
	v_dot2_f32_f16 v67, v25, v115, v67
	;;#ASMEND
	s_waitcnt lgkmcnt(2)
	;;#ASMSTART
	v_dot2_f32_f16 v66, v22, v116, v66
	;;#ASMEND
	;;#ASMSTART
	v_dot2_f32_f16 v66, v23, v117, v66
	;;#ASMEND
	;;#ASMSTART
	v_dot2_f32_f16 v66, v24, v118, v66
	;;#ASMEND
	;;#ASMSTART
	v_dot2_f32_f16 v66, v25, v119, v66
	;;#ASMEND
	s_waitcnt lgkmcnt(1)
	;;#ASMSTART
	v_dot2_f32_f16 v9, v22, v120, v9
	;;#ASMEND
	;;#ASMSTART
	v_dot2_f32_f16 v9, v23, v121, v9
	;;#ASMEND
	;;#ASMSTART
	v_dot2_f32_f16 v9, v24, v122, v9
	;;#ASMEND
	;;#ASMSTART
	v_dot2_f32_f16 v9, v25, v123, v9
	;;#ASMEND
	s_waitcnt lgkmcnt(0)
	;;#ASMSTART
	v_dot2_f32_f16 v8, v22, v124, v8
	;;#ASMEND
	;;#ASMSTART
	v_dot2_f32_f16 v8, v23, v125, v8
	;;#ASMEND
	;;#ASMSTART
	v_dot2_f32_f16 v8, v24, v126, v8
	;;#ASMEND
	;;#ASMSTART
	v_dot2_f32_f16 v8, v25, v127, v8
	;;#ASMEND
	;;#ASMSTART
	v_dot2_f32_f16 v107, v2, v26, v107
	;;#ASMEND
	;;#ASMSTART
	v_dot2_f32_f16 v107, v3, v27, v107
	;;#ASMEND
	;;#ASMSTART
	v_dot2_f32_f16 v107, v4, v28, v107
	;;#ASMEND
	;;#ASMSTART
	v_dot2_f32_f16 v107, v5, v29, v107
	;;#ASMEND
	;;#ASMSTART
	v_dot2_f32_f16 v106, v2, v30, v106
	;;#ASMEND
	;;#ASMSTART
	v_dot2_f32_f16 v106, v3, v31, v106
	;;#ASMEND
	;;#ASMSTART
	v_dot2_f32_f16 v106, v4, v32, v106
	;;#ASMEND
	;;#ASMSTART
	v_dot2_f32_f16 v106, v5, v33, v106
	;;#ASMEND
	;;#ASMSTART
	v_dot2_f32_f16 v104, v2, v34, v104
	;;#ASMEND
	;;#ASMSTART
	v_dot2_f32_f16 v104, v3, v35, v104
	;;#ASMEND
	;;#ASMSTART
	v_dot2_f32_f16 v104, v4, v36, v104
	;;#ASMEND
	;;#ASMSTART
	v_dot2_f32_f16 v104, v5, v37, v104
	;;#ASMEND
	;;#ASMSTART
	v_dot2_f32_f16 v103, v2, v108, v103
	;;#ASMEND
	;;#ASMSTART
	v_dot2_f32_f16 v103, v3, v109, v103
	;;#ASMEND
	;;#ASMSTART
	v_dot2_f32_f16 v103, v4, v110, v103
	;;#ASMEND
	;;#ASMSTART
	v_dot2_f32_f16 v103, v5, v111, v103
	;;#ASMEND
	;;#ASMSTART
	v_dot2_f32_f16 v72, v2, v112, v72
	;;#ASMEND
	;;#ASMSTART
	v_dot2_f32_f16 v72, v3, v113, v72
	;;#ASMEND
	;;#ASMSTART
	v_dot2_f32_f16 v72, v4, v114, v72
	;;#ASMEND
	;;#ASMSTART
	v_dot2_f32_f16 v72, v5, v115, v72
	;;#ASMEND
	;;#ASMSTART
	v_dot2_f32_f16 v70, v2, v116, v70
	;;#ASMEND
	;;#ASMSTART
	v_dot2_f32_f16 v70, v3, v117, v70
	;;#ASMEND
	;;#ASMSTART
	v_dot2_f32_f16 v70, v4, v118, v70
	;;#ASMEND
	;;#ASMSTART
	v_dot2_f32_f16 v70, v5, v119, v70
	;;#ASMEND
	;;#ASMSTART
	v_dot2_f32_f16 v68, v2, v120, v68
	;;#ASMEND
	;;#ASMSTART
	v_dot2_f32_f16 v68, v3, v121, v68
	;;#ASMEND
	;;#ASMSTART
	v_dot2_f32_f16 v68, v4, v122, v68
	;;#ASMEND
	;;#ASMSTART
	v_dot2_f32_f16 v68, v5, v123, v68
	;;#ASMEND
	;;#ASMSTART
	v_dot2_f32_f16 v65, v2, v124, v65
	;;#ASMEND
	;;#ASMSTART
	v_dot2_f32_f16 v65, v3, v125, v65
	;;#ASMEND
	;;#ASMSTART
	v_dot2_f32_f16 v65, v4, v126, v65
	;;#ASMEND
	;;#ASMSTART
	v_dot2_f32_f16 v65, v5, v127, v65
	;;#ASMEND
	ds_read_b128 v[22:25], v13 offset:48
	ds_read_b128 v[2:5], v13 offset:2608
	;; [unrolled: 1-line block ×10, first 2 shown]
	s_waitcnt lgkmcnt(7)
	;;#ASMSTART
	v_dot2_f32_f16 v105, v22, v26, v105
	;;#ASMEND
	;;#ASMSTART
	v_dot2_f32_f16 v105, v23, v27, v105
	;;#ASMEND
	;;#ASMSTART
	v_dot2_f32_f16 v105, v24, v28, v105
	;;#ASMEND
	;;#ASMSTART
	v_dot2_f32_f16 v105, v25, v29, v105
	;;#ASMEND
	s_waitcnt lgkmcnt(6)
	;;#ASMSTART
	v_dot2_f32_f16 v102, v22, v30, v102
	;;#ASMEND
	;;#ASMSTART
	v_dot2_f32_f16 v102, v23, v31, v102
	;;#ASMEND
	;;#ASMSTART
	v_dot2_f32_f16 v102, v24, v32, v102
	;;#ASMEND
	;;#ASMSTART
	v_dot2_f32_f16 v102, v25, v33, v102
	;;#ASMEND
	;; [unrolled: 13-line block ×8, first 2 shown]
	;;#ASMSTART
	v_dot2_f32_f16 v107, v2, v26, v107
	;;#ASMEND
	;;#ASMSTART
	v_dot2_f32_f16 v107, v3, v27, v107
	;;#ASMEND
	;; [unrolled: 3-line block ×30, first 2 shown]
	v_add_u32_e32 v2, v6, v55
	;;#ASMSTART
	v_dot2_f32_f16 v65, v4, v126, v65
	;;#ASMEND
	v_ashrrev_i32_e32 v3, 31, v2
	v_mov_b32_e32 v4, 0
	;;#ASMSTART
	v_dot2_f32_f16 v65, v5, v127, v65
	;;#ASMEND
	s_cbranch_vccnz .LBB52_10
; %bb.9:                                ;   in Loop: Header=BB52_8 Depth=1
	v_lshlrev_b64 v[4:5], 1, v[2:3]
	v_mov_b32_e32 v7, s41
	v_add_co_u32_e32 v4, vcc, s40, v4
	v_addc_co_u32_e32 v5, vcc, v7, v5, vcc
	global_load_ushort v4, v[4:5], off
	s_waitcnt vmcnt(0)
	v_cvt_f32_f16_e32 v4, v4
	v_mul_f32_e32 v4, v21, v4
.LBB52_10:                              ;   in Loop: Header=BB52_8 Depth=1
	v_mov_b32_e32 v7, 0
	s_and_b64 vcc, exec, s[6:7]
	v_mov_b32_e32 v5, 0
	s_cbranch_vccnz .LBB52_12
; %bb.11:                               ;   in Loop: Header=BB52_8 Depth=1
	v_lshlrev_b64 v[2:3], 1, v[2:3]
	v_mov_b32_e32 v5, s41
	v_add_co_u32_e32 v2, vcc, s40, v2
	v_addc_co_u32_e32 v3, vcc, v5, v3, vcc
	global_load_ushort v2, v[2:3], off offset:64
	s_waitcnt vmcnt(0)
	v_cvt_f32_f16_e32 v2, v2
	v_mul_f32_e32 v5, v21, v2
.LBB52_12:                              ;   in Loop: Header=BB52_8 Depth=1
	v_and_b32_e32 v3, 0x60, v84
	v_add_f32_e32 v105, v105, v4
	v_add_u32_e32 v3, 32, v3
	v_xor_b32_e32 v4, 16, v84
	v_cmp_lt_i32_e32 vcc, v4, v3
	v_add_f32_e32 v107, v107, v5
	v_add_f32_e32 v2, 0x40051340, v105
	v_cndmask_b32_e32 v4, v84, v4, vcc
	v_add_f32_e32 v5, 0x40051340, v107
	v_lshlrev_b32_e32 v4, 2, v4
	v_max3_f32 v2, v101, v2, v5
	ds_bpermute_b32 v22, v4, v2
	v_xor_b32_e32 v5, 8, v84
	v_cmp_lt_i32_e32 vcc, v5, v3
	v_cndmask_b32_e32 v5, v84, v5, vcc
	v_lshlrev_b32_e32 v5, 2, v5
	s_waitcnt lgkmcnt(0)
	v_max_f32_e32 v22, v22, v22
	v_max_f32_e32 v2, v2, v22
	ds_bpermute_b32 v22, v5, v2
	v_xor_b32_e32 v23, 4, v84
	v_cmp_lt_i32_e32 vcc, v23, v3
	v_cndmask_b32_e32 v23, v84, v23, vcc
	v_lshlrev_b32_e32 v116, 2, v23
	s_waitcnt lgkmcnt(0)
	v_max_f32_e32 v22, v22, v22
	v_max_f32_e32 v2, v2, v22
	ds_bpermute_b32 v22, v116, v2
	v_xor_b32_e32 v23, 2, v84
	v_cmp_lt_i32_e32 vcc, v23, v3
	v_cndmask_b32_e32 v23, v84, v23, vcc
	v_lshlrev_b32_e32 v117, 2, v23
	s_waitcnt lgkmcnt(0)
	v_max_f32_e32 v22, v22, v22
	v_max_f32_e32 v2, v2, v22
	ds_bpermute_b32 v22, v117, v2
	v_xor_b32_e32 v23, 1, v84
	v_cmp_lt_i32_e32 vcc, v23, v3
	v_cndmask_b32_e32 v3, v84, v23, vcc
	v_lshlrev_b32_e32 v118, 2, v3
	s_waitcnt lgkmcnt(0)
	v_max_f32_e32 v3, v22, v22
	v_max_f32_e32 v115, v2, v3
	ds_bpermute_b32 v119, v118, v115
	v_add_u32_e32 v2, v6, v14
	s_and_b64 vcc, exec, s[6:7]
	v_ashrrev_i32_e32 v3, 31, v2
	s_cbranch_vccnz .LBB52_14
; %bb.13:                               ;   in Loop: Header=BB52_8 Depth=1
	v_lshlrev_b64 v[22:23], 1, v[2:3]
	v_mov_b32_e32 v7, s41
	v_add_co_u32_e32 v22, vcc, s40, v22
	v_addc_co_u32_e32 v23, vcc, v7, v23, vcc
	global_load_ushort v7, v[22:23], off
	s_waitcnt vmcnt(0)
	v_cvt_f32_f16_e32 v7, v7
	v_mul_f32_e32 v7, v21, v7
.LBB52_14:                              ;   in Loop: Header=BB52_8 Depth=1
	v_mov_b32_e32 v108, 0
	s_and_b64 vcc, exec, s[6:7]
	v_mov_b32_e32 v109, 0
	s_cbranch_vccnz .LBB52_16
; %bb.15:                               ;   in Loop: Header=BB52_8 Depth=1
	v_lshlrev_b64 v[2:3], 1, v[2:3]
	v_mov_b32_e32 v22, s41
	v_add_co_u32_e32 v2, vcc, s40, v2
	v_addc_co_u32_e32 v3, vcc, v22, v3, vcc
	global_load_ushort v2, v[2:3], off offset:64
	s_waitcnt vmcnt(0)
	v_cvt_f32_f16_e32 v2, v2
	v_mul_f32_e32 v109, v21, v2
.LBB52_16:                              ;   in Loop: Header=BB52_8 Depth=1
	v_add_f32_e32 v114, v102, v7
	v_add_f32_e32 v111, v106, v109
	v_add_f32_e32 v2, 0x40051340, v114
	v_add_f32_e32 v3, 0x40051340, v111
	v_max3_f32 v2, v100, v2, v3
	ds_bpermute_b32 v3, v4, v2
	s_and_b64 vcc, exec, s[6:7]
	s_waitcnt lgkmcnt(0)
	v_max_f32_e32 v3, v3, v3
	v_max_f32_e32 v2, v2, v3
	ds_bpermute_b32 v3, v5, v2
	s_waitcnt lgkmcnt(0)
	v_max_f32_e32 v3, v3, v3
	v_max_f32_e32 v2, v2, v3
	ds_bpermute_b32 v3, v116, v2
	s_waitcnt lgkmcnt(0)
	v_max_f32_e32 v3, v3, v3
	v_max_f32_e32 v2, v2, v3
	ds_bpermute_b32 v3, v117, v2
	s_waitcnt lgkmcnt(0)
	v_max_f32_e32 v3, v3, v3
	v_max_f32_e32 v120, v2, v3
	ds_bpermute_b32 v121, v118, v120
	v_add_u32_e32 v2, v6, v15
	v_ashrrev_i32_e32 v3, 31, v2
	s_cbranch_vccnz .LBB52_18
; %bb.17:                               ;   in Loop: Header=BB52_8 Depth=1
	v_lshlrev_b64 v[22:23], 1, v[2:3]
	v_mov_b32_e32 v7, s41
	v_add_co_u32_e32 v22, vcc, s40, v22
	v_addc_co_u32_e32 v23, vcc, v7, v23, vcc
	global_load_ushort v7, v[22:23], off
	s_waitcnt vmcnt(0)
	v_cvt_f32_f16_e32 v7, v7
	v_mul_f32_e32 v108, v21, v7
.LBB52_18:                              ;   in Loop: Header=BB52_8 Depth=1
	v_mov_b32_e32 v7, 0
	s_and_b64 vcc, exec, s[6:7]
	v_mov_b32_e32 v102, 0
	s_cbranch_vccnz .LBB52_20
; %bb.19:                               ;   in Loop: Header=BB52_8 Depth=1
	v_lshlrev_b64 v[2:3], 1, v[2:3]
	v_mov_b32_e32 v22, s41
	v_add_co_u32_e32 v2, vcc, s40, v2
	v_addc_co_u32_e32 v3, vcc, v22, v3, vcc
	global_load_ushort v2, v[2:3], off offset:64
	s_waitcnt vmcnt(0)
	v_cvt_f32_f16_e32 v2, v2
	v_mul_f32_e32 v102, v21, v2
.LBB52_20:                              ;   in Loop: Header=BB52_8 Depth=1
	v_add_f32_e32 v113, v71, v108
	v_add_f32_e32 v109, v104, v102
	v_add_f32_e32 v2, 0x40051340, v113
	v_add_f32_e32 v3, 0x40051340, v109
	v_max3_f32 v2, v98, v2, v3
	ds_bpermute_b32 v3, v4, v2
	s_and_b64 vcc, exec, s[6:7]
	s_waitcnt lgkmcnt(0)
	v_max_f32_e32 v3, v3, v3
	v_max_f32_e32 v2, v2, v3
	ds_bpermute_b32 v3, v5, v2
	s_waitcnt lgkmcnt(0)
	v_max_f32_e32 v3, v3, v3
	v_max_f32_e32 v2, v2, v3
	ds_bpermute_b32 v3, v116, v2
	s_waitcnt lgkmcnt(0)
	v_max_f32_e32 v3, v3, v3
	v_max_f32_e32 v2, v2, v3
	ds_bpermute_b32 v3, v117, v2
	s_waitcnt lgkmcnt(0)
	v_max_f32_e32 v3, v3, v3
	v_max_f32_e32 v71, v2, v3
	ds_bpermute_b32 v122, v118, v71
	v_add_u32_e32 v2, v6, v16
	v_ashrrev_i32_e32 v3, 31, v2
	s_cbranch_vccnz .LBB52_22
; %bb.21:                               ;   in Loop: Header=BB52_8 Depth=1
	v_lshlrev_b64 v[22:23], 1, v[2:3]
	v_mov_b32_e32 v7, s41
	v_add_co_u32_e32 v22, vcc, s40, v22
	v_addc_co_u32_e32 v23, vcc, v7, v23, vcc
	global_load_ushort v7, v[22:23], off
	s_waitcnt vmcnt(0)
	v_cvt_f32_f16_e32 v7, v7
	v_mul_f32_e32 v7, v21, v7
.LBB52_22:                              ;   in Loop: Header=BB52_8 Depth=1
	v_mov_b32_e32 v102, 0
	s_and_b64 vcc, exec, s[6:7]
	v_mov_b32_e32 v104, 0
	s_cbranch_vccnz .LBB52_24
; %bb.23:                               ;   in Loop: Header=BB52_8 Depth=1
	v_lshlrev_b64 v[2:3], 1, v[2:3]
	v_mov_b32_e32 v22, s41
	v_add_co_u32_e32 v2, vcc, s40, v2
	v_addc_co_u32_e32 v3, vcc, v22, v3, vcc
	global_load_ushort v2, v[2:3], off offset:64
	s_waitcnt vmcnt(0)
	v_cvt_f32_f16_e32 v2, v2
	v_mul_f32_e32 v104, v21, v2
.LBB52_24:                              ;   in Loop: Header=BB52_8 Depth=1
	v_add_f32_e32 v112, v69, v7
	v_add_f32_e32 v69, v103, v104
	v_add_f32_e32 v2, 0x40051340, v112
	v_add_f32_e32 v3, 0x40051340, v69
	v_max3_f32 v2, v95, v2, v3
	ds_bpermute_b32 v3, v4, v2
	s_and_b64 vcc, exec, s[6:7]
	s_waitcnt lgkmcnt(0)
	v_max_f32_e32 v3, v3, v3
	v_max_f32_e32 v2, v2, v3
	ds_bpermute_b32 v3, v5, v2
	s_waitcnt lgkmcnt(0)
	v_max_f32_e32 v3, v3, v3
	v_max_f32_e32 v2, v2, v3
	ds_bpermute_b32 v3, v116, v2
	s_waitcnt lgkmcnt(0)
	v_max_f32_e32 v3, v3, v3
	v_max_f32_e32 v2, v2, v3
	ds_bpermute_b32 v3, v117, v2
	s_waitcnt lgkmcnt(0)
	v_max_f32_e32 v3, v3, v3
	v_max_f32_e32 v103, v2, v3
	ds_bpermute_b32 v123, v118, v103
	v_add_u32_e32 v2, v6, v17
	v_ashrrev_i32_e32 v3, 31, v2
	s_cbranch_vccnz .LBB52_26
; %bb.25:                               ;   in Loop: Header=BB52_8 Depth=1
	v_lshlrev_b64 v[22:23], 1, v[2:3]
	v_mov_b32_e32 v7, s41
	v_add_co_u32_e32 v22, vcc, s40, v22
	v_addc_co_u32_e32 v23, vcc, v7, v23, vcc
	global_load_ushort v7, v[22:23], off
	s_waitcnt vmcnt(0)
	v_cvt_f32_f16_e32 v7, v7
	v_mul_f32_e32 v102, v21, v7
.LBB52_26:                              ;   in Loop: Header=BB52_8 Depth=1
	v_mov_b32_e32 v7, 0
	s_and_b64 vcc, exec, s[6:7]
	v_mov_b32_e32 v104, 0
	s_cbranch_vccnz .LBB52_28
; %bb.27:                               ;   in Loop: Header=BB52_8 Depth=1
	v_lshlrev_b64 v[2:3], 1, v[2:3]
	v_mov_b32_e32 v22, s41
	v_add_co_u32_e32 v2, vcc, s40, v2
	v_addc_co_u32_e32 v3, vcc, v22, v3, vcc
	global_load_ushort v2, v[2:3], off offset:64
	s_waitcnt vmcnt(0)
	v_cvt_f32_f16_e32 v2, v2
	v_mul_f32_e32 v104, v21, v2
.LBB52_28:                              ;   in Loop: Header=BB52_8 Depth=1
	v_add_f32_e32 v110, v67, v102
	v_add_f32_e32 v104, v72, v104
	v_add_f32_e32 v2, 0x40051340, v110
	v_add_f32_e32 v3, 0x40051340, v104
	v_max3_f32 v2, v93, v2, v3
	ds_bpermute_b32 v3, v4, v2
	s_and_b64 vcc, exec, s[6:7]
	s_waitcnt lgkmcnt(0)
	v_max_f32_e32 v3, v3, v3
	v_max_f32_e32 v2, v2, v3
	ds_bpermute_b32 v3, v5, v2
	s_waitcnt lgkmcnt(0)
	v_max_f32_e32 v3, v3, v3
	v_max_f32_e32 v2, v2, v3
	ds_bpermute_b32 v3, v116, v2
	s_waitcnt lgkmcnt(0)
	v_max_f32_e32 v3, v3, v3
	v_max_f32_e32 v2, v2, v3
	ds_bpermute_b32 v3, v117, v2
	s_waitcnt lgkmcnt(0)
	v_max_f32_e32 v3, v3, v3
	v_max_f32_e32 v72, v2, v3
	ds_bpermute_b32 v124, v118, v72
	v_add_u32_e32 v2, v6, v75
	v_ashrrev_i32_e32 v3, 31, v2
	s_cbranch_vccnz .LBB52_30
; %bb.29:                               ;   in Loop: Header=BB52_8 Depth=1
	v_lshlrev_b64 v[22:23], 1, v[2:3]
	v_mov_b32_e32 v7, s41
	v_add_co_u32_e32 v22, vcc, s40, v22
	v_addc_co_u32_e32 v23, vcc, v7, v23, vcc
	global_load_ushort v7, v[22:23], off
	s_waitcnt vmcnt(0)
	v_cvt_f32_f16_e32 v7, v7
	v_mul_f32_e32 v7, v21, v7
.LBB52_30:                              ;   in Loop: Header=BB52_8 Depth=1
	v_mov_b32_e32 v102, 0
	s_and_b64 vcc, exec, s[6:7]
	v_mov_b32_e32 v67, 0
	s_cbranch_vccnz .LBB52_32
; %bb.31:                               ;   in Loop: Header=BB52_8 Depth=1
	v_lshlrev_b64 v[2:3], 1, v[2:3]
	v_mov_b32_e32 v22, s41
	v_add_co_u32_e32 v2, vcc, s40, v2
	v_addc_co_u32_e32 v3, vcc, v22, v3, vcc
	global_load_ushort v2, v[2:3], off offset:64
	s_waitcnt vmcnt(0)
	v_cvt_f32_f16_e32 v2, v2
	v_mul_f32_e32 v67, v21, v2
.LBB52_32:                              ;   in Loop: Header=BB52_8 Depth=1
	v_add_f32_e32 v108, v66, v7
	v_add_f32_e32 v67, v70, v67
	v_add_f32_e32 v2, 0x40051340, v108
	v_add_f32_e32 v3, 0x40051340, v67
	v_max3_f32 v2, v91, v2, v3
	ds_bpermute_b32 v3, v4, v2
	s_and_b64 vcc, exec, s[6:7]
	s_waitcnt lgkmcnt(0)
	v_max_f32_e32 v3, v3, v3
	v_max_f32_e32 v2, v2, v3
	ds_bpermute_b32 v3, v5, v2
	s_waitcnt lgkmcnt(0)
	v_max_f32_e32 v3, v3, v3
	v_max_f32_e32 v2, v2, v3
	ds_bpermute_b32 v3, v116, v2
	s_waitcnt lgkmcnt(0)
	v_max_f32_e32 v3, v3, v3
	v_max_f32_e32 v2, v2, v3
	ds_bpermute_b32 v3, v117, v2
	s_waitcnt lgkmcnt(0)
	v_max_f32_e32 v3, v3, v3
	v_max_f32_e32 v7, v2, v3
	ds_bpermute_b32 v66, v118, v7
	v_add_u32_e32 v2, v6, v76
	v_ashrrev_i32_e32 v3, 31, v2
	s_cbranch_vccnz .LBB52_34
; %bb.33:                               ;   in Loop: Header=BB52_8 Depth=1
	v_lshlrev_b64 v[22:23], 1, v[2:3]
	v_mov_b32_e32 v24, s41
	v_add_co_u32_e32 v22, vcc, s40, v22
	v_addc_co_u32_e32 v23, vcc, v24, v23, vcc
	global_load_ushort v22, v[22:23], off
	s_waitcnt vmcnt(0)
	v_cvt_f32_f16_e32 v22, v22
	v_mul_f32_e32 v102, v21, v22
.LBB52_34:                              ;   in Loop: Header=BB52_8 Depth=1
	v_mov_b32_e32 v70, 0
	s_and_b64 vcc, exec, s[6:7]
	v_mov_b32_e32 v125, 0
	s_cbranch_vccnz .LBB52_36
; %bb.35:                               ;   in Loop: Header=BB52_8 Depth=1
	v_lshlrev_b64 v[2:3], 1, v[2:3]
	v_mov_b32_e32 v22, s41
	v_add_co_u32_e32 v2, vcc, s40, v2
	v_addc_co_u32_e32 v3, vcc, v22, v3, vcc
	global_load_ushort v2, v[2:3], off offset:64
	s_waitcnt vmcnt(0)
	v_cvt_f32_f16_e32 v2, v2
	v_mul_f32_e32 v125, v21, v2
.LBB52_36:                              ;   in Loop: Header=BB52_8 Depth=1
	v_add_f32_e32 v106, v9, v102
	v_add_f32_e32 v68, v68, v125
	v_add_f32_e32 v2, 0x40051340, v106
	v_add_f32_e32 v3, 0x40051340, v68
	v_max3_f32 v2, v89, v2, v3
	ds_bpermute_b32 v3, v4, v2
	s_and_b64 vcc, exec, s[6:7]
	s_waitcnt lgkmcnt(0)
	v_max_f32_e32 v3, v3, v3
	v_max_f32_e32 v2, v2, v3
	ds_bpermute_b32 v3, v5, v2
	s_waitcnt lgkmcnt(0)
	v_max_f32_e32 v3, v3, v3
	v_max_f32_e32 v2, v2, v3
	ds_bpermute_b32 v3, v116, v2
	s_waitcnt lgkmcnt(0)
	v_max_f32_e32 v3, v3, v3
	v_max_f32_e32 v2, v2, v3
	ds_bpermute_b32 v3, v117, v2
	s_waitcnt lgkmcnt(0)
	v_max_f32_e32 v3, v3, v3
	v_max_f32_e32 v9, v2, v3
	ds_bpermute_b32 v125, v118, v9
	v_add_u32_e32 v2, v6, v77
	v_ashrrev_i32_e32 v3, 31, v2
	s_cbranch_vccnz .LBB52_38
; %bb.37:                               ;   in Loop: Header=BB52_8 Depth=1
	v_lshlrev_b64 v[22:23], 1, v[2:3]
	v_mov_b32_e32 v6, s41
	v_add_co_u32_e32 v22, vcc, s40, v22
	v_addc_co_u32_e32 v23, vcc, v6, v23, vcc
	global_load_ushort v6, v[22:23], off
	s_waitcnt vmcnt(0)
	v_cvt_f32_f16_e32 v6, v6
	v_mul_f32_e32 v70, v21, v6
.LBB52_38:                              ;   in Loop: Header=BB52_8 Depth=1
	s_and_b64 vcc, exec, s[6:7]
	s_cbranch_vccnz .LBB52_40
; %bb.39:                               ;   in Loop: Header=BB52_8 Depth=1
	v_lshlrev_b64 v[2:3], 1, v[2:3]
	v_mov_b32_e32 v6, s41
	v_add_co_u32_e32 v2, vcc, s40, v2
	v_addc_co_u32_e32 v3, vcc, v6, v3, vcc
	global_load_ushort v2, v[2:3], off offset:64
	s_waitcnt vmcnt(0)
	v_cvt_f32_f16_e32 v2, v2
	v_mul_f32_e32 v2, v21, v2
	s_branch .LBB52_41
.LBB52_40:                              ;   in Loop: Header=BB52_8 Depth=1
	v_mov_b32_e32 v2, 0
.LBB52_41:                              ;   in Loop: Header=BB52_8 Depth=1
	v_add_f32_e32 v102, v8, v70
	v_add_f32_e32 v65, v65, v2
	;; [unrolled: 1-line block ×4, first 2 shown]
	v_max3_f32 v2, v87, v3, v2
	ds_bpermute_b32 v3, v4, v2
	s_waitcnt lgkmcnt(1)
	v_max_f32_e32 v6, v125, v125
	v_max_f32_e32 v4, v9, v9
	v_max_f32_e32 v8, v4, v6
	v_max_f32_e32 v4, v66, v66
	s_waitcnt lgkmcnt(0)
	v_max_f32_e32 v3, v3, v3
	v_max_f32_e32 v2, v2, v3
	ds_bpermute_b32 v3, v5, v2
	v_max_f32_e32 v6, v7, v7
	v_max_f32_e32 v7, v6, v4
	v_max_f32_e32 v4, v124, v124
	v_max_f32_e32 v5, v72, v72
	s_waitcnt lgkmcnt(0)
	v_max_f32_e32 v3, v3, v3
	v_max_f32_e32 v2, v2, v3
	ds_bpermute_b32 v3, v116, v2
	;; [unrolled: 8-line block ×4, first 2 shown]
	v_max_f32_e32 v22, v120, v120
	v_max_f32_e32 v3, v22, v9
	;; [unrolled: 1-line block ×5, first 2 shown]
	s_waitcnt lgkmcnt(0)
	v_max_f32_e32 v9, v24, v24
	v_sub_f32_e32 v22, v105, v2
	v_max_f32_e32 v9, v23, v9
	v_mul_f32_e32 v23, 0x3fb8aa3b, v22
	v_fma_f32 v24, v22, s23, -v23
	v_rndne_f32_e32 v25, v23
	v_fmac_f32_e32 v24, 0x32a5705f, v22
	v_sub_f32_e32 v23, v23, v25
	v_add_f32_e32 v23, v23, v24
	v_exp_f32_e32 v23, v23
	v_cvt_i32_f32_e32 v24, v25
	v_cmp_ngt_f32_e32 vcc, s36, v22
	v_sub_f32_e32 v25, v101, v2
	s_mul_hi_i32 s45, s16, s8
	v_ldexp_f32 v23, v23, v24
	v_sub_f32_e32 v24, v107, v2
	v_mul_f32_e32 v26, 0x3fb8aa3b, v24
	v_fma_f32 v27, v24, s23, -v26
	v_rndne_f32_e32 v28, v26
	v_fmac_f32_e32 v27, 0x32a5705f, v24
	v_sub_f32_e32 v26, v26, v28
	v_add_f32_e32 v26, v26, v27
	v_exp_f32_e32 v26, v26
	v_cvt_i32_f32_e32 v27, v28
	v_cndmask_b32_e32 v23, 0, v23, vcc
	v_cmp_nlt_f32_e32 vcc, s37, v22
	v_cndmask_b32_e32 v22, v85, v23, vcc
	v_ldexp_f32 v23, v26, v27
	v_mul_f32_e32 v26, 0x3fb8aa3b, v25
	v_fma_f32 v27, v25, s23, -v26
	v_rndne_f32_e32 v28, v26
	v_fmac_f32_e32 v27, 0x32a5705f, v25
	v_sub_f32_e32 v26, v26, v28
	v_add_f32_e32 v26, v26, v27
	v_exp_f32_e32 v26, v26
	v_cvt_i32_f32_e32 v27, v28
	v_cmp_ngt_f32_e32 vcc, s36, v24
	v_cndmask_b32_e32 v23, 0, v23, vcc
	v_cmp_nlt_f32_e32 vcc, s37, v24
	v_cndmask_b32_e32 v23, v85, v23, vcc
	v_ldexp_f32 v24, v26, v27
	v_cmp_ngt_f32_e32 vcc, s36, v25
	v_cndmask_b32_e32 v24, 0, v24, vcc
	v_cmp_nlt_f32_e32 vcc, s37, v25
	v_cndmask_b32_e32 v24, v85, v24, vcc
	v_cvt_f16_f32_e32 v25, v24
	v_add_f32_e32 v72, v22, v23
	v_cvt_f16_f32_e32 v103, v23
	v_sub_f32_e32 v23, v114, v3
	v_fmac_f32_e32 v72, v96, v24
	v_mul_f32_e32 v24, 0x3fb8aa3b, v23
	v_cvt_f16_f32_e32 v101, v22
	v_mul_u32_u24_e32 v22, 0x10001, v25
	v_fma_f32 v25, v23, s23, -v24
	v_rndne_f32_e32 v26, v24
	v_fmac_f32_e32 v25, 0x32a5705f, v23
	v_sub_f32_e32 v24, v24, v26
	v_add_f32_e32 v24, v24, v25
	v_exp_f32_e32 v24, v24
	v_cvt_i32_f32_e32 v25, v26
	v_cmp_ngt_f32_e32 vcc, s36, v23
	v_pk_mul_f16 v96, v63, v22
	v_pk_mul_f16 v63, v64, v22
	v_ldexp_f32 v24, v24, v25
	v_sub_f32_e32 v25, v111, v3
	v_mul_f32_e32 v26, 0x3fb8aa3b, v25
	v_fma_f32 v27, v25, s23, -v26
	v_rndne_f32_e32 v28, v26
	v_fmac_f32_e32 v27, 0x32a5705f, v25
	v_sub_f32_e32 v26, v26, v28
	v_add_f32_e32 v26, v26, v27
	v_exp_f32_e32 v26, v26
	v_cvt_i32_f32_e32 v27, v28
	v_sub_f32_e32 v22, v100, v3
	v_cndmask_b32_e32 v24, 0, v24, vcc
	v_cmp_nlt_f32_e32 vcc, s37, v23
	v_cndmask_b32_e32 v23, v85, v24, vcc
	v_ldexp_f32 v24, v26, v27
	v_mul_f32_e32 v26, 0x3fb8aa3b, v22
	v_fma_f32 v27, v22, s23, -v26
	v_rndne_f32_e32 v28, v26
	v_fmac_f32_e32 v27, 0x32a5705f, v22
	v_sub_f32_e32 v26, v26, v28
	v_add_f32_e32 v26, v26, v27
	v_exp_f32_e32 v26, v26
	v_cvt_i32_f32_e32 v27, v28
	v_cmp_ngt_f32_e32 vcc, s36, v25
	v_cndmask_b32_e32 v24, 0, v24, vcc
	v_cmp_nlt_f32_e32 vcc, s37, v25
	v_cndmask_b32_e32 v24, v85, v24, vcc
	v_ldexp_f32 v25, v26, v27
	v_cmp_ngt_f32_e32 vcc, s36, v22
	v_cndmask_b32_e32 v25, 0, v25, vcc
	v_cmp_nlt_f32_e32 vcc, s37, v22
	v_cndmask_b32_e32 v22, v85, v25, vcc
	v_cvt_f16_f32_e32 v25, v22
	v_cvt_f16_f32_e32 v64, v23
	v_add_f32_e32 v71, v23, v24
	v_sub_f32_e32 v23, v113, v4
	v_cvt_f16_f32_e32 v100, v24
	v_mul_f32_e32 v24, 0x3fb8aa3b, v23
	v_fmac_f32_e32 v71, v99, v22
	v_mul_u32_u24_e32 v22, 0x10001, v25
	v_fma_f32 v25, v23, s23, -v24
	v_rndne_f32_e32 v26, v24
	v_fmac_f32_e32 v25, 0x32a5705f, v23
	v_sub_f32_e32 v24, v24, v26
	v_add_f32_e32 v24, v24, v25
	v_exp_f32_e32 v24, v24
	v_cvt_i32_f32_e32 v25, v26
	v_cmp_ngt_f32_e32 vcc, s36, v23
	v_pk_mul_f16 v99, v61, v22
	v_pk_mul_f16 v61, v62, v22
	v_ldexp_f32 v24, v24, v25
	v_sub_f32_e32 v25, v109, v4
	v_mul_f32_e32 v26, 0x3fb8aa3b, v25
	v_fma_f32 v27, v25, s23, -v26
	v_rndne_f32_e32 v28, v26
	v_fmac_f32_e32 v27, 0x32a5705f, v25
	v_sub_f32_e32 v26, v26, v28
	v_add_f32_e32 v26, v26, v27
	v_exp_f32_e32 v26, v26
	v_cvt_i32_f32_e32 v27, v28
	v_sub_f32_e32 v22, v98, v4
	v_cndmask_b32_e32 v24, 0, v24, vcc
	v_cmp_nlt_f32_e32 vcc, s37, v23
	v_cndmask_b32_e32 v23, v85, v24, vcc
	v_ldexp_f32 v24, v26, v27
	v_mul_f32_e32 v26, 0x3fb8aa3b, v22
	v_fma_f32 v27, v22, s23, -v26
	v_rndne_f32_e32 v28, v26
	v_fmac_f32_e32 v27, 0x32a5705f, v22
	v_sub_f32_e32 v26, v26, v28
	v_add_f32_e32 v26, v26, v27
	v_exp_f32_e32 v26, v26
	v_cvt_i32_f32_e32 v27, v28
	v_cmp_ngt_f32_e32 vcc, s36, v25
	v_cndmask_b32_e32 v24, 0, v24, vcc
	v_cmp_nlt_f32_e32 vcc, s37, v25
	v_cndmask_b32_e32 v24, v85, v24, vcc
	v_ldexp_f32 v25, v26, v27
	v_cmp_ngt_f32_e32 vcc, s36, v22
	v_cndmask_b32_e32 v25, 0, v25, vcc
	v_cmp_nlt_f32_e32 vcc, s37, v22
	v_cndmask_b32_e32 v22, v85, v25, vcc
	v_cvt_f16_f32_e32 v25, v22
	v_cvt_f16_f32_e32 v62, v23
	v_add_f32_e32 v70, v23, v24
	v_sub_f32_e32 v23, v112, v5
	v_cvt_f16_f32_e32 v98, v24
	v_mul_f32_e32 v24, 0x3fb8aa3b, v23
	v_fmac_f32_e32 v70, v97, v22
	;; [unrolled: 50-line block ×5, first 2 shown]
	v_mul_u32_u24_e32 v22, 0x10001, v25
	v_fma_f32 v25, v23, s23, -v24
	v_rndne_f32_e32 v26, v24
	v_fmac_f32_e32 v25, 0x32a5705f, v23
	v_sub_f32_e32 v24, v24, v26
	v_add_f32_e32 v24, v24, v25
	v_exp_f32_e32 v24, v24
	v_cvt_i32_f32_e32 v25, v26
	v_sub_f32_e32 v27, v68, v8
	v_pk_mul_f16 v50, v50, v22
	v_pk_mul_f16 v51, v51, v22
	v_ldexp_f32 v22, v24, v25
	v_mul_f32_e32 v24, 0x3fb8aa3b, v27
	v_fma_f32 v25, v27, s23, -v24
	v_rndne_f32_e32 v29, v24
	v_cmp_ngt_f32_e32 vcc, s36, v23
	v_fmac_f32_e32 v25, 0x32a5705f, v27
	v_sub_f32_e32 v24, v24, v29
	v_sub_f32_e32 v26, v89, v8
	v_cndmask_b32_e32 v22, 0, v22, vcc
	v_add_f32_e32 v24, v24, v25
	v_cmp_nlt_f32_e32 vcc, s37, v23
	v_exp_f32_e32 v24, v24
	v_cvt_i32_f32_e32 v25, v29
	v_cndmask_b32_e32 v29, v85, v22, vcc
	v_mul_f32_e32 v22, 0x3fb8aa3b, v26
	s_mul_i32 s44, s16, s8
	v_rndne_f32_e32 v34, v22
	s_lshl_b64 s[44:45], s[44:45], 2
	v_fma_f32 v33, v26, s23, -v22
	v_sub_f32_e32 v35, v22, v34
	v_mov_b32_e32 v23, s45
	v_add_co_u32_e32 v22, vcc, s44, v80
	v_addc_co_u32_e32 v23, vcc, v81, v23, vcc
	s_barrier
	v_ldexp_f32 v32, v24, v25
	global_load_dwordx4 v[22:25], v[22:23], off
	v_fmac_f32_e32 v33, 0x32a5705f, v26
	v_add_f32_e32 v33, v35, v33
	v_exp_f32_e32 v33, v33
	v_cvt_i32_f32_e32 v34, v34
	v_cmp_ngt_f32_e32 vcc, s36, v27
	v_cndmask_b32_e32 v32, 0, v32, vcc
	v_cmp_nlt_f32_e32 vcc, s37, v27
	v_cndmask_b32_e32 v27, v85, v32, vcc
	v_ldexp_f32 v32, v33, v34
	v_cmp_ngt_f32_e32 vcc, s36, v26
	v_cndmask_b32_e32 v32, 0, v32, vcc
	v_cmp_nlt_f32_e32 vcc, s37, v26
	v_cndmask_b32_e32 v26, v85, v32, vcc
	v_cvt_f16_f32_e32 v32, v26
	v_add_f32_e32 v68, v29, v27
	v_cvt_f16_f32_e32 v33, v27
	v_sub_f32_e32 v27, v102, v9
	v_cvt_f16_f32_e32 v31, v29
	v_mul_f32_e32 v29, 0x3fb8aa3b, v27
	v_fmac_f32_e32 v68, v88, v26
	v_mul_u32_u24_e32 v26, 0x10001, v32
	v_fma_f32 v32, v27, s23, -v29
	v_rndne_f32_e32 v34, v29
	v_fmac_f32_e32 v32, 0x32a5705f, v27
	v_sub_f32_e32 v29, v29, v34
	v_add_f32_e32 v29, v29, v32
	v_exp_f32_e32 v29, v29
	v_cvt_i32_f32_e32 v32, v34
	v_pk_mul_f16 v56, v45, v26
	v_pk_mul_f16 v88, v46, v26
	v_sub_f32_e32 v26, v87, v9
	v_ldexp_f32 v29, v29, v32
	v_sub_f32_e32 v32, v65, v9
	v_mul_f32_e32 v34, 0x3fb8aa3b, v32
	v_fma_f32 v35, v32, s23, -v34
	v_rndne_f32_e32 v36, v34
	v_fmac_f32_e32 v35, 0x32a5705f, v32
	v_sub_f32_e32 v34, v34, v36
	v_add_f32_e32 v34, v34, v35
	v_exp_f32_e32 v34, v34
	v_cvt_i32_f32_e32 v35, v36
	v_cmp_ngt_f32_e32 vcc, s36, v27
	v_cndmask_b32_e32 v29, 0, v29, vcc
	v_cmp_nlt_f32_e32 vcc, s37, v27
	v_ldexp_f32 v34, v34, v35
	v_mul_f32_e32 v35, 0x3fb8aa3b, v26
	v_fma_f32 v36, v26, s23, -v35
	v_rndne_f32_e32 v37, v35
	v_fmac_f32_e32 v36, 0x32a5705f, v26
	v_sub_f32_e32 v35, v35, v37
	v_add_f32_e32 v35, v35, v36
	v_exp_f32_e32 v35, v35
	v_cvt_i32_f32_e32 v36, v37
	v_cndmask_b32_e32 v27, v85, v29, vcc
	v_cmp_ngt_f32_e32 vcc, s36, v32
	v_cndmask_b32_e32 v34, 0, v34, vcc
	v_cmp_nlt_f32_e32 vcc, s37, v32
	v_cndmask_b32_e32 v32, v85, v34, vcc
	v_ldexp_f32 v34, v35, v36
	v_cmp_ngt_f32_e32 vcc, s36, v26
	v_cndmask_b32_e32 v34, 0, v34, vcc
	v_cmp_nlt_f32_e32 vcc, s37, v26
	v_cndmask_b32_e32 v26, v85, v34, vcc
	v_cvt_f16_f32_e32 v34, v26
	v_cvt_f16_f32_e32 v29, v27
	v_add_f32_e32 v65, v27, v32
	v_cvt_f16_f32_e32 v32, v32
	v_fmac_f32_e32 v65, v86, v26
	v_mul_u32_u24_e32 v26, 0x10001, v34
	v_pk_mul_f16 v86, v43, v26
	v_pk_mul_f16 v87, v44, v26
	v_pack_b32_f16 v29, v31, v29
	v_pack_b32_f16 v28, v58, v28
	;; [unrolled: 1-line block ×4, first 2 shown]
	ds_write_b128 v83, v[26:29]
	v_pack_b32_f16 v29, v33, v32
	v_pack_b32_f16 v28, v93, v30
	;; [unrolled: 1-line block ×4, first 2 shown]
	ds_write_b128 v83, v[26:29] offset:512
	s_waitcnt vmcnt(0)
	ds_write_b128 v79, v[22:25]
	s_waitcnt lgkmcnt(0)
	s_barrier
	ds_read_b128 v[22:25], v78
	ds_read2_b64 v[26:29], v82 offset1:32
	ds_read_b128 v[30:33], v78 offset:16
	ds_read_b128 v[34:37], v78 offset:32
	;; [unrolled: 1-line block ×3, first 2 shown]
	s_waitcnt lgkmcnt(4)
	v_mul_u32_u24_sdwa v58, v22, s38 dst_sel:DWORD dst_unused:UNUSED_PAD src0_sel:WORD_0 src1_sel:DWORD
	v_mul_u32_u24_sdwa v22, v22, s38 dst_sel:DWORD dst_unused:UNUSED_PAD src0_sel:WORD_1 src1_sel:DWORD
	v_mul_u32_u24_sdwa v60, v23, s38 dst_sel:DWORD dst_unused:UNUSED_PAD src0_sel:WORD_0 src1_sel:DWORD
	v_mul_u32_u24_sdwa v23, v23, s38 dst_sel:DWORD dst_unused:UNUSED_PAD src0_sel:WORD_1 src1_sel:DWORD
	;; [unrolled: 2-line block ×4, first 2 shown]
	s_waitcnt lgkmcnt(3)
	v_pk_fma_f16 v89, v26, v58, v96
	v_pk_fma_f16 v90, v26, v22, v99
	;; [unrolled: 1-line block ×16, first 2 shown]
	s_waitcnt lgkmcnt(2)
	v_mul_u32_u24_sdwa v27, v30, s38 dst_sel:DWORD dst_unused:UNUSED_PAD src0_sel:WORD_0 src1_sel:DWORD
	v_mul_u32_u24_sdwa v30, v30, s38 dst_sel:DWORD dst_unused:UNUSED_PAD src0_sel:WORD_1 src1_sel:DWORD
	v_mul_u32_u24_sdwa v57, v31, s38 dst_sel:DWORD dst_unused:UNUSED_PAD src0_sel:WORD_0 src1_sel:DWORD
	v_mul_u32_u24_sdwa v31, v31, s38 dst_sel:DWORD dst_unused:UNUSED_PAD src0_sel:WORD_1 src1_sel:DWORD
	v_mul_u32_u24_sdwa v60, v32, s38 dst_sel:DWORD dst_unused:UNUSED_PAD src0_sel:WORD_0 src1_sel:DWORD
	v_mul_u32_u24_sdwa v32, v32, s38 dst_sel:DWORD dst_unused:UNUSED_PAD src0_sel:WORD_1 src1_sel:DWORD
	v_mul_u32_u24_sdwa v61, v33, s38 dst_sel:DWORD dst_unused:UNUSED_PAD src0_sel:WORD_0 src1_sel:DWORD
	v_mul_u32_u24_sdwa v33, v33, s38 dst_sel:DWORD dst_unused:UNUSED_PAD src0_sel:WORD_1 src1_sel:DWORD
	v_pk_fma_f16 v62, v28, v27, v89
	v_pk_fma_f16 v63, v28, v30, v90
	;; [unrolled: 1-line block ×16, first 2 shown]
	ds_read2_b64 v[22:25], v82 offset0:64 offset1:96
	s_waitcnt lgkmcnt(2)
	v_mul_u32_u24_sdwa v33, v34, s38 dst_sel:DWORD dst_unused:UNUSED_PAD src0_sel:WORD_0 src1_sel:DWORD
	v_mul_u32_u24_sdwa v34, v34, s38 dst_sel:DWORD dst_unused:UNUSED_PAD src0_sel:WORD_1 src1_sel:DWORD
	v_mul_u32_u24_sdwa v57, v35, s38 dst_sel:DWORD dst_unused:UNUSED_PAD src0_sel:WORD_0 src1_sel:DWORD
	v_mul_u32_u24_sdwa v35, v35, s38 dst_sel:DWORD dst_unused:UNUSED_PAD src0_sel:WORD_1 src1_sel:DWORD
	;; [unrolled: 2-line block ×4, first 2 shown]
	s_waitcnt lgkmcnt(0)
	v_pk_fma_f16 v60, v22, v33, v62
	v_pk_fma_f16 v61, v22, v34, v63
	;; [unrolled: 1-line block ×16, first 2 shown]
	v_mul_u32_u24_sdwa v29, v43, s38 dst_sel:DWORD dst_unused:UNUSED_PAD src0_sel:WORD_0 src1_sel:DWORD
	v_mul_u32_u24_sdwa v34, v43, s38 dst_sel:DWORD dst_unused:UNUSED_PAD src0_sel:WORD_1 src1_sel:DWORD
	v_mul_u32_u24_sdwa v35, v44, s38 dst_sel:DWORD dst_unused:UNUSED_PAD src0_sel:WORD_0 src1_sel:DWORD
	v_mul_u32_u24_sdwa v36, v44, s38 dst_sel:DWORD dst_unused:UNUSED_PAD src0_sel:WORD_1 src1_sel:DWORD
	;; [unrolled: 2-line block ×4, first 2 shown]
	v_pk_fma_f16 v46, v24, v29, v60
	v_pk_fma_f16 v51, v24, v34, v61
	;; [unrolled: 1-line block ×6, first 2 shown]
	ds_read_b128 v[26:29], v78 offset:64
	v_pk_fma_f16 v57, v24, v36, v63
	v_pk_fma_f16 v58, v24, v37, v64
	;; [unrolled: 1-line block ×10, first 2 shown]
	ds_read2_b64 v[22:25], v82 offset0:128 offset1:160
	ds_read_b128 v[30:33], v78 offset:80
	s_waitcnt lgkmcnt(2)
	v_mul_u32_u24_sdwa v61, v26, s38 dst_sel:DWORD dst_unused:UNUSED_PAD src0_sel:WORD_0 src1_sel:DWORD
	v_mul_u32_u24_sdwa v26, v26, s38 dst_sel:DWORD dst_unused:UNUSED_PAD src0_sel:WORD_1 src1_sel:DWORD
	v_mul_u32_u24_sdwa v62, v27, s38 dst_sel:DWORD dst_unused:UNUSED_PAD src0_sel:WORD_0 src1_sel:DWORD
	v_mul_u32_u24_sdwa v27, v27, s38 dst_sel:DWORD dst_unused:UNUSED_PAD src0_sel:WORD_1 src1_sel:DWORD
	;; [unrolled: 2-line block ×4, first 2 shown]
	s_waitcnt lgkmcnt(1)
	v_pk_fma_f16 v46, v22, v61, v46
	v_pk_fma_f16 v51, v22, v26, v51
	v_pk_fma_f16 v54, v22, v62, v54
	v_pk_fma_f16 v57, v22, v27, v57
	v_pk_fma_f16 v58, v22, v63, v58
	v_pk_fma_f16 v50, v22, v28, v50
	v_pk_fma_f16 v56, v22, v64, v56
	v_pk_fma_f16 v22, v22, v29, v59
	v_pk_fma_f16 v59, v23, v61, v60
	v_pk_fma_f16 v26, v23, v26, v34
	v_pk_fma_f16 v34, v23, v62, v35
	v_pk_fma_f16 v27, v23, v27, v36
	v_pk_fma_f16 v35, v23, v63, v37
	v_pk_fma_f16 v28, v23, v28, v43
	v_pk_fma_f16 v36, v23, v64, v44
	v_pk_fma_f16 v23, v23, v29, v45
	s_waitcnt lgkmcnt(0)
	v_mul_u32_u24_sdwa v29, v30, s38 dst_sel:DWORD dst_unused:UNUSED_PAD src0_sel:WORD_0 src1_sel:DWORD
	v_mul_u32_u24_sdwa v30, v30, s38 dst_sel:DWORD dst_unused:UNUSED_PAD src0_sel:WORD_1 src1_sel:DWORD
	v_mul_u32_u24_sdwa v37, v31, s38 dst_sel:DWORD dst_unused:UNUSED_PAD src0_sel:WORD_0 src1_sel:DWORD
	v_mul_u32_u24_sdwa v31, v31, s38 dst_sel:DWORD dst_unused:UNUSED_PAD src0_sel:WORD_1 src1_sel:DWORD
	;; [unrolled: 2-line block ×4, first 2 shown]
	v_pk_fma_f16 v45, v24, v29, v46
	v_pk_fma_f16 v46, v24, v30, v51
	;; [unrolled: 1-line block ×11, first 2 shown]
	ds_read_b128 v[26:29], v78 offset:96
	v_pk_fma_f16 v50, v24, v32, v50
	v_pk_fma_f16 v56, v24, v44, v56
	;; [unrolled: 1-line block ×5, first 2 shown]
	ds_read2_b64 v[22:25], v82 offset0:192 offset1:224
	ds_read_b128 v[30:33], v78 offset:112
	s_waitcnt lgkmcnt(2)
	v_mul_u32_u24_sdwa v61, v26, s38 dst_sel:DWORD dst_unused:UNUSED_PAD src0_sel:WORD_0 src1_sel:DWORD
	v_mul_u32_u24_sdwa v26, v26, s38 dst_sel:DWORD dst_unused:UNUSED_PAD src0_sel:WORD_1 src1_sel:DWORD
	v_mul_u32_u24_sdwa v62, v27, s38 dst_sel:DWORD dst_unused:UNUSED_PAD src0_sel:WORD_0 src1_sel:DWORD
	v_mul_u32_u24_sdwa v27, v27, s38 dst_sel:DWORD dst_unused:UNUSED_PAD src0_sel:WORD_1 src1_sel:DWORD
	;; [unrolled: 2-line block ×4, first 2 shown]
	s_waitcnt lgkmcnt(1)
	v_pk_fma_f16 v45, v22, v61, v45
	v_pk_fma_f16 v46, v22, v26, v46
	;; [unrolled: 1-line block ×16, first 2 shown]
	s_waitcnt lgkmcnt(0)
	v_mul_u32_u24_sdwa v29, v30, s38 dst_sel:DWORD dst_unused:UNUSED_PAD src0_sel:WORD_0 src1_sel:DWORD
	v_mul_u32_u24_sdwa v30, v30, s38 dst_sel:DWORD dst_unused:UNUSED_PAD src0_sel:WORD_1 src1_sel:DWORD
	v_mul_u32_u24_sdwa v37, v31, s38 dst_sel:DWORD dst_unused:UNUSED_PAD src0_sel:WORD_0 src1_sel:DWORD
	v_mul_u32_u24_sdwa v31, v31, s38 dst_sel:DWORD dst_unused:UNUSED_PAD src0_sel:WORD_1 src1_sel:DWORD
	;; [unrolled: 2-line block ×4, first 2 shown]
	v_pk_fma_f16 v45, v24, v29, v45
	v_pk_fma_f16 v51, v24, v37, v51
	;; [unrolled: 1-line block ×9, first 2 shown]
	ds_read_b128 v[26:29], v78 offset:128
	v_add_u32_e32 v43, 0x800, v82
	v_pk_fma_f16 v46, v24, v30, v46
	v_pk_fma_f16 v54, v24, v31, v54
	;; [unrolled: 1-line block ×7, first 2 shown]
	ds_read2_b64 v[22:25], v43 offset1:32
	ds_read_b128 v[30:33], v78 offset:144
	s_waitcnt lgkmcnt(2)
	v_mul_u32_u24_sdwa v62, v26, s38 dst_sel:DWORD dst_unused:UNUSED_PAD src0_sel:WORD_0 src1_sel:DWORD
	v_mul_u32_u24_sdwa v26, v26, s38 dst_sel:DWORD dst_unused:UNUSED_PAD src0_sel:WORD_1 src1_sel:DWORD
	v_mul_u32_u24_sdwa v63, v27, s38 dst_sel:DWORD dst_unused:UNUSED_PAD src0_sel:WORD_0 src1_sel:DWORD
	v_mul_u32_u24_sdwa v27, v27, s38 dst_sel:DWORD dst_unused:UNUSED_PAD src0_sel:WORD_1 src1_sel:DWORD
	;; [unrolled: 2-line block ×4, first 2 shown]
	s_waitcnt lgkmcnt(1)
	v_pk_fma_f16 v45, v22, v62, v45
	v_pk_fma_f16 v46, v22, v26, v46
	;; [unrolled: 1-line block ×16, first 2 shown]
	s_waitcnt lgkmcnt(0)
	v_mul_u32_u24_sdwa v29, v30, s38 dst_sel:DWORD dst_unused:UNUSED_PAD src0_sel:WORD_0 src1_sel:DWORD
	v_mul_u32_u24_sdwa v30, v30, s38 dst_sel:DWORD dst_unused:UNUSED_PAD src0_sel:WORD_1 src1_sel:DWORD
	v_mul_u32_u24_sdwa v37, v31, s38 dst_sel:DWORD dst_unused:UNUSED_PAD src0_sel:WORD_0 src1_sel:DWORD
	v_mul_u32_u24_sdwa v31, v31, s38 dst_sel:DWORD dst_unused:UNUSED_PAD src0_sel:WORD_1 src1_sel:DWORD
	;; [unrolled: 2-line block ×4, first 2 shown]
	v_pk_fma_f16 v45, v24, v29, v45
	v_pk_fma_f16 v51, v24, v37, v51
	;; [unrolled: 1-line block ×9, first 2 shown]
	ds_read_b128 v[26:29], v78 offset:160
	v_pk_fma_f16 v46, v24, v30, v46
	v_pk_fma_f16 v54, v24, v31, v54
	;; [unrolled: 1-line block ×7, first 2 shown]
	ds_read2_b64 v[22:25], v43 offset0:64 offset1:96
	ds_read_b128 v[30:33], v78 offset:176
	s_waitcnt lgkmcnt(2)
	v_mul_u32_u24_sdwa v62, v26, s38 dst_sel:DWORD dst_unused:UNUSED_PAD src0_sel:WORD_0 src1_sel:DWORD
	v_mul_u32_u24_sdwa v26, v26, s38 dst_sel:DWORD dst_unused:UNUSED_PAD src0_sel:WORD_1 src1_sel:DWORD
	v_mul_u32_u24_sdwa v63, v27, s38 dst_sel:DWORD dst_unused:UNUSED_PAD src0_sel:WORD_0 src1_sel:DWORD
	v_mul_u32_u24_sdwa v27, v27, s38 dst_sel:DWORD dst_unused:UNUSED_PAD src0_sel:WORD_1 src1_sel:DWORD
	v_mul_u32_u24_sdwa v64, v28, s38 dst_sel:DWORD dst_unused:UNUSED_PAD src0_sel:WORD_0 src1_sel:DWORD
	v_mul_u32_u24_sdwa v28, v28, s38 dst_sel:DWORD dst_unused:UNUSED_PAD src0_sel:WORD_1 src1_sel:DWORD
	v_mul_u32_u24_sdwa v86, v29, s38 dst_sel:DWORD dst_unused:UNUSED_PAD src0_sel:WORD_0 src1_sel:DWORD
	v_mul_u32_u24_sdwa v29, v29, s38 dst_sel:DWORD dst_unused:UNUSED_PAD src0_sel:WORD_1 src1_sel:DWORD
	s_waitcnt lgkmcnt(1)
	v_pk_fma_f16 v45, v22, v62, v45
	v_pk_fma_f16 v46, v22, v26, v46
	;; [unrolled: 1-line block ×16, first 2 shown]
	s_waitcnt lgkmcnt(0)
	v_mul_u32_u24_sdwa v29, v30, s38 dst_sel:DWORD dst_unused:UNUSED_PAD src0_sel:WORD_0 src1_sel:DWORD
	v_mul_u32_u24_sdwa v30, v30, s38 dst_sel:DWORD dst_unused:UNUSED_PAD src0_sel:WORD_1 src1_sel:DWORD
	v_mul_u32_u24_sdwa v37, v31, s38 dst_sel:DWORD dst_unused:UNUSED_PAD src0_sel:WORD_0 src1_sel:DWORD
	v_mul_u32_u24_sdwa v31, v31, s38 dst_sel:DWORD dst_unused:UNUSED_PAD src0_sel:WORD_1 src1_sel:DWORD
	;; [unrolled: 2-line block ×3, first 2 shown]
	v_pk_fma_f16 v45, v24, v29, v45
	v_pk_fma_f16 v58, v25, v29, v58
	;; [unrolled: 1-line block ×5, first 2 shown]
	ds_read_b128 v[26:29], v78 offset:192
	v_mul_u32_u24_sdwa v59, v33, s38 dst_sel:DWORD dst_unused:UNUSED_PAD src0_sel:WORD_0 src1_sel:DWORD
	v_mul_u32_u24_sdwa v33, v33, s38 dst_sel:DWORD dst_unused:UNUSED_PAD src0_sel:WORD_1 src1_sel:DWORD
	v_pk_fma_f16 v46, v24, v30, v46
	v_pk_fma_f16 v51, v24, v37, v51
	v_pk_fma_f16 v54, v24, v31, v54
	v_pk_fma_f16 v57, v24, v44, v57
	v_pk_fma_f16 v50, v24, v32, v50
	v_pk_fma_f16 v56, v24, v59, v56
	v_pk_fma_f16 v60, v24, v33, v22
	v_pk_fma_f16 v86, v25, v37, v34
	v_pk_fma_f16 v88, v25, v44, v35
	v_pk_fma_f16 v90, v25, v59, v36
	v_pk_fma_f16 v91, v25, v33, v23
	ds_read2_b64 v[22:25], v43 offset0:128 offset1:160
	ds_read_b128 v[30:33], v78 offset:208
	s_or_b32 s39, s16, 16
	s_mul_hi_i32 s45, s39, s8
	s_mul_i32 s44, s39, s8
	s_waitcnt lgkmcnt(2)
	v_mul_u32_u24_sdwa v34, v26, s38 dst_sel:DWORD dst_unused:UNUSED_PAD src0_sel:WORD_0 src1_sel:DWORD
	s_lshl_b64 s[44:45], s[44:45], 2
	s_waitcnt lgkmcnt(1)
	v_pk_fma_f16 v99, v22, v34, v45
	v_mov_b32_e32 v45, s45
	v_add_co_u32_e32 v44, vcc, s44, v80
	v_mul_u32_u24_sdwa v92, v26, s38 dst_sel:DWORD dst_unused:UNUSED_PAD src0_sel:WORD_1 src1_sel:DWORD
	v_mul_u32_u24_sdwa v93, v27, s38 dst_sel:DWORD dst_unused:UNUSED_PAD src0_sel:WORD_0 src1_sel:DWORD
	v_mul_u32_u24_sdwa v94, v27, s38 dst_sel:DWORD dst_unused:UNUSED_PAD src0_sel:WORD_1 src1_sel:DWORD
	v_mul_u32_u24_sdwa v95, v28, s38 dst_sel:DWORD dst_unused:UNUSED_PAD src0_sel:WORD_0 src1_sel:DWORD
	;; [unrolled: 2-line block ×3, first 2 shown]
	v_mul_u32_u24_sdwa v98, v29, s38 dst_sel:DWORD dst_unused:UNUSED_PAD src0_sel:WORD_1 src1_sel:DWORD
	v_addc_co_u32_e32 v45, vcc, v81, v45, vcc
	v_pk_fma_f16 v46, v22, v92, v46
	v_pk_fma_f16 v51, v22, v93, v51
	;; [unrolled: 1-line block ×8, first 2 shown]
	ds_read2_b64 v[26:29], v43 offset0:192 offset1:224
	ds_read_b128 v[34:37], v78 offset:224
	ds_read_b128 v[56:59], v78 offset:240
	s_waitcnt lgkmcnt(0)
	s_barrier
	global_load_dwordx4 v[60:63], v[44:45], off
	v_pk_fma_f16 v44, v23, v92, v64
	v_pk_fma_f16 v45, v23, v93, v86
	v_pk_fma_f16 v64, v23, v94, v87
	v_pk_fma_f16 v86, v23, v95, v88
	v_pk_fma_f16 v87, v23, v96, v89
	v_pk_fma_f16 v88, v23, v97, v90
	v_pk_fma_f16 v23, v23, v98, v91
	v_mul_u32_u24_sdwa v89, v30, s38 dst_sel:DWORD dst_unused:UNUSED_PAD src0_sel:WORD_0 src1_sel:DWORD
	v_mul_u32_u24_sdwa v30, v30, s38 dst_sel:DWORD dst_unused:UNUSED_PAD src0_sel:WORD_1 src1_sel:DWORD
	v_mul_u32_u24_sdwa v90, v31, s38 dst_sel:DWORD dst_unused:UNUSED_PAD src0_sel:WORD_0 src1_sel:DWORD
	v_mul_u32_u24_sdwa v31, v31, s38 dst_sel:DWORD dst_unused:UNUSED_PAD src0_sel:WORD_1 src1_sel:DWORD
	v_mul_u32_u24_sdwa v91, v32, s38 dst_sel:DWORD dst_unused:UNUSED_PAD src0_sel:WORD_0 src1_sel:DWORD
	v_mul_u32_u24_sdwa v32, v32, s38 dst_sel:DWORD dst_unused:UNUSED_PAD src0_sel:WORD_1 src1_sel:DWORD
	v_mul_u32_u24_sdwa v92, v33, s38 dst_sel:DWORD dst_unused:UNUSED_PAD src0_sel:WORD_0 src1_sel:DWORD
	v_mul_u32_u24_sdwa v33, v33, s38 dst_sel:DWORD dst_unused:UNUSED_PAD src0_sel:WORD_1 src1_sel:DWORD
	v_pk_fma_f16 v93, v24, v89, v99
	v_pk_fma_f16 v46, v24, v30, v46
	v_pk_fma_f16 v51, v24, v90, v51
	v_pk_fma_f16 v54, v24, v31, v54
	v_pk_fma_f16 v94, v24, v91, v100
	v_pk_fma_f16 v50, v24, v32, v50
	v_pk_fma_f16 v95, v24, v92, v101
	v_pk_fma_f16 v22, v24, v33, v22
	v_pk_fma_f16 v24, v25, v89, v102
	v_pk_fma_f16 v30, v25, v30, v44
	v_pk_fma_f16 v44, v25, v90, v45
	v_pk_fma_f16 v31, v25, v31, v64
	v_pk_fma_f16 v45, v25, v91, v86
	v_pk_fma_f16 v32, v25, v32, v87
	v_pk_fma_f16 v64, v25, v92, v88
	v_pk_fma_f16 v23, v25, v33, v23
	v_mul_u32_u24_sdwa v25, v34, s38 dst_sel:DWORD dst_unused:UNUSED_PAD src0_sel:WORD_0 src1_sel:DWORD
	v_mul_u32_u24_sdwa v33, v34, s38 dst_sel:DWORD dst_unused:UNUSED_PAD src0_sel:WORD_1 src1_sel:DWORD
	v_mul_u32_u24_sdwa v34, v35, s38 dst_sel:DWORD dst_unused:UNUSED_PAD src0_sel:WORD_0 src1_sel:DWORD
	v_mul_u32_u24_sdwa v35, v35, s38 dst_sel:DWORD dst_unused:UNUSED_PAD src0_sel:WORD_1 src1_sel:DWORD
	v_mul_u32_u24_sdwa v86, v36, s38 dst_sel:DWORD dst_unused:UNUSED_PAD src0_sel:WORD_0 src1_sel:DWORD
	v_mul_u32_u24_sdwa v36, v36, s38 dst_sel:DWORD dst_unused:UNUSED_PAD src0_sel:WORD_1 src1_sel:DWORD
	v_mul_u32_u24_sdwa v87, v37, s38 dst_sel:DWORD dst_unused:UNUSED_PAD src0_sel:WORD_0 src1_sel:DWORD
	v_mul_u32_u24_sdwa v37, v37, s38 dst_sel:DWORD dst_unused:UNUSED_PAD src0_sel:WORD_1 src1_sel:DWORD
	v_pk_fma_f16 v88, v26, v25, v93
	v_pk_fma_f16 v46, v26, v33, v46
	v_pk_fma_f16 v51, v26, v34, v51
	v_pk_fma_f16 v54, v26, v35, v54
	v_pk_fma_f16 v89, v26, v86, v94
	v_pk_fma_f16 v50, v26, v36, v50
	v_pk_fma_f16 v90, v26, v87, v95
	v_pk_fma_f16 v22, v26, v37, v22
	v_pk_fma_f16 v24, v27, v25, v24
	;; [unrolled: 24-line block ×3, first 2 shown]
	v_pk_fma_f16 v90, v29, v34, v25
	v_pk_fma_f16 v91, v29, v35, v26
	v_pk_fma_f16 v92, v29, v36, v30
	v_pk_fma_f16 v93, v29, v37, v31
	v_pk_fma_f16 v44, v29, v44, v32
	v_pk_fma_f16 v45, v29, v45, v33
	v_pk_fma_f16 v94, v29, v56, v23
	s_waitcnt vmcnt(0)
	ds_write_b128 v79, v[60:63]
	s_waitcnt lgkmcnt(0)
	s_barrier
	ds_read_b128 v[22:25], v78 offset:256
	ds_read2_b64 v[26:29], v82 offset1:32
	ds_read_b128 v[30:33], v78 offset:272
	ds_read_b128 v[34:37], v78 offset:288
	;; [unrolled: 1-line block ×3, first 2 shown]
	s_waitcnt lgkmcnt(4)
	v_mul_u32_u24_sdwa v60, v22, s38 dst_sel:DWORD dst_unused:UNUSED_PAD src0_sel:WORD_0 src1_sel:DWORD
	v_mul_u32_u24_sdwa v22, v22, s38 dst_sel:DWORD dst_unused:UNUSED_PAD src0_sel:WORD_1 src1_sel:DWORD
	v_mul_u32_u24_sdwa v61, v23, s38 dst_sel:DWORD dst_unused:UNUSED_PAD src0_sel:WORD_0 src1_sel:DWORD
	v_mul_u32_u24_sdwa v23, v23, s38 dst_sel:DWORD dst_unused:UNUSED_PAD src0_sel:WORD_1 src1_sel:DWORD
	;; [unrolled: 2-line block ×4, first 2 shown]
	s_waitcnt lgkmcnt(3)
	v_pk_fma_f16 v64, v26, v60, v64
	v_pk_fma_f16 v46, v26, v22, v46
	;; [unrolled: 1-line block ×16, first 2 shown]
	s_waitcnt lgkmcnt(2)
	v_mul_u32_u24_sdwa v27, v30, s38 dst_sel:DWORD dst_unused:UNUSED_PAD src0_sel:WORD_0 src1_sel:DWORD
	v_mul_u32_u24_sdwa v30, v30, s38 dst_sel:DWORD dst_unused:UNUSED_PAD src0_sel:WORD_1 src1_sel:DWORD
	v_mul_u32_u24_sdwa v45, v31, s38 dst_sel:DWORD dst_unused:UNUSED_PAD src0_sel:WORD_0 src1_sel:DWORD
	v_mul_u32_u24_sdwa v31, v31, s38 dst_sel:DWORD dst_unused:UNUSED_PAD src0_sel:WORD_1 src1_sel:DWORD
	;; [unrolled: 2-line block ×4, first 2 shown]
	v_pk_fma_f16 v64, v28, v27, v64
	v_pk_fma_f16 v46, v28, v30, v46
	;; [unrolled: 1-line block ×16, first 2 shown]
	ds_read2_b64 v[22:25], v82 offset0:64 offset1:96
	s_waitcnt lgkmcnt(2)
	v_mul_u32_u24_sdwa v33, v34, s38 dst_sel:DWORD dst_unused:UNUSED_PAD src0_sel:WORD_0 src1_sel:DWORD
	v_mul_u32_u24_sdwa v34, v34, s38 dst_sel:DWORD dst_unused:UNUSED_PAD src0_sel:WORD_1 src1_sel:DWORD
	v_mul_u32_u24_sdwa v60, v35, s38 dst_sel:DWORD dst_unused:UNUSED_PAD src0_sel:WORD_0 src1_sel:DWORD
	v_mul_u32_u24_sdwa v35, v35, s38 dst_sel:DWORD dst_unused:UNUSED_PAD src0_sel:WORD_1 src1_sel:DWORD
	;; [unrolled: 2-line block ×4, first 2 shown]
	s_waitcnt lgkmcnt(0)
	v_pk_fma_f16 v63, v22, v33, v64
	v_pk_fma_f16 v46, v22, v34, v46
	;; [unrolled: 1-line block ×16, first 2 shown]
	v_mul_u32_u24_sdwa v29, v56, s38 dst_sel:DWORD dst_unused:UNUSED_PAD src0_sel:WORD_0 src1_sel:DWORD
	v_mul_u32_u24_sdwa v34, v56, s38 dst_sel:DWORD dst_unused:UNUSED_PAD src0_sel:WORD_1 src1_sel:DWORD
	v_mul_u32_u24_sdwa v35, v57, s38 dst_sel:DWORD dst_unused:UNUSED_PAD src0_sel:WORD_0 src1_sel:DWORD
	v_mul_u32_u24_sdwa v36, v57, s38 dst_sel:DWORD dst_unused:UNUSED_PAD src0_sel:WORD_1 src1_sel:DWORD
	;; [unrolled: 2-line block ×4, first 2 shown]
	v_pk_fma_f16 v57, v24, v29, v63
	v_pk_fma_f16 v46, v24, v34, v46
	;; [unrolled: 1-line block ×6, first 2 shown]
	ds_read_b128 v[26:29], v78 offset:320
	v_pk_fma_f16 v54, v24, v36, v54
	v_pk_fma_f16 v58, v24, v37, v64
	;; [unrolled: 1-line block ×10, first 2 shown]
	ds_read2_b64 v[22:25], v82 offset0:128 offset1:160
	ds_read_b128 v[30:33], v78 offset:336
	s_waitcnt lgkmcnt(2)
	v_mul_u32_u24_sdwa v62, v26, s38 dst_sel:DWORD dst_unused:UNUSED_PAD src0_sel:WORD_0 src1_sel:DWORD
	v_mul_u32_u24_sdwa v26, v26, s38 dst_sel:DWORD dst_unused:UNUSED_PAD src0_sel:WORD_1 src1_sel:DWORD
	v_mul_u32_u24_sdwa v63, v27, s38 dst_sel:DWORD dst_unused:UNUSED_PAD src0_sel:WORD_0 src1_sel:DWORD
	v_mul_u32_u24_sdwa v27, v27, s38 dst_sel:DWORD dst_unused:UNUSED_PAD src0_sel:WORD_1 src1_sel:DWORD
	;; [unrolled: 2-line block ×4, first 2 shown]
	s_waitcnt lgkmcnt(1)
	v_pk_fma_f16 v57, v22, v62, v57
	v_pk_fma_f16 v46, v22, v26, v46
	;; [unrolled: 1-line block ×16, first 2 shown]
	s_waitcnt lgkmcnt(0)
	v_mul_u32_u24_sdwa v29, v30, s38 dst_sel:DWORD dst_unused:UNUSED_PAD src0_sel:WORD_0 src1_sel:DWORD
	v_mul_u32_u24_sdwa v30, v30, s38 dst_sel:DWORD dst_unused:UNUSED_PAD src0_sel:WORD_1 src1_sel:DWORD
	v_mul_u32_u24_sdwa v37, v31, s38 dst_sel:DWORD dst_unused:UNUSED_PAD src0_sel:WORD_0 src1_sel:DWORD
	v_mul_u32_u24_sdwa v31, v31, s38 dst_sel:DWORD dst_unused:UNUSED_PAD src0_sel:WORD_1 src1_sel:DWORD
	;; [unrolled: 2-line block ×4, first 2 shown]
	v_pk_fma_f16 v56, v24, v29, v57
	v_pk_fma_f16 v51, v24, v37, v51
	;; [unrolled: 1-line block ×9, first 2 shown]
	ds_read_b128 v[26:29], v78 offset:352
	v_pk_fma_f16 v46, v24, v30, v46
	v_pk_fma_f16 v54, v24, v31, v54
	v_pk_fma_f16 v50, v24, v32, v50
	v_pk_fma_f16 v58, v24, v45, v59
	v_pk_fma_f16 v59, v24, v33, v22
	v_pk_fma_f16 v36, v25, v45, v36
	v_pk_fma_f16 v45, v25, v33, v23
	ds_read2_b64 v[22:25], v82 offset0:192 offset1:224
	ds_read_b128 v[30:33], v78 offset:368
	s_waitcnt lgkmcnt(2)
	v_mul_u32_u24_sdwa v62, v26, s38 dst_sel:DWORD dst_unused:UNUSED_PAD src0_sel:WORD_0 src1_sel:DWORD
	v_mul_u32_u24_sdwa v26, v26, s38 dst_sel:DWORD dst_unused:UNUSED_PAD src0_sel:WORD_1 src1_sel:DWORD
	v_mul_u32_u24_sdwa v63, v27, s38 dst_sel:DWORD dst_unused:UNUSED_PAD src0_sel:WORD_0 src1_sel:DWORD
	v_mul_u32_u24_sdwa v27, v27, s38 dst_sel:DWORD dst_unused:UNUSED_PAD src0_sel:WORD_1 src1_sel:DWORD
	;; [unrolled: 2-line block ×4, first 2 shown]
	s_waitcnt lgkmcnt(1)
	v_pk_fma_f16 v56, v22, v62, v56
	v_pk_fma_f16 v46, v22, v26, v46
	;; [unrolled: 1-line block ×16, first 2 shown]
	s_waitcnt lgkmcnt(0)
	v_mul_u32_u24_sdwa v29, v30, s38 dst_sel:DWORD dst_unused:UNUSED_PAD src0_sel:WORD_0 src1_sel:DWORD
	v_mul_u32_u24_sdwa v30, v30, s38 dst_sel:DWORD dst_unused:UNUSED_PAD src0_sel:WORD_1 src1_sel:DWORD
	v_mul_u32_u24_sdwa v37, v31, s38 dst_sel:DWORD dst_unused:UNUSED_PAD src0_sel:WORD_0 src1_sel:DWORD
	v_mul_u32_u24_sdwa v31, v31, s38 dst_sel:DWORD dst_unused:UNUSED_PAD src0_sel:WORD_1 src1_sel:DWORD
	;; [unrolled: 2-line block ×4, first 2 shown]
	v_pk_fma_f16 v56, v24, v29, v56
	v_pk_fma_f16 v51, v24, v37, v51
	;; [unrolled: 1-line block ×9, first 2 shown]
	ds_read_b128 v[26:29], v78 offset:384
	v_pk_fma_f16 v46, v24, v30, v46
	v_pk_fma_f16 v54, v24, v31, v54
	;; [unrolled: 1-line block ×7, first 2 shown]
	ds_read2_b64 v[22:25], v43 offset1:32
	ds_read_b128 v[30:33], v78 offset:400
	s_waitcnt lgkmcnt(2)
	v_mul_u32_u24_sdwa v62, v26, s38 dst_sel:DWORD dst_unused:UNUSED_PAD src0_sel:WORD_0 src1_sel:DWORD
	v_mul_u32_u24_sdwa v26, v26, s38 dst_sel:DWORD dst_unused:UNUSED_PAD src0_sel:WORD_1 src1_sel:DWORD
	v_mul_u32_u24_sdwa v63, v27, s38 dst_sel:DWORD dst_unused:UNUSED_PAD src0_sel:WORD_0 src1_sel:DWORD
	v_mul_u32_u24_sdwa v27, v27, s38 dst_sel:DWORD dst_unused:UNUSED_PAD src0_sel:WORD_1 src1_sel:DWORD
	;; [unrolled: 2-line block ×4, first 2 shown]
	s_waitcnt lgkmcnt(1)
	v_pk_fma_f16 v56, v22, v62, v56
	v_pk_fma_f16 v46, v22, v26, v46
	;; [unrolled: 1-line block ×16, first 2 shown]
	s_waitcnt lgkmcnt(0)
	v_mul_u32_u24_sdwa v29, v30, s38 dst_sel:DWORD dst_unused:UNUSED_PAD src0_sel:WORD_0 src1_sel:DWORD
	v_mul_u32_u24_sdwa v30, v30, s38 dst_sel:DWORD dst_unused:UNUSED_PAD src0_sel:WORD_1 src1_sel:DWORD
	v_mul_u32_u24_sdwa v37, v31, s38 dst_sel:DWORD dst_unused:UNUSED_PAD src0_sel:WORD_0 src1_sel:DWORD
	v_mul_u32_u24_sdwa v31, v31, s38 dst_sel:DWORD dst_unused:UNUSED_PAD src0_sel:WORD_1 src1_sel:DWORD
	;; [unrolled: 2-line block ×4, first 2 shown]
	v_pk_fma_f16 v56, v24, v29, v56
	v_pk_fma_f16 v51, v24, v37, v51
	;; [unrolled: 1-line block ×9, first 2 shown]
	ds_read_b128 v[26:29], v78 offset:416
	v_pk_fma_f16 v46, v24, v30, v46
	v_pk_fma_f16 v54, v24, v31, v54
	;; [unrolled: 1-line block ×7, first 2 shown]
	ds_read2_b64 v[22:25], v43 offset0:64 offset1:96
	ds_read_b128 v[30:33], v78 offset:432
	s_waitcnt lgkmcnt(2)
	v_mul_u32_u24_sdwa v62, v26, s38 dst_sel:DWORD dst_unused:UNUSED_PAD src0_sel:WORD_0 src1_sel:DWORD
	v_mul_u32_u24_sdwa v26, v26, s38 dst_sel:DWORD dst_unused:UNUSED_PAD src0_sel:WORD_1 src1_sel:DWORD
	v_mul_u32_u24_sdwa v63, v27, s38 dst_sel:DWORD dst_unused:UNUSED_PAD src0_sel:WORD_0 src1_sel:DWORD
	v_mul_u32_u24_sdwa v27, v27, s38 dst_sel:DWORD dst_unused:UNUSED_PAD src0_sel:WORD_1 src1_sel:DWORD
	;; [unrolled: 2-line block ×4, first 2 shown]
	s_waitcnt lgkmcnt(1)
	v_pk_fma_f16 v56, v22, v62, v56
	v_pk_fma_f16 v46, v22, v26, v46
	;; [unrolled: 1-line block ×16, first 2 shown]
	s_waitcnt lgkmcnt(0)
	v_mul_u32_u24_sdwa v29, v30, s38 dst_sel:DWORD dst_unused:UNUSED_PAD src0_sel:WORD_0 src1_sel:DWORD
	v_mul_u32_u24_sdwa v30, v30, s38 dst_sel:DWORD dst_unused:UNUSED_PAD src0_sel:WORD_1 src1_sel:DWORD
	v_mul_u32_u24_sdwa v37, v31, s38 dst_sel:DWORD dst_unused:UNUSED_PAD src0_sel:WORD_0 src1_sel:DWORD
	v_mul_u32_u24_sdwa v31, v31, s38 dst_sel:DWORD dst_unused:UNUSED_PAD src0_sel:WORD_1 src1_sel:DWORD
	;; [unrolled: 2-line block ×3, first 2 shown]
	v_pk_fma_f16 v56, v24, v29, v56
	v_pk_fma_f16 v59, v25, v29, v59
	;; [unrolled: 1-line block ×5, first 2 shown]
	ds_read_b128 v[26:29], v78 offset:448
	v_mul_u32_u24_sdwa v45, v33, s38 dst_sel:DWORD dst_unused:UNUSED_PAD src0_sel:WORD_0 src1_sel:DWORD
	v_mul_u32_u24_sdwa v33, v33, s38 dst_sel:DWORD dst_unused:UNUSED_PAD src0_sel:WORD_1 src1_sel:DWORD
	s_or_b32 s39, s16, 32
	v_pk_fma_f16 v46, v24, v30, v46
	v_pk_fma_f16 v51, v24, v37, v51
	;; [unrolled: 1-line block ×11, first 2 shown]
	ds_read2_b64 v[22:25], v43 offset0:128 offset1:160
	ds_read_b128 v[30:33], v78 offset:464
	s_mul_hi_i32 s45, s39, s8
	s_mul_i32 s44, s39, s8
	s_lshl_b64 s[44:45], s[44:45], 2
	v_mov_b32_e32 v45, s45
	v_add_co_u32_e32 v44, vcc, s44, v80
	s_waitcnt lgkmcnt(2)
	v_mul_u32_u24_sdwa v34, v26, s38 dst_sel:DWORD dst_unused:UNUSED_PAD src0_sel:WORD_0 src1_sel:DWORD
	v_mul_u32_u24_sdwa v92, v26, s38 dst_sel:DWORD dst_unused:UNUSED_PAD src0_sel:WORD_1 src1_sel:DWORD
	v_mul_u32_u24_sdwa v93, v27, s38 dst_sel:DWORD dst_unused:UNUSED_PAD src0_sel:WORD_0 src1_sel:DWORD
	v_mul_u32_u24_sdwa v94, v27, s38 dst_sel:DWORD dst_unused:UNUSED_PAD src0_sel:WORD_1 src1_sel:DWORD
	;; [unrolled: 2-line block ×4, first 2 shown]
	v_addc_co_u32_e32 v45, vcc, v81, v45, vcc
	s_waitcnt lgkmcnt(1)
	v_pk_fma_f16 v99, v22, v34, v56
	v_pk_fma_f16 v46, v22, v92, v46
	;; [unrolled: 1-line block ×9, first 2 shown]
	ds_read2_b64 v[26:29], v43 offset0:192 offset1:224
	ds_read_b128 v[34:37], v78 offset:480
	ds_read_b128 v[56:59], v78 offset:496
	s_waitcnt lgkmcnt(0)
	s_barrier
	global_load_dwordx4 v[60:63], v[44:45], off
	v_pk_fma_f16 v44, v23, v92, v64
	v_pk_fma_f16 v45, v23, v93, v86
	v_pk_fma_f16 v64, v23, v94, v87
	v_pk_fma_f16 v86, v23, v95, v88
	v_pk_fma_f16 v87, v23, v96, v89
	v_pk_fma_f16 v88, v23, v97, v90
	v_pk_fma_f16 v23, v23, v98, v91
	v_mul_u32_u24_sdwa v89, v30, s38 dst_sel:DWORD dst_unused:UNUSED_PAD src0_sel:WORD_0 src1_sel:DWORD
	v_mul_u32_u24_sdwa v30, v30, s38 dst_sel:DWORD dst_unused:UNUSED_PAD src0_sel:WORD_1 src1_sel:DWORD
	v_mul_u32_u24_sdwa v90, v31, s38 dst_sel:DWORD dst_unused:UNUSED_PAD src0_sel:WORD_0 src1_sel:DWORD
	v_mul_u32_u24_sdwa v31, v31, s38 dst_sel:DWORD dst_unused:UNUSED_PAD src0_sel:WORD_1 src1_sel:DWORD
	v_mul_u32_u24_sdwa v91, v32, s38 dst_sel:DWORD dst_unused:UNUSED_PAD src0_sel:WORD_0 src1_sel:DWORD
	v_mul_u32_u24_sdwa v32, v32, s38 dst_sel:DWORD dst_unused:UNUSED_PAD src0_sel:WORD_1 src1_sel:DWORD
	v_mul_u32_u24_sdwa v92, v33, s38 dst_sel:DWORD dst_unused:UNUSED_PAD src0_sel:WORD_0 src1_sel:DWORD
	v_mul_u32_u24_sdwa v33, v33, s38 dst_sel:DWORD dst_unused:UNUSED_PAD src0_sel:WORD_1 src1_sel:DWORD
	v_pk_fma_f16 v93, v24, v89, v99
	v_pk_fma_f16 v46, v24, v30, v46
	v_pk_fma_f16 v51, v24, v90, v51
	v_pk_fma_f16 v54, v24, v31, v54
	v_pk_fma_f16 v94, v24, v91, v100
	v_pk_fma_f16 v50, v24, v32, v50
	v_pk_fma_f16 v95, v24, v92, v101
	v_pk_fma_f16 v22, v24, v33, v22
	v_pk_fma_f16 v24, v25, v89, v102
	v_pk_fma_f16 v30, v25, v30, v44
	v_pk_fma_f16 v44, v25, v90, v45
	v_pk_fma_f16 v31, v25, v31, v64
	v_pk_fma_f16 v45, v25, v91, v86
	v_pk_fma_f16 v32, v25, v32, v87
	v_pk_fma_f16 v64, v25, v92, v88
	v_pk_fma_f16 v23, v25, v33, v23
	v_mul_u32_u24_sdwa v25, v34, s38 dst_sel:DWORD dst_unused:UNUSED_PAD src0_sel:WORD_0 src1_sel:DWORD
	v_mul_u32_u24_sdwa v33, v34, s38 dst_sel:DWORD dst_unused:UNUSED_PAD src0_sel:WORD_1 src1_sel:DWORD
	v_mul_u32_u24_sdwa v34, v35, s38 dst_sel:DWORD dst_unused:UNUSED_PAD src0_sel:WORD_0 src1_sel:DWORD
	v_mul_u32_u24_sdwa v35, v35, s38 dst_sel:DWORD dst_unused:UNUSED_PAD src0_sel:WORD_1 src1_sel:DWORD
	v_mul_u32_u24_sdwa v86, v36, s38 dst_sel:DWORD dst_unused:UNUSED_PAD src0_sel:WORD_0 src1_sel:DWORD
	v_mul_u32_u24_sdwa v36, v36, s38 dst_sel:DWORD dst_unused:UNUSED_PAD src0_sel:WORD_1 src1_sel:DWORD
	v_mul_u32_u24_sdwa v87, v37, s38 dst_sel:DWORD dst_unused:UNUSED_PAD src0_sel:WORD_0 src1_sel:DWORD
	v_mul_u32_u24_sdwa v37, v37, s38 dst_sel:DWORD dst_unused:UNUSED_PAD src0_sel:WORD_1 src1_sel:DWORD
	v_pk_fma_f16 v88, v26, v25, v93
	v_pk_fma_f16 v46, v26, v33, v46
	v_pk_fma_f16 v51, v26, v34, v51
	v_pk_fma_f16 v54, v26, v35, v54
	v_pk_fma_f16 v89, v26, v86, v94
	v_pk_fma_f16 v50, v26, v36, v50
	v_pk_fma_f16 v90, v26, v87, v95
	v_pk_fma_f16 v22, v26, v37, v22
	v_pk_fma_f16 v24, v27, v25, v24
	;; [unrolled: 24-line block ×3, first 2 shown]
	v_pk_fma_f16 v90, v29, v34, v25
	v_pk_fma_f16 v91, v29, v35, v26
	;; [unrolled: 1-line block ×7, first 2 shown]
	s_waitcnt vmcnt(0)
	ds_write_b128 v79, v[60:63]
	s_waitcnt lgkmcnt(0)
	s_barrier
	ds_read_b128 v[22:25], v78 offset:512
	ds_read2_b64 v[26:29], v82 offset1:32
	ds_read_b128 v[30:33], v78 offset:528
	ds_read_b128 v[34:37], v78 offset:544
	;; [unrolled: 1-line block ×3, first 2 shown]
	s_waitcnt lgkmcnt(4)
	v_mul_u32_u24_sdwa v60, v22, s38 dst_sel:DWORD dst_unused:UNUSED_PAD src0_sel:WORD_0 src1_sel:DWORD
	v_mul_u32_u24_sdwa v22, v22, s38 dst_sel:DWORD dst_unused:UNUSED_PAD src0_sel:WORD_1 src1_sel:DWORD
	v_mul_u32_u24_sdwa v61, v23, s38 dst_sel:DWORD dst_unused:UNUSED_PAD src0_sel:WORD_0 src1_sel:DWORD
	v_mul_u32_u24_sdwa v23, v23, s38 dst_sel:DWORD dst_unused:UNUSED_PAD src0_sel:WORD_1 src1_sel:DWORD
	;; [unrolled: 2-line block ×4, first 2 shown]
	s_waitcnt lgkmcnt(3)
	v_pk_fma_f16 v64, v26, v60, v64
	v_pk_fma_f16 v46, v26, v22, v46
	;; [unrolled: 1-line block ×16, first 2 shown]
	s_waitcnt lgkmcnt(2)
	v_mul_u32_u24_sdwa v27, v30, s38 dst_sel:DWORD dst_unused:UNUSED_PAD src0_sel:WORD_0 src1_sel:DWORD
	v_mul_u32_u24_sdwa v30, v30, s38 dst_sel:DWORD dst_unused:UNUSED_PAD src0_sel:WORD_1 src1_sel:DWORD
	v_mul_u32_u24_sdwa v45, v31, s38 dst_sel:DWORD dst_unused:UNUSED_PAD src0_sel:WORD_0 src1_sel:DWORD
	v_mul_u32_u24_sdwa v31, v31, s38 dst_sel:DWORD dst_unused:UNUSED_PAD src0_sel:WORD_1 src1_sel:DWORD
	;; [unrolled: 2-line block ×4, first 2 shown]
	v_pk_fma_f16 v64, v28, v27, v64
	v_pk_fma_f16 v46, v28, v30, v46
	;; [unrolled: 1-line block ×16, first 2 shown]
	ds_read2_b64 v[22:25], v82 offset0:64 offset1:96
	s_waitcnt lgkmcnt(2)
	v_mul_u32_u24_sdwa v33, v34, s38 dst_sel:DWORD dst_unused:UNUSED_PAD src0_sel:WORD_0 src1_sel:DWORD
	v_mul_u32_u24_sdwa v34, v34, s38 dst_sel:DWORD dst_unused:UNUSED_PAD src0_sel:WORD_1 src1_sel:DWORD
	v_mul_u32_u24_sdwa v60, v35, s38 dst_sel:DWORD dst_unused:UNUSED_PAD src0_sel:WORD_0 src1_sel:DWORD
	v_mul_u32_u24_sdwa v35, v35, s38 dst_sel:DWORD dst_unused:UNUSED_PAD src0_sel:WORD_1 src1_sel:DWORD
	;; [unrolled: 2-line block ×4, first 2 shown]
	s_waitcnt lgkmcnt(0)
	v_pk_fma_f16 v63, v22, v33, v64
	v_pk_fma_f16 v46, v22, v34, v46
	;; [unrolled: 1-line block ×16, first 2 shown]
	v_mul_u32_u24_sdwa v29, v56, s38 dst_sel:DWORD dst_unused:UNUSED_PAD src0_sel:WORD_0 src1_sel:DWORD
	v_mul_u32_u24_sdwa v34, v56, s38 dst_sel:DWORD dst_unused:UNUSED_PAD src0_sel:WORD_1 src1_sel:DWORD
	v_mul_u32_u24_sdwa v35, v57, s38 dst_sel:DWORD dst_unused:UNUSED_PAD src0_sel:WORD_0 src1_sel:DWORD
	v_mul_u32_u24_sdwa v36, v57, s38 dst_sel:DWORD dst_unused:UNUSED_PAD src0_sel:WORD_1 src1_sel:DWORD
	;; [unrolled: 2-line block ×4, first 2 shown]
	v_pk_fma_f16 v57, v24, v29, v63
	v_pk_fma_f16 v46, v24, v34, v46
	;; [unrolled: 1-line block ×6, first 2 shown]
	ds_read_b128 v[26:29], v78 offset:576
	v_pk_fma_f16 v54, v24, v36, v54
	v_pk_fma_f16 v58, v24, v37, v64
	;; [unrolled: 1-line block ×10, first 2 shown]
	ds_read2_b64 v[22:25], v82 offset0:128 offset1:160
	ds_read_b128 v[30:33], v78 offset:592
	s_waitcnt lgkmcnt(2)
	v_mul_u32_u24_sdwa v62, v26, s38 dst_sel:DWORD dst_unused:UNUSED_PAD src0_sel:WORD_0 src1_sel:DWORD
	v_mul_u32_u24_sdwa v26, v26, s38 dst_sel:DWORD dst_unused:UNUSED_PAD src0_sel:WORD_1 src1_sel:DWORD
	v_mul_u32_u24_sdwa v63, v27, s38 dst_sel:DWORD dst_unused:UNUSED_PAD src0_sel:WORD_0 src1_sel:DWORD
	v_mul_u32_u24_sdwa v27, v27, s38 dst_sel:DWORD dst_unused:UNUSED_PAD src0_sel:WORD_1 src1_sel:DWORD
	;; [unrolled: 2-line block ×4, first 2 shown]
	s_waitcnt lgkmcnt(1)
	v_pk_fma_f16 v57, v22, v62, v57
	v_pk_fma_f16 v46, v22, v26, v46
	;; [unrolled: 1-line block ×16, first 2 shown]
	s_waitcnt lgkmcnt(0)
	v_mul_u32_u24_sdwa v29, v30, s38 dst_sel:DWORD dst_unused:UNUSED_PAD src0_sel:WORD_0 src1_sel:DWORD
	v_mul_u32_u24_sdwa v30, v30, s38 dst_sel:DWORD dst_unused:UNUSED_PAD src0_sel:WORD_1 src1_sel:DWORD
	v_mul_u32_u24_sdwa v37, v31, s38 dst_sel:DWORD dst_unused:UNUSED_PAD src0_sel:WORD_0 src1_sel:DWORD
	v_mul_u32_u24_sdwa v31, v31, s38 dst_sel:DWORD dst_unused:UNUSED_PAD src0_sel:WORD_1 src1_sel:DWORD
	;; [unrolled: 2-line block ×4, first 2 shown]
	v_pk_fma_f16 v56, v24, v29, v57
	v_pk_fma_f16 v51, v24, v37, v51
	;; [unrolled: 1-line block ×9, first 2 shown]
	ds_read_b128 v[26:29], v78 offset:608
	v_pk_fma_f16 v46, v24, v30, v46
	v_pk_fma_f16 v54, v24, v31, v54
	;; [unrolled: 1-line block ×7, first 2 shown]
	ds_read2_b64 v[22:25], v82 offset0:192 offset1:224
	ds_read_b128 v[30:33], v78 offset:624
	s_waitcnt lgkmcnt(2)
	v_mul_u32_u24_sdwa v62, v26, s38 dst_sel:DWORD dst_unused:UNUSED_PAD src0_sel:WORD_0 src1_sel:DWORD
	v_mul_u32_u24_sdwa v26, v26, s38 dst_sel:DWORD dst_unused:UNUSED_PAD src0_sel:WORD_1 src1_sel:DWORD
	v_mul_u32_u24_sdwa v63, v27, s38 dst_sel:DWORD dst_unused:UNUSED_PAD src0_sel:WORD_0 src1_sel:DWORD
	v_mul_u32_u24_sdwa v27, v27, s38 dst_sel:DWORD dst_unused:UNUSED_PAD src0_sel:WORD_1 src1_sel:DWORD
	;; [unrolled: 2-line block ×4, first 2 shown]
	s_waitcnt lgkmcnt(1)
	v_pk_fma_f16 v56, v22, v62, v56
	v_pk_fma_f16 v46, v22, v26, v46
	;; [unrolled: 1-line block ×16, first 2 shown]
	s_waitcnt lgkmcnt(0)
	v_mul_u32_u24_sdwa v29, v30, s38 dst_sel:DWORD dst_unused:UNUSED_PAD src0_sel:WORD_0 src1_sel:DWORD
	v_mul_u32_u24_sdwa v30, v30, s38 dst_sel:DWORD dst_unused:UNUSED_PAD src0_sel:WORD_1 src1_sel:DWORD
	v_mul_u32_u24_sdwa v37, v31, s38 dst_sel:DWORD dst_unused:UNUSED_PAD src0_sel:WORD_0 src1_sel:DWORD
	v_mul_u32_u24_sdwa v31, v31, s38 dst_sel:DWORD dst_unused:UNUSED_PAD src0_sel:WORD_1 src1_sel:DWORD
	;; [unrolled: 2-line block ×4, first 2 shown]
	v_pk_fma_f16 v56, v24, v29, v56
	v_pk_fma_f16 v51, v24, v37, v51
	;; [unrolled: 1-line block ×9, first 2 shown]
	ds_read_b128 v[26:29], v78 offset:640
	v_pk_fma_f16 v46, v24, v30, v46
	v_pk_fma_f16 v54, v24, v31, v54
	;; [unrolled: 1-line block ×7, first 2 shown]
	ds_read2_b64 v[22:25], v43 offset1:32
	ds_read_b128 v[30:33], v78 offset:656
	s_waitcnt lgkmcnt(2)
	v_mul_u32_u24_sdwa v62, v26, s38 dst_sel:DWORD dst_unused:UNUSED_PAD src0_sel:WORD_0 src1_sel:DWORD
	v_mul_u32_u24_sdwa v26, v26, s38 dst_sel:DWORD dst_unused:UNUSED_PAD src0_sel:WORD_1 src1_sel:DWORD
	v_mul_u32_u24_sdwa v63, v27, s38 dst_sel:DWORD dst_unused:UNUSED_PAD src0_sel:WORD_0 src1_sel:DWORD
	v_mul_u32_u24_sdwa v27, v27, s38 dst_sel:DWORD dst_unused:UNUSED_PAD src0_sel:WORD_1 src1_sel:DWORD
	;; [unrolled: 2-line block ×4, first 2 shown]
	s_waitcnt lgkmcnt(1)
	v_pk_fma_f16 v56, v22, v62, v56
	v_pk_fma_f16 v46, v22, v26, v46
	;; [unrolled: 1-line block ×16, first 2 shown]
	s_waitcnt lgkmcnt(0)
	v_mul_u32_u24_sdwa v29, v30, s38 dst_sel:DWORD dst_unused:UNUSED_PAD src0_sel:WORD_0 src1_sel:DWORD
	v_mul_u32_u24_sdwa v30, v30, s38 dst_sel:DWORD dst_unused:UNUSED_PAD src0_sel:WORD_1 src1_sel:DWORD
	v_mul_u32_u24_sdwa v37, v31, s38 dst_sel:DWORD dst_unused:UNUSED_PAD src0_sel:WORD_0 src1_sel:DWORD
	v_mul_u32_u24_sdwa v31, v31, s38 dst_sel:DWORD dst_unused:UNUSED_PAD src0_sel:WORD_1 src1_sel:DWORD
	;; [unrolled: 2-line block ×4, first 2 shown]
	v_pk_fma_f16 v56, v24, v29, v56
	v_pk_fma_f16 v51, v24, v37, v51
	;; [unrolled: 1-line block ×9, first 2 shown]
	ds_read_b128 v[26:29], v78 offset:672
	v_pk_fma_f16 v46, v24, v30, v46
	v_pk_fma_f16 v54, v24, v31, v54
	;; [unrolled: 1-line block ×7, first 2 shown]
	ds_read2_b64 v[22:25], v43 offset0:64 offset1:96
	ds_read_b128 v[30:33], v78 offset:688
	s_waitcnt lgkmcnt(2)
	v_mul_u32_u24_sdwa v62, v26, s38 dst_sel:DWORD dst_unused:UNUSED_PAD src0_sel:WORD_0 src1_sel:DWORD
	v_mul_u32_u24_sdwa v26, v26, s38 dst_sel:DWORD dst_unused:UNUSED_PAD src0_sel:WORD_1 src1_sel:DWORD
	v_mul_u32_u24_sdwa v63, v27, s38 dst_sel:DWORD dst_unused:UNUSED_PAD src0_sel:WORD_0 src1_sel:DWORD
	v_mul_u32_u24_sdwa v27, v27, s38 dst_sel:DWORD dst_unused:UNUSED_PAD src0_sel:WORD_1 src1_sel:DWORD
	;; [unrolled: 2-line block ×4, first 2 shown]
	s_waitcnt lgkmcnt(1)
	v_pk_fma_f16 v56, v22, v62, v56
	v_pk_fma_f16 v46, v22, v26, v46
	;; [unrolled: 1-line block ×16, first 2 shown]
	s_waitcnt lgkmcnt(0)
	v_mul_u32_u24_sdwa v29, v30, s38 dst_sel:DWORD dst_unused:UNUSED_PAD src0_sel:WORD_0 src1_sel:DWORD
	v_mul_u32_u24_sdwa v30, v30, s38 dst_sel:DWORD dst_unused:UNUSED_PAD src0_sel:WORD_1 src1_sel:DWORD
	v_mul_u32_u24_sdwa v37, v31, s38 dst_sel:DWORD dst_unused:UNUSED_PAD src0_sel:WORD_0 src1_sel:DWORD
	v_mul_u32_u24_sdwa v31, v31, s38 dst_sel:DWORD dst_unused:UNUSED_PAD src0_sel:WORD_1 src1_sel:DWORD
	;; [unrolled: 2-line block ×3, first 2 shown]
	v_pk_fma_f16 v56, v24, v29, v56
	v_pk_fma_f16 v59, v25, v29, v59
	;; [unrolled: 1-line block ×5, first 2 shown]
	ds_read_b128 v[26:29], v78 offset:704
	v_mul_u32_u24_sdwa v45, v33, s38 dst_sel:DWORD dst_unused:UNUSED_PAD src0_sel:WORD_0 src1_sel:DWORD
	v_mul_u32_u24_sdwa v33, v33, s38 dst_sel:DWORD dst_unused:UNUSED_PAD src0_sel:WORD_1 src1_sel:DWORD
	s_or_b32 s39, s16, 48
	v_pk_fma_f16 v46, v24, v30, v46
	v_pk_fma_f16 v51, v24, v37, v51
	;; [unrolled: 1-line block ×11, first 2 shown]
	ds_read2_b64 v[22:25], v43 offset0:128 offset1:160
	ds_read_b128 v[30:33], v78 offset:720
	s_mul_hi_i32 s45, s39, s8
	s_mul_i32 s44, s39, s8
	s_lshl_b64 s[44:45], s[44:45], 2
	v_mov_b32_e32 v45, s45
	v_add_co_u32_e32 v44, vcc, s44, v80
	s_waitcnt lgkmcnt(2)
	v_mul_u32_u24_sdwa v34, v26, s38 dst_sel:DWORD dst_unused:UNUSED_PAD src0_sel:WORD_0 src1_sel:DWORD
	v_mul_u32_u24_sdwa v92, v26, s38 dst_sel:DWORD dst_unused:UNUSED_PAD src0_sel:WORD_1 src1_sel:DWORD
	v_mul_u32_u24_sdwa v93, v27, s38 dst_sel:DWORD dst_unused:UNUSED_PAD src0_sel:WORD_0 src1_sel:DWORD
	v_mul_u32_u24_sdwa v94, v27, s38 dst_sel:DWORD dst_unused:UNUSED_PAD src0_sel:WORD_1 src1_sel:DWORD
	;; [unrolled: 2-line block ×4, first 2 shown]
	v_addc_co_u32_e32 v45, vcc, v81, v45, vcc
	s_waitcnt lgkmcnt(1)
	v_pk_fma_f16 v99, v22, v34, v56
	v_pk_fma_f16 v46, v22, v92, v46
	;; [unrolled: 1-line block ×9, first 2 shown]
	ds_read2_b64 v[26:29], v43 offset0:192 offset1:224
	ds_read_b128 v[34:37], v78 offset:736
	ds_read_b128 v[56:59], v78 offset:752
	s_waitcnt lgkmcnt(0)
	s_barrier
	global_load_dwordx4 v[60:63], v[44:45], off
	v_pk_fma_f16 v44, v23, v92, v64
	v_pk_fma_f16 v45, v23, v93, v86
	v_pk_fma_f16 v64, v23, v94, v87
	v_pk_fma_f16 v86, v23, v95, v88
	v_pk_fma_f16 v87, v23, v96, v89
	v_pk_fma_f16 v88, v23, v97, v90
	v_pk_fma_f16 v23, v23, v98, v91
	v_mul_u32_u24_sdwa v89, v30, s38 dst_sel:DWORD dst_unused:UNUSED_PAD src0_sel:WORD_0 src1_sel:DWORD
	v_mul_u32_u24_sdwa v30, v30, s38 dst_sel:DWORD dst_unused:UNUSED_PAD src0_sel:WORD_1 src1_sel:DWORD
	v_mul_u32_u24_sdwa v90, v31, s38 dst_sel:DWORD dst_unused:UNUSED_PAD src0_sel:WORD_0 src1_sel:DWORD
	v_mul_u32_u24_sdwa v31, v31, s38 dst_sel:DWORD dst_unused:UNUSED_PAD src0_sel:WORD_1 src1_sel:DWORD
	v_mul_u32_u24_sdwa v91, v32, s38 dst_sel:DWORD dst_unused:UNUSED_PAD src0_sel:WORD_0 src1_sel:DWORD
	v_mul_u32_u24_sdwa v32, v32, s38 dst_sel:DWORD dst_unused:UNUSED_PAD src0_sel:WORD_1 src1_sel:DWORD
	v_mul_u32_u24_sdwa v92, v33, s38 dst_sel:DWORD dst_unused:UNUSED_PAD src0_sel:WORD_0 src1_sel:DWORD
	v_mul_u32_u24_sdwa v33, v33, s38 dst_sel:DWORD dst_unused:UNUSED_PAD src0_sel:WORD_1 src1_sel:DWORD
	v_pk_fma_f16 v93, v24, v89, v99
	v_pk_fma_f16 v46, v24, v30, v46
	v_pk_fma_f16 v51, v24, v90, v51
	v_pk_fma_f16 v54, v24, v31, v54
	v_pk_fma_f16 v94, v24, v91, v100
	v_pk_fma_f16 v50, v24, v32, v50
	v_pk_fma_f16 v95, v24, v92, v101
	v_pk_fma_f16 v22, v24, v33, v22
	v_pk_fma_f16 v24, v25, v89, v102
	v_pk_fma_f16 v30, v25, v30, v44
	v_pk_fma_f16 v44, v25, v90, v45
	v_pk_fma_f16 v31, v25, v31, v64
	v_pk_fma_f16 v45, v25, v91, v86
	v_pk_fma_f16 v32, v25, v32, v87
	v_pk_fma_f16 v64, v25, v92, v88
	v_pk_fma_f16 v23, v25, v33, v23
	v_mul_u32_u24_sdwa v25, v34, s38 dst_sel:DWORD dst_unused:UNUSED_PAD src0_sel:WORD_0 src1_sel:DWORD
	v_mul_u32_u24_sdwa v33, v34, s38 dst_sel:DWORD dst_unused:UNUSED_PAD src0_sel:WORD_1 src1_sel:DWORD
	v_mul_u32_u24_sdwa v34, v35, s38 dst_sel:DWORD dst_unused:UNUSED_PAD src0_sel:WORD_0 src1_sel:DWORD
	v_mul_u32_u24_sdwa v35, v35, s38 dst_sel:DWORD dst_unused:UNUSED_PAD src0_sel:WORD_1 src1_sel:DWORD
	v_mul_u32_u24_sdwa v86, v36, s38 dst_sel:DWORD dst_unused:UNUSED_PAD src0_sel:WORD_0 src1_sel:DWORD
	v_mul_u32_u24_sdwa v36, v36, s38 dst_sel:DWORD dst_unused:UNUSED_PAD src0_sel:WORD_1 src1_sel:DWORD
	v_mul_u32_u24_sdwa v87, v37, s38 dst_sel:DWORD dst_unused:UNUSED_PAD src0_sel:WORD_0 src1_sel:DWORD
	v_mul_u32_u24_sdwa v37, v37, s38 dst_sel:DWORD dst_unused:UNUSED_PAD src0_sel:WORD_1 src1_sel:DWORD
	v_pk_fma_f16 v88, v26, v25, v93
	v_pk_fma_f16 v46, v26, v33, v46
	v_pk_fma_f16 v51, v26, v34, v51
	v_pk_fma_f16 v54, v26, v35, v54
	v_pk_fma_f16 v89, v26, v86, v94
	v_pk_fma_f16 v50, v26, v36, v50
	v_pk_fma_f16 v90, v26, v87, v95
	v_pk_fma_f16 v22, v26, v37, v22
	v_pk_fma_f16 v24, v27, v25, v24
	;; [unrolled: 24-line block ×3, first 2 shown]
	v_pk_fma_f16 v90, v29, v34, v25
	v_pk_fma_f16 v91, v29, v35, v26
	v_pk_fma_f16 v92, v29, v36, v30
	v_pk_fma_f16 v93, v29, v37, v31
	v_pk_fma_f16 v44, v29, v44, v32
	v_pk_fma_f16 v45, v29, v45, v33
	v_pk_fma_f16 v94, v29, v56, v23
	s_waitcnt vmcnt(0)
	ds_write_b128 v79, v[60:63]
	s_waitcnt lgkmcnt(0)
	s_barrier
	ds_read_b128 v[22:25], v78 offset:768
	ds_read2_b64 v[26:29], v82 offset1:32
	ds_read_b128 v[30:33], v78 offset:784
	ds_read_b128 v[34:37], v78 offset:800
	ds_read_b128 v[56:59], v78 offset:816
	s_waitcnt lgkmcnt(4)
	v_mul_u32_u24_sdwa v60, v22, s38 dst_sel:DWORD dst_unused:UNUSED_PAD src0_sel:WORD_0 src1_sel:DWORD
	v_mul_u32_u24_sdwa v22, v22, s38 dst_sel:DWORD dst_unused:UNUSED_PAD src0_sel:WORD_1 src1_sel:DWORD
	v_mul_u32_u24_sdwa v61, v23, s38 dst_sel:DWORD dst_unused:UNUSED_PAD src0_sel:WORD_0 src1_sel:DWORD
	v_mul_u32_u24_sdwa v23, v23, s38 dst_sel:DWORD dst_unused:UNUSED_PAD src0_sel:WORD_1 src1_sel:DWORD
	;; [unrolled: 2-line block ×4, first 2 shown]
	s_waitcnt lgkmcnt(3)
	v_pk_fma_f16 v64, v26, v60, v64
	v_pk_fma_f16 v46, v26, v22, v46
	;; [unrolled: 1-line block ×16, first 2 shown]
	s_waitcnt lgkmcnt(2)
	v_mul_u32_u24_sdwa v27, v30, s38 dst_sel:DWORD dst_unused:UNUSED_PAD src0_sel:WORD_0 src1_sel:DWORD
	v_mul_u32_u24_sdwa v30, v30, s38 dst_sel:DWORD dst_unused:UNUSED_PAD src0_sel:WORD_1 src1_sel:DWORD
	v_mul_u32_u24_sdwa v45, v31, s38 dst_sel:DWORD dst_unused:UNUSED_PAD src0_sel:WORD_0 src1_sel:DWORD
	v_mul_u32_u24_sdwa v31, v31, s38 dst_sel:DWORD dst_unused:UNUSED_PAD src0_sel:WORD_1 src1_sel:DWORD
	v_mul_u32_u24_sdwa v63, v32, s38 dst_sel:DWORD dst_unused:UNUSED_PAD src0_sel:WORD_0 src1_sel:DWORD
	v_mul_u32_u24_sdwa v32, v32, s38 dst_sel:DWORD dst_unused:UNUSED_PAD src0_sel:WORD_1 src1_sel:DWORD
	v_mul_u32_u24_sdwa v88, v33, s38 dst_sel:DWORD dst_unused:UNUSED_PAD src0_sel:WORD_0 src1_sel:DWORD
	v_mul_u32_u24_sdwa v33, v33, s38 dst_sel:DWORD dst_unused:UNUSED_PAD src0_sel:WORD_1 src1_sel:DWORD
	v_pk_fma_f16 v64, v28, v27, v64
	v_pk_fma_f16 v46, v28, v30, v46
	;; [unrolled: 1-line block ×16, first 2 shown]
	ds_read2_b64 v[22:25], v82 offset0:64 offset1:96
	s_waitcnt lgkmcnt(2)
	v_mul_u32_u24_sdwa v33, v34, s38 dst_sel:DWORD dst_unused:UNUSED_PAD src0_sel:WORD_0 src1_sel:DWORD
	v_mul_u32_u24_sdwa v34, v34, s38 dst_sel:DWORD dst_unused:UNUSED_PAD src0_sel:WORD_1 src1_sel:DWORD
	v_mul_u32_u24_sdwa v60, v35, s38 dst_sel:DWORD dst_unused:UNUSED_PAD src0_sel:WORD_0 src1_sel:DWORD
	v_mul_u32_u24_sdwa v35, v35, s38 dst_sel:DWORD dst_unused:UNUSED_PAD src0_sel:WORD_1 src1_sel:DWORD
	;; [unrolled: 2-line block ×4, first 2 shown]
	s_waitcnt lgkmcnt(0)
	v_pk_fma_f16 v63, v22, v33, v64
	v_pk_fma_f16 v46, v22, v34, v46
	v_pk_fma_f16 v51, v22, v60, v51
	v_pk_fma_f16 v54, v22, v35, v54
	v_pk_fma_f16 v64, v22, v61, v86
	v_pk_fma_f16 v50, v22, v36, v50
	v_pk_fma_f16 v86, v22, v62, v87
	v_pk_fma_f16 v22, v22, v37, v26
	v_pk_fma_f16 v26, v23, v33, v27
	v_pk_fma_f16 v27, v23, v34, v28
	v_pk_fma_f16 v28, v23, v60, v30
	v_pk_fma_f16 v30, v23, v35, v31
	v_pk_fma_f16 v31, v23, v61, v45
	v_pk_fma_f16 v32, v23, v36, v32
	v_pk_fma_f16 v33, v23, v62, v44
	v_pk_fma_f16 v23, v23, v37, v29
	v_mul_u32_u24_sdwa v29, v56, s38 dst_sel:DWORD dst_unused:UNUSED_PAD src0_sel:WORD_0 src1_sel:DWORD
	v_mul_u32_u24_sdwa v34, v56, s38 dst_sel:DWORD dst_unused:UNUSED_PAD src0_sel:WORD_1 src1_sel:DWORD
	v_mul_u32_u24_sdwa v35, v57, s38 dst_sel:DWORD dst_unused:UNUSED_PAD src0_sel:WORD_0 src1_sel:DWORD
	v_mul_u32_u24_sdwa v36, v57, s38 dst_sel:DWORD dst_unused:UNUSED_PAD src0_sel:WORD_1 src1_sel:DWORD
	;; [unrolled: 2-line block ×4, first 2 shown]
	v_pk_fma_f16 v57, v24, v29, v63
	v_pk_fma_f16 v46, v24, v34, v46
	;; [unrolled: 1-line block ×6, first 2 shown]
	ds_read_b128 v[26:29], v78 offset:832
	v_pk_fma_f16 v54, v24, v36, v54
	v_pk_fma_f16 v58, v24, v37, v64
	;; [unrolled: 1-line block ×10, first 2 shown]
	ds_read2_b64 v[22:25], v82 offset0:128 offset1:160
	ds_read_b128 v[30:33], v78 offset:848
	s_waitcnt lgkmcnt(2)
	v_mul_u32_u24_sdwa v62, v26, s38 dst_sel:DWORD dst_unused:UNUSED_PAD src0_sel:WORD_0 src1_sel:DWORD
	v_mul_u32_u24_sdwa v26, v26, s38 dst_sel:DWORD dst_unused:UNUSED_PAD src0_sel:WORD_1 src1_sel:DWORD
	v_mul_u32_u24_sdwa v63, v27, s38 dst_sel:DWORD dst_unused:UNUSED_PAD src0_sel:WORD_0 src1_sel:DWORD
	v_mul_u32_u24_sdwa v27, v27, s38 dst_sel:DWORD dst_unused:UNUSED_PAD src0_sel:WORD_1 src1_sel:DWORD
	;; [unrolled: 2-line block ×4, first 2 shown]
	s_waitcnt lgkmcnt(1)
	v_pk_fma_f16 v57, v22, v62, v57
	v_pk_fma_f16 v46, v22, v26, v46
	;; [unrolled: 1-line block ×16, first 2 shown]
	s_waitcnt lgkmcnt(0)
	v_mul_u32_u24_sdwa v29, v30, s38 dst_sel:DWORD dst_unused:UNUSED_PAD src0_sel:WORD_0 src1_sel:DWORD
	v_mul_u32_u24_sdwa v30, v30, s38 dst_sel:DWORD dst_unused:UNUSED_PAD src0_sel:WORD_1 src1_sel:DWORD
	v_mul_u32_u24_sdwa v37, v31, s38 dst_sel:DWORD dst_unused:UNUSED_PAD src0_sel:WORD_0 src1_sel:DWORD
	v_mul_u32_u24_sdwa v31, v31, s38 dst_sel:DWORD dst_unused:UNUSED_PAD src0_sel:WORD_1 src1_sel:DWORD
	;; [unrolled: 2-line block ×4, first 2 shown]
	v_pk_fma_f16 v56, v24, v29, v57
	v_pk_fma_f16 v51, v24, v37, v51
	v_pk_fma_f16 v57, v24, v44, v58
	v_pk_fma_f16 v60, v25, v29, v60
	v_pk_fma_f16 v61, v25, v30, v26
	v_pk_fma_f16 v34, v25, v37, v34
	v_pk_fma_f16 v37, v25, v31, v27
	v_pk_fma_f16 v35, v25, v44, v35
	v_pk_fma_f16 v44, v25, v32, v28
	ds_read_b128 v[26:29], v78 offset:864
	v_pk_fma_f16 v46, v24, v30, v46
	v_pk_fma_f16 v54, v24, v31, v54
	;; [unrolled: 1-line block ×7, first 2 shown]
	ds_read2_b64 v[22:25], v82 offset0:192 offset1:224
	ds_read_b128 v[30:33], v78 offset:880
	s_waitcnt lgkmcnt(2)
	v_mul_u32_u24_sdwa v62, v26, s38 dst_sel:DWORD dst_unused:UNUSED_PAD src0_sel:WORD_0 src1_sel:DWORD
	v_mul_u32_u24_sdwa v26, v26, s38 dst_sel:DWORD dst_unused:UNUSED_PAD src0_sel:WORD_1 src1_sel:DWORD
	v_mul_u32_u24_sdwa v63, v27, s38 dst_sel:DWORD dst_unused:UNUSED_PAD src0_sel:WORD_0 src1_sel:DWORD
	v_mul_u32_u24_sdwa v27, v27, s38 dst_sel:DWORD dst_unused:UNUSED_PAD src0_sel:WORD_1 src1_sel:DWORD
	;; [unrolled: 2-line block ×4, first 2 shown]
	s_waitcnt lgkmcnt(1)
	v_pk_fma_f16 v56, v22, v62, v56
	v_pk_fma_f16 v46, v22, v26, v46
	;; [unrolled: 1-line block ×16, first 2 shown]
	s_waitcnt lgkmcnt(0)
	v_mul_u32_u24_sdwa v29, v30, s38 dst_sel:DWORD dst_unused:UNUSED_PAD src0_sel:WORD_0 src1_sel:DWORD
	v_mul_u32_u24_sdwa v30, v30, s38 dst_sel:DWORD dst_unused:UNUSED_PAD src0_sel:WORD_1 src1_sel:DWORD
	v_mul_u32_u24_sdwa v37, v31, s38 dst_sel:DWORD dst_unused:UNUSED_PAD src0_sel:WORD_0 src1_sel:DWORD
	v_mul_u32_u24_sdwa v31, v31, s38 dst_sel:DWORD dst_unused:UNUSED_PAD src0_sel:WORD_1 src1_sel:DWORD
	v_mul_u32_u24_sdwa v44, v32, s38 dst_sel:DWORD dst_unused:UNUSED_PAD src0_sel:WORD_0 src1_sel:DWORD
	v_mul_u32_u24_sdwa v32, v32, s38 dst_sel:DWORD dst_unused:UNUSED_PAD src0_sel:WORD_1 src1_sel:DWORD
	v_mul_u32_u24_sdwa v45, v33, s38 dst_sel:DWORD dst_unused:UNUSED_PAD src0_sel:WORD_0 src1_sel:DWORD
	v_mul_u32_u24_sdwa v33, v33, s38 dst_sel:DWORD dst_unused:UNUSED_PAD src0_sel:WORD_1 src1_sel:DWORD
	v_pk_fma_f16 v56, v24, v29, v56
	v_pk_fma_f16 v51, v24, v37, v51
	;; [unrolled: 1-line block ×9, first 2 shown]
	ds_read_b128 v[26:29], v78 offset:896
	v_pk_fma_f16 v46, v24, v30, v46
	v_pk_fma_f16 v54, v24, v31, v54
	;; [unrolled: 1-line block ×7, first 2 shown]
	ds_read2_b64 v[22:25], v43 offset1:32
	ds_read_b128 v[30:33], v78 offset:912
	s_waitcnt lgkmcnt(2)
	v_mul_u32_u24_sdwa v62, v26, s38 dst_sel:DWORD dst_unused:UNUSED_PAD src0_sel:WORD_0 src1_sel:DWORD
	v_mul_u32_u24_sdwa v26, v26, s38 dst_sel:DWORD dst_unused:UNUSED_PAD src0_sel:WORD_1 src1_sel:DWORD
	v_mul_u32_u24_sdwa v63, v27, s38 dst_sel:DWORD dst_unused:UNUSED_PAD src0_sel:WORD_0 src1_sel:DWORD
	v_mul_u32_u24_sdwa v27, v27, s38 dst_sel:DWORD dst_unused:UNUSED_PAD src0_sel:WORD_1 src1_sel:DWORD
	;; [unrolled: 2-line block ×4, first 2 shown]
	s_waitcnt lgkmcnt(1)
	v_pk_fma_f16 v56, v22, v62, v56
	v_pk_fma_f16 v46, v22, v26, v46
	;; [unrolled: 1-line block ×16, first 2 shown]
	s_waitcnt lgkmcnt(0)
	v_mul_u32_u24_sdwa v29, v30, s38 dst_sel:DWORD dst_unused:UNUSED_PAD src0_sel:WORD_0 src1_sel:DWORD
	v_mul_u32_u24_sdwa v30, v30, s38 dst_sel:DWORD dst_unused:UNUSED_PAD src0_sel:WORD_1 src1_sel:DWORD
	v_mul_u32_u24_sdwa v37, v31, s38 dst_sel:DWORD dst_unused:UNUSED_PAD src0_sel:WORD_0 src1_sel:DWORD
	v_mul_u32_u24_sdwa v31, v31, s38 dst_sel:DWORD dst_unused:UNUSED_PAD src0_sel:WORD_1 src1_sel:DWORD
	;; [unrolled: 2-line block ×4, first 2 shown]
	v_pk_fma_f16 v56, v24, v29, v56
	v_pk_fma_f16 v51, v24, v37, v51
	;; [unrolled: 1-line block ×9, first 2 shown]
	ds_read_b128 v[26:29], v78 offset:928
	v_pk_fma_f16 v46, v24, v30, v46
	v_pk_fma_f16 v54, v24, v31, v54
	;; [unrolled: 1-line block ×7, first 2 shown]
	ds_read2_b64 v[22:25], v43 offset0:64 offset1:96
	ds_read_b128 v[30:33], v78 offset:944
	s_waitcnt lgkmcnt(2)
	v_mul_u32_u24_sdwa v62, v26, s38 dst_sel:DWORD dst_unused:UNUSED_PAD src0_sel:WORD_0 src1_sel:DWORD
	v_mul_u32_u24_sdwa v26, v26, s38 dst_sel:DWORD dst_unused:UNUSED_PAD src0_sel:WORD_1 src1_sel:DWORD
	v_mul_u32_u24_sdwa v63, v27, s38 dst_sel:DWORD dst_unused:UNUSED_PAD src0_sel:WORD_0 src1_sel:DWORD
	v_mul_u32_u24_sdwa v27, v27, s38 dst_sel:DWORD dst_unused:UNUSED_PAD src0_sel:WORD_1 src1_sel:DWORD
	;; [unrolled: 2-line block ×4, first 2 shown]
	s_waitcnt lgkmcnt(1)
	v_pk_fma_f16 v56, v22, v62, v56
	v_pk_fma_f16 v46, v22, v26, v46
	;; [unrolled: 1-line block ×16, first 2 shown]
	s_waitcnt lgkmcnt(0)
	v_mul_u32_u24_sdwa v29, v30, s38 dst_sel:DWORD dst_unused:UNUSED_PAD src0_sel:WORD_0 src1_sel:DWORD
	v_mul_u32_u24_sdwa v30, v30, s38 dst_sel:DWORD dst_unused:UNUSED_PAD src0_sel:WORD_1 src1_sel:DWORD
	v_mul_u32_u24_sdwa v37, v31, s38 dst_sel:DWORD dst_unused:UNUSED_PAD src0_sel:WORD_0 src1_sel:DWORD
	v_mul_u32_u24_sdwa v31, v31, s38 dst_sel:DWORD dst_unused:UNUSED_PAD src0_sel:WORD_1 src1_sel:DWORD
	;; [unrolled: 2-line block ×4, first 2 shown]
	v_pk_fma_f16 v56, v24, v29, v56
	v_pk_fma_f16 v51, v24, v37, v51
	;; [unrolled: 1-line block ×9, first 2 shown]
	ds_read_b128 v[26:29], v78 offset:960
	v_pk_fma_f16 v46, v24, v30, v46
	v_pk_fma_f16 v54, v24, v31, v54
	;; [unrolled: 1-line block ×7, first 2 shown]
	ds_read2_b64 v[22:25], v43 offset0:128 offset1:160
	ds_read_b128 v[30:33], v78 offset:976
	s_waitcnt lgkmcnt(2)
	v_mul_u32_u24_sdwa v62, v26, s38 dst_sel:DWORD dst_unused:UNUSED_PAD src0_sel:WORD_0 src1_sel:DWORD
	v_mul_u32_u24_sdwa v26, v26, s38 dst_sel:DWORD dst_unused:UNUSED_PAD src0_sel:WORD_1 src1_sel:DWORD
	v_mul_u32_u24_sdwa v63, v27, s38 dst_sel:DWORD dst_unused:UNUSED_PAD src0_sel:WORD_0 src1_sel:DWORD
	v_mul_u32_u24_sdwa v27, v27, s38 dst_sel:DWORD dst_unused:UNUSED_PAD src0_sel:WORD_1 src1_sel:DWORD
	;; [unrolled: 2-line block ×4, first 2 shown]
	s_waitcnt lgkmcnt(1)
	v_pk_fma_f16 v56, v22, v62, v56
	v_pk_fma_f16 v46, v22, v26, v46
	;; [unrolled: 1-line block ×16, first 2 shown]
	s_waitcnt lgkmcnt(0)
	v_mul_u32_u24_sdwa v29, v30, s38 dst_sel:DWORD dst_unused:UNUSED_PAD src0_sel:WORD_0 src1_sel:DWORD
	v_mul_u32_u24_sdwa v30, v30, s38 dst_sel:DWORD dst_unused:UNUSED_PAD src0_sel:WORD_1 src1_sel:DWORD
	v_mul_u32_u24_sdwa v37, v31, s38 dst_sel:DWORD dst_unused:UNUSED_PAD src0_sel:WORD_0 src1_sel:DWORD
	v_mul_u32_u24_sdwa v31, v31, s38 dst_sel:DWORD dst_unused:UNUSED_PAD src0_sel:WORD_1 src1_sel:DWORD
	;; [unrolled: 2-line block ×4, first 2 shown]
	v_pk_fma_f16 v56, v24, v29, v56
	v_pk_fma_f16 v46, v24, v30, v46
	;; [unrolled: 1-line block ×14, first 2 shown]
	ds_read_b128 v[26:29], v78 offset:992
	v_pk_fma_f16 v36, v25, v45, v36
	v_pk_fma_f16 v45, v25, v33, v23
	ds_read2_b64 v[22:25], v43 offset0:192 offset1:224
	ds_read_b128 v[30:33], v78 offset:1008
	s_waitcnt lgkmcnt(0)
	s_barrier
	s_load_dword s39, s[10:11], 0x4
	v_mul_u32_u24_sdwa v43, v26, s38 dst_sel:DWORD dst_unused:UNUSED_PAD src0_sel:WORD_0 src1_sel:DWORD
	v_mul_u32_u24_sdwa v26, v26, s38 dst_sel:DWORD dst_unused:UNUSED_PAD src0_sel:WORD_1 src1_sel:DWORD
	v_mul_u32_u24_sdwa v62, v27, s38 dst_sel:DWORD dst_unused:UNUSED_PAD src0_sel:WORD_0 src1_sel:DWORD
	v_mul_u32_u24_sdwa v27, v27, s38 dst_sel:DWORD dst_unused:UNUSED_PAD src0_sel:WORD_1 src1_sel:DWORD
	;; [unrolled: 2-line block ×4, first 2 shown]
	s_waitcnt lgkmcnt(0)
	s_lshl_b32 s39, s39, 6
	v_pk_fma_f16 v56, v22, v43, v56
	v_pk_fma_f16 v46, v22, v26, v46
	;; [unrolled: 1-line block ×16, first 2 shown]
	v_mul_u32_u24_sdwa v29, v30, s38 dst_sel:DWORD dst_unused:UNUSED_PAD src0_sel:WORD_0 src1_sel:DWORD
	v_mul_u32_u24_sdwa v30, v30, s38 dst_sel:DWORD dst_unused:UNUSED_PAD src0_sel:WORD_1 src1_sel:DWORD
	v_mul_u32_u24_sdwa v37, v31, s38 dst_sel:DWORD dst_unused:UNUSED_PAD src0_sel:WORD_0 src1_sel:DWORD
	v_mul_u32_u24_sdwa v31, v31, s38 dst_sel:DWORD dst_unused:UNUSED_PAD src0_sel:WORD_1 src1_sel:DWORD
	;; [unrolled: 2-line block ×4, first 2 shown]
	s_add_i32 s16, s39, s16
	v_pk_fma_f16 v63, v24, v29, v56
	v_pk_fma_f16 v61, v24, v30, v46
	;; [unrolled: 1-line block ×15, first 2 shown]
	s_cmp_lt_i32 s16, s15
	v_pk_fma_f16 v44, v25, v33, v23
	s_cbranch_scc0 .LBB52_45
; %bb.42:                               ;   in Loop: Header=BB52_8 Depth=1
	v_mov_b32_e32 v101, v2
	v_mov_b32_e32 v100, v3
	;; [unrolled: 1-line block ×16, first 2 shown]
	s_branch .LBB52_8
.LBB52_43:
	v_mov_b32_e32 v63, 0
	v_mov_b32_e32 v9, 0xfeffffff
	;; [unrolled: 1-line block ×31, first 2 shown]
	s_cmp_gt_i32 s42, s16
	s_cbranch_scc0 .LBB52_46
.LBB52_44:
                                        ; implicit-def: $vgpr89
                                        ; implicit-def: $vgpr90
                                        ; implicit-def: $vgpr91
                                        ; implicit-def: $vgpr92
                                        ; implicit-def: $vgpr93
                                        ; implicit-def: $vgpr95
                                        ; implicit-def: $vgpr94
                                        ; implicit-def: $vgpr10_vgpr11_vgpr12_vgpr13_vgpr14_vgpr15_vgpr16_vgpr17
	s_branch .LBB52_47
.LBB52_45:
	buffer_load_dword v118, off, s[0:3], 0 offset:24 ; 4-byte Folded Reload
	buffer_load_dword v119, off, s[0:3], 0 offset:20 ; 4-byte Folded Reload
	;; [unrolled: 1-line block ×3, first 2 shown]
	v_or_b32_e32 v112, 7, v39
	v_mov_b32_e32 v113, v53
	v_or_b32_e32 v114, 6, v39
	v_or_b32_e32 v115, 5, v39
	;; [unrolled: 1-line block ×3, first 2 shown]
	v_lshlrev_b32_e32 v117, 2, v0
	v_or_b32_e32 v120, 3, v39
	v_or_b32_e32 v121, 2, v39
	;; [unrolled: 1-line block ×3, first 2 shown]
	v_mov_b32_e32 v124, v74
	v_lshrrev_b32_e32 v125, 4, v0
	v_mbcnt_lo_u32_b32 v22, -1, 0
	v_mov_b32_e32 v23, v73
	v_lshrrev_b32_e32 v24, 2, v0
	s_cmp_gt_i32 s42, s16
	s_cbranch_scc1 .LBB52_44
.LBB52_46:
	v_mbcnt_hi_u32_b32 v89, -1, v22
	v_and_b32_e32 v10, 0x60, v89
	v_add_u32_e32 v90, 32, v10
	v_mov_b32_e32 v17, v9
	v_xor_b32_e32 v91, 16, v89
	v_xor_b32_e32 v92, 8, v89
	;; [unrolled: 1-line block ×5, first 2 shown]
	v_mov_b32_e32 v16, v8
	v_mov_b32_e32 v15, v7
	;; [unrolled: 1-line block ×7, first 2 shown]
	s_cbranch_execnz .LBB52_127
.LBB52_47:
	v_add_u32_e32 v91, v24, v39
	v_mul_lo_u32 v10, s12, v91
	s_mul_hi_i32 s11, s16, s12
	s_mul_i32 s10, s16, s12
	s_mov_b64 s[6:7], src_private_base
	s_sub_i32 s23, s42, s16
	s_lshl_b64 s[10:11], s[10:11], 2
	v_ashrrev_i32_e32 v11, 31, v10
	s_add_u32 s6, s13, s10
	v_lshlrev_b64 v[10:11], 2, v[10:11]
	s_addc_u32 s10, s14, s11
	v_mov_b32_e32 v12, s10
	v_add_co_u32_e32 v10, vcc, s6, v10
	v_addc_co_u32_e32 v11, vcc, v12, v11, vcc
	v_lshlrev_b32_e32 v92, 2, v23
	v_add_co_u32_e32 v16, vcc, v10, v92
	v_addc_co_u32_e32 v17, vcc, 0, v11, vcc
	v_mov_b32_e32 v14, 0
	v_mov_b32_e32 v89, s7
	v_cmp_gt_i32_e32 vcc, s23, v91
	v_mov_b32_e32 v90, 0
	buffer_store_dword v14, off, s[0:3], 0
	buffer_store_dword v14, off, s[0:3], 0 offset:4
	buffer_store_dword v14, off, s[0:3], 0 offset:8
	;; [unrolled: 1-line block ×3, first 2 shown]
	v_cndmask_b32_e32 v11, v89, v17, vcc
	v_cndmask_b32_e32 v10, v90, v16, vcc
	flat_load_dwordx4 v[10:13], v[10:11]
	s_movk_i32 s6, 0x50
	v_mul_u32_u24_e32 v15, 0x50, v0
	v_mov_b32_e32 v86, 0
	v_mad_u32_u24 v91, v91, s6, v92
	v_mov_b32_e32 v53, v22
	v_mov_b32_e32 v84, 0
	;; [unrolled: 1-line block ×16, first 2 shown]
	s_cmp_lg_u64 s[40:41], 0
	v_cmp_gt_i32_e64 s[12:13], s23, v0
	s_waitcnt vmcnt(0) lgkmcnt(0)
	ds_write_b128 v91, v[10:13] offset:24576
	s_waitcnt lgkmcnt(0)
	s_barrier
	ds_read_b128 v[10:13], v15 offset:24576
	ds_read_b128 v[22:25], v15 offset:27136
	ds_read_b128 v[26:29], v49
	ds_read_b128 v[30:33], v49 offset:256
	ds_read_b128 v[34:37], v49 offset:512
	;; [unrolled: 1-line block ×7, first 2 shown]
	s_waitcnt lgkmcnt(7)
	;;#ASMSTART
	v_dot2_f32_f16 v86, v10, v26, v86
	;;#ASMEND
	;;#ASMSTART
	v_dot2_f32_f16 v86, v11, v27, v86
	;;#ASMEND
	;;#ASMSTART
	v_dot2_f32_f16 v86, v12, v28, v86
	;;#ASMEND
	;;#ASMSTART
	v_dot2_f32_f16 v86, v13, v29, v86
	;;#ASMEND
	s_waitcnt lgkmcnt(6)
	;;#ASMSTART
	v_dot2_f32_f16 v84, v10, v30, v84
	;;#ASMEND
	;;#ASMSTART
	v_dot2_f32_f16 v84, v11, v31, v84
	;;#ASMEND
	;;#ASMSTART
	v_dot2_f32_f16 v84, v12, v32, v84
	;;#ASMEND
	;;#ASMSTART
	v_dot2_f32_f16 v84, v13, v33, v84
	;;#ASMEND
	;; [unrolled: 13-line block ×8, first 2 shown]
	;;#ASMSTART
	v_dot2_f32_f16 v88, v22, v26, v88
	;;#ASMEND
	;;#ASMSTART
	v_dot2_f32_f16 v88, v23, v27, v88
	;;#ASMEND
	;; [unrolled: 3-line block ×32, first 2 shown]
	ds_read_b128 v[22:25], v15 offset:24592
	ds_read_b128 v[10:13], v15 offset:27152
	ds_read_b128 v[26:29], v49 offset:16
	ds_read_b128 v[30:33], v49 offset:272
	ds_read_b128 v[34:37], v49 offset:528
	ds_read_b128 v[92:95], v49 offset:784
	ds_read_b128 v[96:99], v49 offset:1040
	ds_read_b128 v[100:103], v49 offset:1296
	ds_read_b128 v[104:107], v49 offset:1552
	ds_read_b128 v[108:111], v49 offset:1808
	s_waitcnt lgkmcnt(7)
	;;#ASMSTART
	v_dot2_f32_f16 v86, v22, v26, v86
	;;#ASMEND
	;;#ASMSTART
	v_dot2_f32_f16 v86, v23, v27, v86
	;;#ASMEND
	;;#ASMSTART
	v_dot2_f32_f16 v86, v24, v28, v86
	;;#ASMEND
	;;#ASMSTART
	v_dot2_f32_f16 v86, v25, v29, v86
	;;#ASMEND
	s_waitcnt lgkmcnt(6)
	;;#ASMSTART
	v_dot2_f32_f16 v84, v22, v30, v84
	;;#ASMEND
	;;#ASMSTART
	v_dot2_f32_f16 v84, v23, v31, v84
	;;#ASMEND
	;;#ASMSTART
	v_dot2_f32_f16 v84, v24, v32, v84
	;;#ASMEND
	;;#ASMSTART
	v_dot2_f32_f16 v84, v25, v33, v84
	;;#ASMEND
	;; [unrolled: 13-line block ×8, first 2 shown]
	;;#ASMSTART
	v_dot2_f32_f16 v88, v10, v26, v88
	;;#ASMEND
	;;#ASMSTART
	v_dot2_f32_f16 v88, v11, v27, v88
	;;#ASMEND
	;; [unrolled: 3-line block ×32, first 2 shown]
	ds_read_b128 v[22:25], v15 offset:24608
	ds_read_b128 v[10:13], v15 offset:27168
	ds_read_b128 v[26:29], v49 offset:32
	ds_read_b128 v[30:33], v49 offset:288
	ds_read_b128 v[34:37], v49 offset:544
	ds_read_b128 v[92:95], v49 offset:800
	ds_read_b128 v[96:99], v49 offset:1056
	ds_read_b128 v[100:103], v49 offset:1312
	ds_read_b128 v[104:107], v49 offset:1568
	ds_read_b128 v[108:111], v49 offset:1824
	s_waitcnt lgkmcnt(7)
	;;#ASMSTART
	v_dot2_f32_f16 v86, v22, v26, v86
	;;#ASMEND
	;;#ASMSTART
	v_dot2_f32_f16 v86, v23, v27, v86
	;;#ASMEND
	;;#ASMSTART
	v_dot2_f32_f16 v86, v24, v28, v86
	;;#ASMEND
	;;#ASMSTART
	v_dot2_f32_f16 v86, v25, v29, v86
	;;#ASMEND
	s_waitcnt lgkmcnt(6)
	;;#ASMSTART
	v_dot2_f32_f16 v84, v22, v30, v84
	;;#ASMEND
	;;#ASMSTART
	v_dot2_f32_f16 v84, v23, v31, v84
	;;#ASMEND
	;;#ASMSTART
	v_dot2_f32_f16 v84, v24, v32, v84
	;;#ASMEND
	;;#ASMSTART
	v_dot2_f32_f16 v84, v25, v33, v84
	;;#ASMEND
	s_waitcnt lgkmcnt(5)
	;;#ASMSTART
	v_dot2_f32_f16 v82, v22, v34, v82
	;;#ASMEND
	;;#ASMSTART
	v_dot2_f32_f16 v82, v23, v35, v82
	;;#ASMEND
	;;#ASMSTART
	v_dot2_f32_f16 v82, v24, v36, v82
	;;#ASMEND
	;;#ASMSTART
	v_dot2_f32_f16 v82, v25, v37, v82
	;;#ASMEND
	s_waitcnt lgkmcnt(4)
	;;#ASMSTART
	v_dot2_f32_f16 v80, v22, v92, v80
	;;#ASMEND
	;;#ASMSTART
	v_dot2_f32_f16 v80, v23, v93, v80
	;;#ASMEND
	;;#ASMSTART
	v_dot2_f32_f16 v80, v24, v94, v80
	;;#ASMEND
	;;#ASMSTART
	v_dot2_f32_f16 v80, v25, v95, v80
	;;#ASMEND
	s_waitcnt lgkmcnt(3)
	;;#ASMSTART
	v_dot2_f32_f16 v78, v22, v96, v78
	;;#ASMEND
	;;#ASMSTART
	v_dot2_f32_f16 v78, v23, v97, v78
	;;#ASMEND
	;;#ASMSTART
	v_dot2_f32_f16 v78, v24, v98, v78
	;;#ASMEND
	;;#ASMSTART
	v_dot2_f32_f16 v78, v25, v99, v78
	;;#ASMEND
	s_waitcnt lgkmcnt(2)
	;;#ASMSTART
	v_dot2_f32_f16 v76, v22, v100, v76
	;;#ASMEND
	;;#ASMSTART
	v_dot2_f32_f16 v76, v23, v101, v76
	;;#ASMEND
	;;#ASMSTART
	v_dot2_f32_f16 v76, v24, v102, v76
	;;#ASMEND
	;;#ASMSTART
	v_dot2_f32_f16 v76, v25, v103, v76
	;;#ASMEND
	s_waitcnt lgkmcnt(1)
	;;#ASMSTART
	v_dot2_f32_f16 v74, v22, v104, v74
	;;#ASMEND
	;;#ASMSTART
	v_dot2_f32_f16 v74, v23, v105, v74
	;;#ASMEND
	;;#ASMSTART
	v_dot2_f32_f16 v74, v24, v106, v74
	;;#ASMEND
	;;#ASMSTART
	v_dot2_f32_f16 v74, v25, v107, v74
	;;#ASMEND
	s_waitcnt lgkmcnt(0)
	;;#ASMSTART
	v_dot2_f32_f16 v73, v22, v108, v73
	;;#ASMEND
	;;#ASMSTART
	v_dot2_f32_f16 v73, v23, v109, v73
	;;#ASMEND
	;;#ASMSTART
	v_dot2_f32_f16 v73, v24, v110, v73
	;;#ASMEND
	;;#ASMSTART
	v_dot2_f32_f16 v73, v25, v111, v73
	;;#ASMEND
	;;#ASMSTART
	v_dot2_f32_f16 v88, v10, v26, v88
	;;#ASMEND
	;;#ASMSTART
	v_dot2_f32_f16 v88, v11, v27, v88
	;;#ASMEND
	;; [unrolled: 3-line block ×32, first 2 shown]
	ds_read_b128 v[22:25], v15 offset:24624
	ds_read_b128 v[10:13], v15 offset:27184
	;; [unrolled: 1-line block ×10, first 2 shown]
	s_waitcnt lgkmcnt(7)
	;;#ASMSTART
	v_dot2_f32_f16 v86, v22, v26, v86
	;;#ASMEND
	;;#ASMSTART
	v_dot2_f32_f16 v86, v23, v27, v86
	;;#ASMEND
	;;#ASMSTART
	v_dot2_f32_f16 v86, v24, v28, v86
	;;#ASMEND
	;;#ASMSTART
	v_dot2_f32_f16 v86, v25, v29, v86
	;;#ASMEND
	s_waitcnt lgkmcnt(6)
	;;#ASMSTART
	v_dot2_f32_f16 v84, v22, v30, v84
	;;#ASMEND
	;;#ASMSTART
	v_dot2_f32_f16 v84, v23, v31, v84
	;;#ASMEND
	;;#ASMSTART
	v_dot2_f32_f16 v84, v24, v32, v84
	;;#ASMEND
	;;#ASMSTART
	v_dot2_f32_f16 v84, v25, v33, v84
	;;#ASMEND
	;; [unrolled: 13-line block ×8, first 2 shown]
	;;#ASMSTART
	v_dot2_f32_f16 v88, v10, v26, v88
	;;#ASMEND
	;;#ASMSTART
	v_dot2_f32_f16 v88, v11, v27, v88
	;;#ASMEND
	;;#ASMSTART
	v_dot2_f32_f16 v88, v12, v28, v88
	;;#ASMEND
	;;#ASMSTART
	v_dot2_f32_f16 v88, v13, v29, v88
	;;#ASMEND
	;;#ASMSTART
	v_dot2_f32_f16 v87, v10, v30, v87
	;;#ASMEND
	;;#ASMSTART
	v_dot2_f32_f16 v87, v11, v31, v87
	;;#ASMEND
	;;#ASMSTART
	v_dot2_f32_f16 v87, v12, v32, v87
	;;#ASMEND
	;;#ASMSTART
	v_dot2_f32_f16 v87, v13, v33, v87
	;;#ASMEND
	;;#ASMSTART
	v_dot2_f32_f16 v85, v10, v34, v85
	;;#ASMEND
	;;#ASMSTART
	v_dot2_f32_f16 v85, v11, v35, v85
	;;#ASMEND
	;;#ASMSTART
	v_dot2_f32_f16 v85, v12, v36, v85
	;;#ASMEND
	;;#ASMSTART
	v_dot2_f32_f16 v85, v13, v37, v85
	;;#ASMEND
	;;#ASMSTART
	v_dot2_f32_f16 v83, v10, v92, v83
	;;#ASMEND
	;;#ASMSTART
	v_dot2_f32_f16 v83, v11, v93, v83
	;;#ASMEND
	;;#ASMSTART
	v_dot2_f32_f16 v83, v12, v94, v83
	;;#ASMEND
	;;#ASMSTART
	v_dot2_f32_f16 v83, v13, v95, v83
	;;#ASMEND
	;;#ASMSTART
	v_dot2_f32_f16 v81, v10, v96, v81
	;;#ASMEND
	;;#ASMSTART
	v_dot2_f32_f16 v81, v11, v97, v81
	;;#ASMEND
	;;#ASMSTART
	v_dot2_f32_f16 v81, v12, v98, v81
	;;#ASMEND
	;;#ASMSTART
	v_dot2_f32_f16 v81, v13, v99, v81
	;;#ASMEND
	;;#ASMSTART
	v_dot2_f32_f16 v79, v10, v100, v79
	;;#ASMEND
	;;#ASMSTART
	v_dot2_f32_f16 v79, v11, v101, v79
	;;#ASMEND
	;;#ASMSTART
	v_dot2_f32_f16 v79, v12, v102, v79
	;;#ASMEND
	;;#ASMSTART
	v_dot2_f32_f16 v79, v13, v103, v79
	;;#ASMEND
	;;#ASMSTART
	v_dot2_f32_f16 v77, v10, v104, v77
	;;#ASMEND
	;;#ASMSTART
	v_dot2_f32_f16 v77, v11, v105, v77
	;;#ASMEND
	;;#ASMSTART
	v_dot2_f32_f16 v77, v12, v106, v77
	;;#ASMEND
	;;#ASMSTART
	v_dot2_f32_f16 v77, v13, v107, v77
	;;#ASMEND
	;;#ASMSTART
	v_dot2_f32_f16 v75, v10, v108, v75
	;;#ASMEND
	;;#ASMSTART
	v_dot2_f32_f16 v75, v11, v109, v75
	;;#ASMEND
	v_add_co_u32_e64 v10, s[6:7], 64, v16
	;;#ASMSTART
	v_dot2_f32_f16 v75, v12, v110, v75
	;;#ASMEND
	v_addc_co_u32_e64 v11, s[6:7], 0, v17, s[6:7]
	;;#ASMSTART
	v_dot2_f32_f16 v75, v13, v111, v75
	;;#ASMEND
	s_barrier
	buffer_store_dword v14, off, s[0:3], 0
	buffer_store_dword v14, off, s[0:3], 0 offset:4
	buffer_store_dword v14, off, s[0:3], 0 offset:8
	;; [unrolled: 1-line block ×3, first 2 shown]
	v_cndmask_b32_e32 v11, v89, v11, vcc
	v_cndmask_b32_e32 v10, v90, v10, vcc
	flat_load_dwordx4 v[10:13], v[10:11]
	s_movk_i32 s6, 0x80
	s_waitcnt vmcnt(0) lgkmcnt(0)
	ds_write_b128 v91, v[10:13] offset:24576
	s_waitcnt lgkmcnt(0)
	s_barrier
	ds_read_b128 v[22:25], v15 offset:24576
	ds_read_b128 v[10:13], v15 offset:27136
	;; [unrolled: 1-line block ×10, first 2 shown]
	s_waitcnt lgkmcnt(7)
	;;#ASMSTART
	v_dot2_f32_f16 v86, v22, v26, v86
	;;#ASMEND
	;;#ASMSTART
	v_dot2_f32_f16 v86, v23, v27, v86
	;;#ASMEND
	;;#ASMSTART
	v_dot2_f32_f16 v86, v24, v28, v86
	;;#ASMEND
	;;#ASMSTART
	v_dot2_f32_f16 v86, v25, v29, v86
	;;#ASMEND
	s_waitcnt lgkmcnt(6)
	;;#ASMSTART
	v_dot2_f32_f16 v84, v22, v30, v84
	;;#ASMEND
	;;#ASMSTART
	v_dot2_f32_f16 v84, v23, v31, v84
	;;#ASMEND
	;;#ASMSTART
	v_dot2_f32_f16 v84, v24, v32, v84
	;;#ASMEND
	;;#ASMSTART
	v_dot2_f32_f16 v84, v25, v33, v84
	;;#ASMEND
	;; [unrolled: 13-line block ×8, first 2 shown]
	;;#ASMSTART
	v_dot2_f32_f16 v88, v10, v26, v88
	;;#ASMEND
	;;#ASMSTART
	v_dot2_f32_f16 v88, v11, v27, v88
	;;#ASMEND
	;; [unrolled: 3-line block ×32, first 2 shown]
	ds_read_b128 v[22:25], v15 offset:24592
	ds_read_b128 v[10:13], v15 offset:27152
	;; [unrolled: 1-line block ×10, first 2 shown]
	s_waitcnt lgkmcnt(7)
	;;#ASMSTART
	v_dot2_f32_f16 v86, v22, v26, v86
	;;#ASMEND
	;;#ASMSTART
	v_dot2_f32_f16 v86, v23, v27, v86
	;;#ASMEND
	;;#ASMSTART
	v_dot2_f32_f16 v86, v24, v28, v86
	;;#ASMEND
	;;#ASMSTART
	v_dot2_f32_f16 v86, v25, v29, v86
	;;#ASMEND
	s_waitcnt lgkmcnt(6)
	;;#ASMSTART
	v_dot2_f32_f16 v84, v22, v30, v84
	;;#ASMEND
	;;#ASMSTART
	v_dot2_f32_f16 v84, v23, v31, v84
	;;#ASMEND
	;;#ASMSTART
	v_dot2_f32_f16 v84, v24, v32, v84
	;;#ASMEND
	;;#ASMSTART
	v_dot2_f32_f16 v84, v25, v33, v84
	;;#ASMEND
	;; [unrolled: 13-line block ×8, first 2 shown]
	;;#ASMSTART
	v_dot2_f32_f16 v88, v10, v26, v88
	;;#ASMEND
	;;#ASMSTART
	v_dot2_f32_f16 v88, v11, v27, v88
	;;#ASMEND
	;; [unrolled: 3-line block ×32, first 2 shown]
	ds_read_b128 v[22:25], v15 offset:24608
	ds_read_b128 v[10:13], v15 offset:27168
	;; [unrolled: 1-line block ×10, first 2 shown]
	s_waitcnt lgkmcnt(7)
	;;#ASMSTART
	v_dot2_f32_f16 v86, v22, v26, v86
	;;#ASMEND
	;;#ASMSTART
	v_dot2_f32_f16 v86, v23, v27, v86
	;;#ASMEND
	;;#ASMSTART
	v_dot2_f32_f16 v86, v24, v28, v86
	;;#ASMEND
	;;#ASMSTART
	v_dot2_f32_f16 v86, v25, v29, v86
	;;#ASMEND
	s_waitcnt lgkmcnt(6)
	;;#ASMSTART
	v_dot2_f32_f16 v84, v22, v30, v84
	;;#ASMEND
	;;#ASMSTART
	v_dot2_f32_f16 v84, v23, v31, v84
	;;#ASMEND
	;;#ASMSTART
	v_dot2_f32_f16 v84, v24, v32, v84
	;;#ASMEND
	;;#ASMSTART
	v_dot2_f32_f16 v84, v25, v33, v84
	;;#ASMEND
	;; [unrolled: 13-line block ×8, first 2 shown]
	;;#ASMSTART
	v_dot2_f32_f16 v88, v10, v26, v88
	;;#ASMEND
	;;#ASMSTART
	v_dot2_f32_f16 v88, v11, v27, v88
	;;#ASMEND
	;; [unrolled: 3-line block ×32, first 2 shown]
	ds_read_b128 v[22:25], v15 offset:24624
	ds_read_b128 v[10:13], v15 offset:27184
	;; [unrolled: 1-line block ×10, first 2 shown]
	s_waitcnt lgkmcnt(7)
	;;#ASMSTART
	v_dot2_f32_f16 v86, v22, v26, v86
	;;#ASMEND
	;;#ASMSTART
	v_dot2_f32_f16 v86, v23, v27, v86
	;;#ASMEND
	;;#ASMSTART
	v_dot2_f32_f16 v86, v24, v28, v86
	;;#ASMEND
	;;#ASMSTART
	v_dot2_f32_f16 v86, v25, v29, v86
	;;#ASMEND
	s_waitcnt lgkmcnt(6)
	;;#ASMSTART
	v_dot2_f32_f16 v84, v22, v30, v84
	;;#ASMEND
	;;#ASMSTART
	v_dot2_f32_f16 v84, v23, v31, v84
	;;#ASMEND
	;;#ASMSTART
	v_dot2_f32_f16 v84, v24, v32, v84
	;;#ASMEND
	;;#ASMSTART
	v_dot2_f32_f16 v84, v25, v33, v84
	;;#ASMEND
	;; [unrolled: 13-line block ×8, first 2 shown]
	;;#ASMSTART
	v_dot2_f32_f16 v88, v10, v26, v88
	;;#ASMEND
	;;#ASMSTART
	v_dot2_f32_f16 v88, v11, v27, v88
	;;#ASMEND
	;;#ASMSTART
	v_dot2_f32_f16 v88, v12, v28, v88
	;;#ASMEND
	;;#ASMSTART
	v_dot2_f32_f16 v88, v13, v29, v88
	;;#ASMEND
	;;#ASMSTART
	v_dot2_f32_f16 v87, v10, v30, v87
	;;#ASMEND
	;;#ASMSTART
	v_dot2_f32_f16 v87, v11, v31, v87
	;;#ASMEND
	;;#ASMSTART
	v_dot2_f32_f16 v87, v12, v32, v87
	;;#ASMEND
	;;#ASMSTART
	v_dot2_f32_f16 v87, v13, v33, v87
	;;#ASMEND
	;;#ASMSTART
	v_dot2_f32_f16 v85, v10, v34, v85
	;;#ASMEND
	;;#ASMSTART
	v_dot2_f32_f16 v85, v11, v35, v85
	;;#ASMEND
	;;#ASMSTART
	v_dot2_f32_f16 v85, v12, v36, v85
	;;#ASMEND
	;;#ASMSTART
	v_dot2_f32_f16 v85, v13, v37, v85
	;;#ASMEND
	;;#ASMSTART
	v_dot2_f32_f16 v83, v10, v92, v83
	;;#ASMEND
	;;#ASMSTART
	v_dot2_f32_f16 v83, v11, v93, v83
	;;#ASMEND
	;;#ASMSTART
	v_dot2_f32_f16 v83, v12, v94, v83
	;;#ASMEND
	;;#ASMSTART
	v_dot2_f32_f16 v83, v13, v95, v83
	;;#ASMEND
	;;#ASMSTART
	v_dot2_f32_f16 v81, v10, v96, v81
	;;#ASMEND
	;;#ASMSTART
	v_dot2_f32_f16 v81, v11, v97, v81
	;;#ASMEND
	;;#ASMSTART
	v_dot2_f32_f16 v81, v12, v98, v81
	;;#ASMEND
	;;#ASMSTART
	v_dot2_f32_f16 v81, v13, v99, v81
	;;#ASMEND
	;;#ASMSTART
	v_dot2_f32_f16 v79, v10, v100, v79
	;;#ASMEND
	;;#ASMSTART
	v_dot2_f32_f16 v79, v11, v101, v79
	;;#ASMEND
	;;#ASMSTART
	v_dot2_f32_f16 v79, v12, v102, v79
	;;#ASMEND
	;;#ASMSTART
	v_dot2_f32_f16 v79, v13, v103, v79
	;;#ASMEND
	;;#ASMSTART
	v_dot2_f32_f16 v77, v10, v104, v77
	;;#ASMEND
	;;#ASMSTART
	v_dot2_f32_f16 v77, v11, v105, v77
	;;#ASMEND
	;;#ASMSTART
	v_dot2_f32_f16 v77, v12, v106, v77
	;;#ASMEND
	;;#ASMSTART
	v_dot2_f32_f16 v77, v13, v107, v77
	;;#ASMEND
	;;#ASMSTART
	v_dot2_f32_f16 v75, v10, v108, v75
	;;#ASMEND
	;;#ASMSTART
	v_dot2_f32_f16 v75, v11, v109, v75
	;;#ASMEND
	v_add_co_u32_e64 v10, s[6:7], s6, v16
	;;#ASMSTART
	v_dot2_f32_f16 v75, v12, v110, v75
	;;#ASMEND
	v_addc_co_u32_e64 v11, s[6:7], 0, v17, s[6:7]
	;;#ASMSTART
	v_dot2_f32_f16 v75, v13, v111, v75
	;;#ASMEND
	s_barrier
	buffer_store_dword v14, off, s[0:3], 0
	buffer_store_dword v14, off, s[0:3], 0 offset:4
	buffer_store_dword v14, off, s[0:3], 0 offset:8
	;; [unrolled: 1-line block ×3, first 2 shown]
	v_cndmask_b32_e32 v11, v89, v11, vcc
	v_cndmask_b32_e32 v10, v90, v10, vcc
	flat_load_dwordx4 v[10:13], v[10:11]
	s_movk_i32 s6, 0xc0
	s_waitcnt vmcnt(0) lgkmcnt(0)
	ds_write_b128 v91, v[10:13] offset:24576
	s_waitcnt lgkmcnt(0)
	s_barrier
	ds_read_b128 v[22:25], v15 offset:24576
	ds_read_b128 v[10:13], v15 offset:27136
	ds_read_b128 v[26:29], v49 offset:128
	ds_read_b128 v[30:33], v49 offset:384
	ds_read_b128 v[34:37], v49 offset:640
	ds_read_b128 v[92:95], v49 offset:896
	ds_read_b128 v[96:99], v49 offset:1152
	ds_read_b128 v[100:103], v49 offset:1408
	ds_read_b128 v[104:107], v49 offset:1664
	ds_read_b128 v[108:111], v49 offset:1920
	s_waitcnt lgkmcnt(7)
	;;#ASMSTART
	v_dot2_f32_f16 v86, v22, v26, v86
	;;#ASMEND
	;;#ASMSTART
	v_dot2_f32_f16 v86, v23, v27, v86
	;;#ASMEND
	;;#ASMSTART
	v_dot2_f32_f16 v86, v24, v28, v86
	;;#ASMEND
	;;#ASMSTART
	v_dot2_f32_f16 v86, v25, v29, v86
	;;#ASMEND
	s_waitcnt lgkmcnt(6)
	;;#ASMSTART
	v_dot2_f32_f16 v84, v22, v30, v84
	;;#ASMEND
	;;#ASMSTART
	v_dot2_f32_f16 v84, v23, v31, v84
	;;#ASMEND
	;;#ASMSTART
	v_dot2_f32_f16 v84, v24, v32, v84
	;;#ASMEND
	;;#ASMSTART
	v_dot2_f32_f16 v84, v25, v33, v84
	;;#ASMEND
	;; [unrolled: 13-line block ×8, first 2 shown]
	;;#ASMSTART
	v_dot2_f32_f16 v88, v10, v26, v88
	;;#ASMEND
	;;#ASMSTART
	v_dot2_f32_f16 v88, v11, v27, v88
	;;#ASMEND
	;; [unrolled: 3-line block ×32, first 2 shown]
	ds_read_b128 v[22:25], v15 offset:24592
	ds_read_b128 v[10:13], v15 offset:27152
	;; [unrolled: 1-line block ×10, first 2 shown]
	s_waitcnt lgkmcnt(7)
	;;#ASMSTART
	v_dot2_f32_f16 v86, v22, v26, v86
	;;#ASMEND
	;;#ASMSTART
	v_dot2_f32_f16 v86, v23, v27, v86
	;;#ASMEND
	;;#ASMSTART
	v_dot2_f32_f16 v86, v24, v28, v86
	;;#ASMEND
	;;#ASMSTART
	v_dot2_f32_f16 v86, v25, v29, v86
	;;#ASMEND
	s_waitcnt lgkmcnt(6)
	;;#ASMSTART
	v_dot2_f32_f16 v84, v22, v30, v84
	;;#ASMEND
	;;#ASMSTART
	v_dot2_f32_f16 v84, v23, v31, v84
	;;#ASMEND
	;;#ASMSTART
	v_dot2_f32_f16 v84, v24, v32, v84
	;;#ASMEND
	;;#ASMSTART
	v_dot2_f32_f16 v84, v25, v33, v84
	;;#ASMEND
	;; [unrolled: 13-line block ×8, first 2 shown]
	;;#ASMSTART
	v_dot2_f32_f16 v88, v10, v26, v88
	;;#ASMEND
	;;#ASMSTART
	v_dot2_f32_f16 v88, v11, v27, v88
	;;#ASMEND
	;; [unrolled: 3-line block ×32, first 2 shown]
	ds_read_b128 v[22:25], v15 offset:24608
	ds_read_b128 v[10:13], v15 offset:27168
	;; [unrolled: 1-line block ×10, first 2 shown]
	s_waitcnt lgkmcnt(7)
	;;#ASMSTART
	v_dot2_f32_f16 v86, v22, v26, v86
	;;#ASMEND
	;;#ASMSTART
	v_dot2_f32_f16 v86, v23, v27, v86
	;;#ASMEND
	;;#ASMSTART
	v_dot2_f32_f16 v86, v24, v28, v86
	;;#ASMEND
	;;#ASMSTART
	v_dot2_f32_f16 v86, v25, v29, v86
	;;#ASMEND
	s_waitcnt lgkmcnt(6)
	;;#ASMSTART
	v_dot2_f32_f16 v84, v22, v30, v84
	;;#ASMEND
	;;#ASMSTART
	v_dot2_f32_f16 v84, v23, v31, v84
	;;#ASMEND
	;;#ASMSTART
	v_dot2_f32_f16 v84, v24, v32, v84
	;;#ASMEND
	;;#ASMSTART
	v_dot2_f32_f16 v84, v25, v33, v84
	;;#ASMEND
	;; [unrolled: 13-line block ×8, first 2 shown]
	;;#ASMSTART
	v_dot2_f32_f16 v88, v10, v26, v88
	;;#ASMEND
	;;#ASMSTART
	v_dot2_f32_f16 v88, v11, v27, v88
	;;#ASMEND
	;; [unrolled: 3-line block ×32, first 2 shown]
	ds_read_b128 v[22:25], v15 offset:24624
	ds_read_b128 v[10:13], v15 offset:27184
	;; [unrolled: 1-line block ×10, first 2 shown]
	s_waitcnt lgkmcnt(7)
	;;#ASMSTART
	v_dot2_f32_f16 v86, v22, v26, v86
	;;#ASMEND
	;;#ASMSTART
	v_dot2_f32_f16 v86, v23, v27, v86
	;;#ASMEND
	;;#ASMSTART
	v_dot2_f32_f16 v86, v24, v28, v86
	;;#ASMEND
	;;#ASMSTART
	v_dot2_f32_f16 v86, v25, v29, v86
	;;#ASMEND
	s_waitcnt lgkmcnt(6)
	;;#ASMSTART
	v_dot2_f32_f16 v84, v22, v30, v84
	;;#ASMEND
	;;#ASMSTART
	v_dot2_f32_f16 v84, v23, v31, v84
	;;#ASMEND
	;;#ASMSTART
	v_dot2_f32_f16 v84, v24, v32, v84
	;;#ASMEND
	;;#ASMSTART
	v_dot2_f32_f16 v84, v25, v33, v84
	;;#ASMEND
	;; [unrolled: 13-line block ×8, first 2 shown]
	;;#ASMSTART
	v_dot2_f32_f16 v88, v10, v26, v88
	;;#ASMEND
	;;#ASMSTART
	v_dot2_f32_f16 v88, v11, v27, v88
	;;#ASMEND
	;; [unrolled: 3-line block ×30, first 2 shown]
	v_add_co_u32_e64 v10, s[6:7], s6, v16
	;;#ASMSTART
	v_dot2_f32_f16 v75, v12, v110, v75
	;;#ASMEND
	v_addc_co_u32_e64 v11, s[6:7], 0, v17, s[6:7]
	;;#ASMSTART
	v_dot2_f32_f16 v75, v13, v111, v75
	;;#ASMEND
	s_barrier
	buffer_store_dword v14, off, s[0:3], 0
	buffer_store_dword v14, off, s[0:3], 0 offset:4
	buffer_store_dword v14, off, s[0:3], 0 offset:8
	;; [unrolled: 1-line block ×3, first 2 shown]
	v_cndmask_b32_e32 v11, v89, v11, vcc
	v_cndmask_b32_e32 v10, v90, v10, vcc
	flat_load_dwordx4 v[10:13], v[10:11]
	s_cselect_b64 s[6:7], -1, 0
	s_waitcnt vmcnt(0) lgkmcnt(0)
	ds_write_b128 v91, v[10:13] offset:24576
	s_waitcnt lgkmcnt(0)
	s_barrier
	ds_read_b128 v[22:25], v15 offset:24576
	ds_read_b128 v[10:13], v15 offset:27136
	;; [unrolled: 1-line block ×10, first 2 shown]
	s_waitcnt lgkmcnt(7)
	;;#ASMSTART
	v_dot2_f32_f16 v86, v22, v26, v86
	;;#ASMEND
	;;#ASMSTART
	v_dot2_f32_f16 v86, v23, v27, v86
	;;#ASMEND
	;;#ASMSTART
	v_dot2_f32_f16 v86, v24, v28, v86
	;;#ASMEND
	;;#ASMSTART
	v_dot2_f32_f16 v86, v25, v29, v86
	;;#ASMEND
	s_waitcnt lgkmcnt(6)
	;;#ASMSTART
	v_dot2_f32_f16 v84, v22, v30, v84
	;;#ASMEND
	;;#ASMSTART
	v_dot2_f32_f16 v84, v23, v31, v84
	;;#ASMEND
	;;#ASMSTART
	v_dot2_f32_f16 v84, v24, v32, v84
	;;#ASMEND
	;;#ASMSTART
	v_dot2_f32_f16 v84, v25, v33, v84
	;;#ASMEND
	;; [unrolled: 13-line block ×8, first 2 shown]
	;;#ASMSTART
	v_dot2_f32_f16 v88, v10, v26, v88
	;;#ASMEND
	;;#ASMSTART
	v_dot2_f32_f16 v88, v11, v27, v88
	;;#ASMEND
	;; [unrolled: 3-line block ×32, first 2 shown]
	ds_read_b128 v[22:25], v15 offset:24592
	ds_read_b128 v[10:13], v15 offset:27152
	;; [unrolled: 1-line block ×10, first 2 shown]
	s_waitcnt lgkmcnt(7)
	;;#ASMSTART
	v_dot2_f32_f16 v86, v22, v26, v86
	;;#ASMEND
	;;#ASMSTART
	v_dot2_f32_f16 v86, v23, v27, v86
	;;#ASMEND
	;;#ASMSTART
	v_dot2_f32_f16 v86, v24, v28, v86
	;;#ASMEND
	;;#ASMSTART
	v_dot2_f32_f16 v86, v25, v29, v86
	;;#ASMEND
	s_waitcnt lgkmcnt(6)
	;;#ASMSTART
	v_dot2_f32_f16 v84, v22, v30, v84
	;;#ASMEND
	;;#ASMSTART
	v_dot2_f32_f16 v84, v23, v31, v84
	;;#ASMEND
	;;#ASMSTART
	v_dot2_f32_f16 v84, v24, v32, v84
	;;#ASMEND
	;;#ASMSTART
	v_dot2_f32_f16 v84, v25, v33, v84
	;;#ASMEND
	s_waitcnt lgkmcnt(5)
	;;#ASMSTART
	v_dot2_f32_f16 v82, v22, v34, v82
	;;#ASMEND
	;;#ASMSTART
	v_dot2_f32_f16 v82, v23, v35, v82
	;;#ASMEND
	;;#ASMSTART
	v_dot2_f32_f16 v82, v24, v36, v82
	;;#ASMEND
	;;#ASMSTART
	v_dot2_f32_f16 v82, v25, v37, v82
	;;#ASMEND
	s_waitcnt lgkmcnt(4)
	;;#ASMSTART
	v_dot2_f32_f16 v80, v22, v89, v80
	;;#ASMEND
	;;#ASMSTART
	v_dot2_f32_f16 v80, v23, v90, v80
	;;#ASMEND
	;;#ASMSTART
	v_dot2_f32_f16 v80, v24, v91, v80
	;;#ASMEND
	;;#ASMSTART
	v_dot2_f32_f16 v80, v25, v92, v80
	;;#ASMEND
	s_waitcnt lgkmcnt(3)
	;;#ASMSTART
	v_dot2_f32_f16 v78, v22, v93, v78
	;;#ASMEND
	;;#ASMSTART
	v_dot2_f32_f16 v78, v23, v94, v78
	;;#ASMEND
	;;#ASMSTART
	v_dot2_f32_f16 v78, v24, v95, v78
	;;#ASMEND
	;;#ASMSTART
	v_dot2_f32_f16 v78, v25, v96, v78
	;;#ASMEND
	s_waitcnt lgkmcnt(2)
	;;#ASMSTART
	v_dot2_f32_f16 v76, v22, v97, v76
	;;#ASMEND
	;;#ASMSTART
	v_dot2_f32_f16 v76, v23, v98, v76
	;;#ASMEND
	;;#ASMSTART
	v_dot2_f32_f16 v76, v24, v99, v76
	;;#ASMEND
	;;#ASMSTART
	v_dot2_f32_f16 v76, v25, v100, v76
	;;#ASMEND
	s_waitcnt lgkmcnt(1)
	;;#ASMSTART
	v_dot2_f32_f16 v74, v22, v101, v74
	;;#ASMEND
	;;#ASMSTART
	v_dot2_f32_f16 v74, v23, v102, v74
	;;#ASMEND
	;;#ASMSTART
	v_dot2_f32_f16 v74, v24, v103, v74
	;;#ASMEND
	;;#ASMSTART
	v_dot2_f32_f16 v74, v25, v104, v74
	;;#ASMEND
	s_waitcnt lgkmcnt(0)
	;;#ASMSTART
	v_dot2_f32_f16 v73, v22, v105, v73
	;;#ASMEND
	;;#ASMSTART
	v_dot2_f32_f16 v73, v23, v106, v73
	;;#ASMEND
	;;#ASMSTART
	v_dot2_f32_f16 v73, v24, v107, v73
	;;#ASMEND
	;;#ASMSTART
	v_dot2_f32_f16 v73, v25, v108, v73
	;;#ASMEND
	;;#ASMSTART
	v_dot2_f32_f16 v88, v10, v26, v88
	;;#ASMEND
	;;#ASMSTART
	v_dot2_f32_f16 v88, v11, v27, v88
	;;#ASMEND
	;; [unrolled: 3-line block ×32, first 2 shown]
	ds_read_b128 v[22:25], v15 offset:24608
	ds_read_b128 v[10:13], v15 offset:27168
	;; [unrolled: 1-line block ×10, first 2 shown]
	s_waitcnt lgkmcnt(7)
	;;#ASMSTART
	v_dot2_f32_f16 v86, v22, v26, v86
	;;#ASMEND
	;;#ASMSTART
	v_dot2_f32_f16 v86, v23, v27, v86
	;;#ASMEND
	;;#ASMSTART
	v_dot2_f32_f16 v86, v24, v28, v86
	;;#ASMEND
	;;#ASMSTART
	v_dot2_f32_f16 v86, v25, v29, v86
	;;#ASMEND
	s_waitcnt lgkmcnt(6)
	;;#ASMSTART
	v_dot2_f32_f16 v84, v22, v30, v84
	;;#ASMEND
	;;#ASMSTART
	v_dot2_f32_f16 v84, v23, v31, v84
	;;#ASMEND
	;;#ASMSTART
	v_dot2_f32_f16 v84, v24, v32, v84
	;;#ASMEND
	;;#ASMSTART
	v_dot2_f32_f16 v84, v25, v33, v84
	;;#ASMEND
	;; [unrolled: 13-line block ×8, first 2 shown]
	;;#ASMSTART
	v_dot2_f32_f16 v88, v10, v26, v88
	;;#ASMEND
	;;#ASMSTART
	v_dot2_f32_f16 v88, v11, v27, v88
	;;#ASMEND
	;; [unrolled: 3-line block ×32, first 2 shown]
	ds_read_b128 v[22:25], v15 offset:24624
	ds_read_b128 v[10:13], v15 offset:27184
	ds_read_b128 v[26:29], v49 offset:240
	ds_read_b128 v[30:33], v49 offset:496
	ds_read_b128 v[34:37], v49 offset:752
	ds_read_b128 v[89:92], v49 offset:1008
	ds_read_b128 v[93:96], v49 offset:1264
	ds_read_b128 v[97:100], v49 offset:1520
	ds_read_b128 v[101:104], v49 offset:1776
	ds_read_b128 v[105:108], v49 offset:2032
	s_waitcnt lgkmcnt(7)
	;;#ASMSTART
	v_dot2_f32_f16 v86, v22, v26, v86
	;;#ASMEND
	;;#ASMSTART
	v_dot2_f32_f16 v86, v23, v27, v86
	;;#ASMEND
	;;#ASMSTART
	v_dot2_f32_f16 v86, v24, v28, v86
	;;#ASMEND
	;;#ASMSTART
	v_dot2_f32_f16 v86, v25, v29, v86
	;;#ASMEND
	s_waitcnt lgkmcnt(6)
	;;#ASMSTART
	v_dot2_f32_f16 v84, v22, v30, v84
	;;#ASMEND
	;;#ASMSTART
	v_dot2_f32_f16 v84, v23, v31, v84
	;;#ASMEND
	;;#ASMSTART
	v_dot2_f32_f16 v84, v24, v32, v84
	;;#ASMEND
	;;#ASMSTART
	v_dot2_f32_f16 v84, v25, v33, v84
	;;#ASMEND
	;; [unrolled: 13-line block ×8, first 2 shown]
	;;#ASMSTART
	v_dot2_f32_f16 v88, v10, v26, v88
	;;#ASMEND
	;;#ASMSTART
	v_dot2_f32_f16 v88, v11, v27, v88
	;;#ASMEND
	;; [unrolled: 3-line block ×31, first 2 shown]
	v_cndmask_b32_e64 v11, 0, 1, s[6:7]
	;;#ASMSTART
	v_dot2_f32_f16 v75, v13, v108, v75
	;;#ASMEND
	v_add_u32_e32 v10, s16, v55
	v_cmp_ne_u32_e64 s[6:7], 1, v11
	v_mov_b32_e32 v13, v2
	s_and_saveexec_b64 s[10:11], s[12:13]
	s_cbranch_execz .LBB52_51
; %bb.48:
	s_and_b64 vcc, exec, s[6:7]
	s_cbranch_vccnz .LBB52_50
; %bb.49:
	v_add_u32_e32 v11, v10, v0
	v_ashrrev_i32_e32 v12, 31, v11
	v_lshlrev_b64 v[11:12], 1, v[11:12]
	v_mov_b32_e32 v13, s41
	v_add_co_u32_e32 v11, vcc, s40, v11
	v_addc_co_u32_e32 v12, vcc, v13, v12, vcc
	global_load_ushort v11, v[11:12], off
	s_waitcnt vmcnt(0)
	v_cvt_f32_f16_e32 v11, v11
	v_mul_f32_e32 v14, v21, v11
.LBB52_50:
	v_add_f32_e32 v86, v86, v14
	v_add_f32_e32 v11, 0x40051340, v86
	v_max_f32_e32 v12, v2, v2
	v_max_f32_e32 v13, v12, v11
.LBB52_51:
	s_or_b64 exec, exec, s[10:11]
	v_add_u32_e32 v49, 32, v0
	v_cmp_gt_i32_e64 s[10:11], s23, v49
	s_and_saveexec_b64 s[14:15], s[10:11]
	s_cbranch_execz .LBB52_56
; %bb.52:
	s_and_b64 vcc, exec, s[6:7]
	s_cbranch_vccnz .LBB52_54
; %bb.53:
	v_ashrrev_i32_e32 v11, 31, v10
	v_add_co_u32_e32 v10, vcc, v10, v0
	v_addc_co_u32_e32 v11, vcc, 0, v11, vcc
	v_lshlrev_b64 v[10:11], 1, v[10:11]
	v_mov_b32_e32 v12, s41
	v_add_co_u32_e32 v10, vcc, s40, v10
	v_addc_co_u32_e32 v11, vcc, v12, v11, vcc
	global_load_ushort v10, v[10:11], off offset:64
	s_waitcnt vmcnt(0)
	v_cvt_f32_f16_e32 v10, v10
	v_mul_f32_e32 v10, v21, v10
	s_branch .LBB52_55
.LBB52_54:
	v_mov_b32_e32 v10, 0
.LBB52_55:
	v_add_f32_e32 v88, v88, v10
	v_add_f32_e32 v10, 0x40051340, v88
	v_max_f32_e32 v11, v13, v13
	v_max_f32_e32 v13, v11, v10
.LBB52_56:
	s_or_b64 exec, exec, s[14:15]
	v_mbcnt_hi_u32_b32 v89, -1, v53
	v_and_b32_e32 v10, 0x60, v89
	v_add_u32_e32 v90, 32, v10
	v_xor_b32_e32 v91, 16, v89
	v_cmp_lt_i32_e32 vcc, v91, v90
	v_cndmask_b32_e32 v10, v89, v91, vcc
	v_lshlrev_b32_e32 v11, 2, v10
	ds_bpermute_b32 v14, v11, v13
	v_xor_b32_e32 v92, 8, v89
	v_cmp_lt_i32_e32 vcc, v92, v90
	v_cndmask_b32_e32 v10, v89, v92, vcc
	v_max_f32_e32 v13, v13, v13
	s_waitcnt lgkmcnt(0)
	v_max_f32_e32 v14, v14, v14
	v_lshlrev_b32_e32 v10, 2, v10
	v_max_f32_e32 v13, v13, v14
	ds_bpermute_b32 v14, v10, v13
	v_xor_b32_e32 v93, 4, v89
	v_cmp_lt_i32_e32 vcc, v93, v90
	v_cndmask_b32_e32 v12, v89, v93, vcc
	v_lshlrev_b32_e32 v12, 2, v12
	s_waitcnt lgkmcnt(0)
	v_max_f32_e32 v14, v14, v14
	v_max_f32_e32 v13, v13, v14
	ds_bpermute_b32 v14, v12, v13
	v_xor_b32_e32 v95, 2, v89
	v_mul_hi_u32 v16, s28, v52
	v_cmp_lt_i32_e32 vcc, v95, v90
	v_cndmask_b32_e32 v15, v89, v95, vcc
	s_waitcnt lgkmcnt(0)
	v_max_f32_e32 v14, v14, v14
	v_lshlrev_b32_e32 v17, 2, v15
	v_max_f32_e32 v13, v13, v14
	ds_bpermute_b32 v14, v17, v13
	v_add_u32_e32 v16, v52, v16
	v_lshrrev_b32_e32 v16, s29, v16
	v_mul_lo_u32 v16, v16, s30
	v_xor_b32_e32 v94, 1, v89
	v_cmp_lt_i32_e32 vcc, v94, v90
	v_cndmask_b32_e32 v15, v89, v94, vcc
	s_waitcnt lgkmcnt(0)
	v_max_f32_e32 v14, v14, v14
	v_lshlrev_b32_e32 v55, 2, v15
	v_max_f32_e32 v53, v13, v14
	v_sub_u32_e32 v13, v52, v16
	v_mul_lo_u32 v13, v13, s22
	ds_bpermute_b32 v52, v55, v53
	v_add_u32_e32 v14, s16, v13
	v_mov_b32_e32 v13, v3
	s_and_saveexec_b64 s[14:15], s[12:13]
	s_cbranch_execz .LBB52_61
; %bb.57:
	s_and_b64 vcc, exec, s[6:7]
	s_cbranch_vccnz .LBB52_59
; %bb.58:
	v_add_u32_e32 v15, v14, v0
	v_ashrrev_i32_e32 v16, 31, v15
	v_lshlrev_b64 v[15:16], 1, v[15:16]
	v_mov_b32_e32 v13, s41
	v_add_co_u32_e32 v15, vcc, s40, v15
	v_addc_co_u32_e32 v16, vcc, v13, v16, vcc
	global_load_ushort v13, v[15:16], off
	s_waitcnt vmcnt(0)
	v_cvt_f32_f16_e32 v13, v13
	v_mul_f32_e32 v13, v21, v13
	s_branch .LBB52_60
.LBB52_59:
	v_mov_b32_e32 v13, 0
.LBB52_60:
	v_add_f32_e32 v84, v84, v13
	v_add_f32_e32 v13, 0x40051340, v84
	v_max_f32_e32 v15, v3, v3
	v_max_f32_e32 v13, v15, v13
.LBB52_61:
	s_or_b64 exec, exec, s[14:15]
	s_and_saveexec_b64 s[14:15], s[10:11]
	s_cbranch_execz .LBB52_66
; %bb.62:
	s_and_b64 vcc, exec, s[6:7]
	s_cbranch_vccnz .LBB52_64
; %bb.63:
	v_ashrrev_i32_e32 v15, 31, v14
	v_add_co_u32_e32 v14, vcc, v14, v0
	v_addc_co_u32_e32 v15, vcc, 0, v15, vcc
	v_lshlrev_b64 v[14:15], 1, v[14:15]
	v_mov_b32_e32 v16, s41
	v_add_co_u32_e32 v14, vcc, s40, v14
	v_addc_co_u32_e32 v15, vcc, v16, v15, vcc
	global_load_ushort v14, v[14:15], off offset:64
	s_waitcnt vmcnt(0)
	v_cvt_f32_f16_e32 v14, v14
	v_mul_f32_e32 v14, v21, v14
	s_branch .LBB52_65
.LBB52_64:
	v_mov_b32_e32 v14, 0
.LBB52_65:
	v_add_f32_e32 v87, v87, v14
	v_add_f32_e32 v14, 0x40051340, v87
	v_max_f32_e32 v13, v13, v13
	v_max_f32_e32 v13, v13, v14
.LBB52_66:
	s_or_b64 exec, exec, s[14:15]
	ds_bpermute_b32 v14, v11, v13
	v_max_f32_e32 v13, v13, v13
	v_mul_hi_u32 v15, s28, v48
	s_waitcnt lgkmcnt(0)
	v_max_f32_e32 v14, v14, v14
	v_max_f32_e32 v13, v13, v14
	ds_bpermute_b32 v14, v10, v13
	v_add_u32_e32 v15, v48, v15
	v_lshrrev_b32_e32 v15, s29, v15
	v_mul_lo_u32 v15, v15, s30
	s_waitcnt lgkmcnt(0)
	v_max_f32_e32 v14, v14, v14
	v_max_f32_e32 v13, v13, v14
	ds_bpermute_b32 v14, v12, v13
	v_sub_u32_e32 v15, v48, v15
	s_waitcnt lgkmcnt(0)
	v_max_f32_e32 v14, v14, v14
	v_max_f32_e32 v13, v13, v14
	ds_bpermute_b32 v14, v17, v13
	s_waitcnt lgkmcnt(0)
	v_max_f32_e32 v14, v14, v14
	v_max_f32_e32 v48, v13, v14
	v_mul_lo_u32 v13, v15, s22
	ds_bpermute_b32 v96, v55, v48
	v_add_u32_e32 v14, s16, v13
	v_mov_b32_e32 v13, v4
	s_and_saveexec_b64 s[14:15], s[12:13]
	s_cbranch_execz .LBB52_71
; %bb.67:
	s_and_b64 vcc, exec, s[6:7]
	s_cbranch_vccnz .LBB52_69
; %bb.68:
	v_add_u32_e32 v15, v14, v0
	v_ashrrev_i32_e32 v16, 31, v15
	v_lshlrev_b64 v[15:16], 1, v[15:16]
	v_mov_b32_e32 v13, s41
	v_add_co_u32_e32 v15, vcc, s40, v15
	v_addc_co_u32_e32 v16, vcc, v13, v16, vcc
	global_load_ushort v13, v[15:16], off
	s_waitcnt vmcnt(0)
	v_cvt_f32_f16_e32 v13, v13
	v_mul_f32_e32 v13, v21, v13
	s_branch .LBB52_70
.LBB52_69:
	v_mov_b32_e32 v13, 0
.LBB52_70:
	v_add_f32_e32 v82, v82, v13
	v_add_f32_e32 v13, 0x40051340, v82
	v_max_f32_e32 v15, v4, v4
	v_max_f32_e32 v13, v15, v13
.LBB52_71:
	s_or_b64 exec, exec, s[14:15]
	s_and_saveexec_b64 s[14:15], s[10:11]
	s_cbranch_execz .LBB52_76
; %bb.72:
	s_and_b64 vcc, exec, s[6:7]
	s_cbranch_vccnz .LBB52_74
; %bb.73:
	v_ashrrev_i32_e32 v15, 31, v14
	v_add_co_u32_e32 v14, vcc, v14, v0
	v_addc_co_u32_e32 v15, vcc, 0, v15, vcc
	v_lshlrev_b64 v[14:15], 1, v[14:15]
	v_mov_b32_e32 v16, s41
	v_add_co_u32_e32 v14, vcc, s40, v14
	v_addc_co_u32_e32 v15, vcc, v16, v15, vcc
	global_load_ushort v14, v[14:15], off offset:64
	s_waitcnt vmcnt(0)
	v_cvt_f32_f16_e32 v14, v14
	v_mul_f32_e32 v14, v21, v14
	s_branch .LBB52_75
.LBB52_74:
	v_mov_b32_e32 v14, 0
.LBB52_75:
	v_add_f32_e32 v85, v85, v14
	v_add_f32_e32 v14, 0x40051340, v85
	v_max_f32_e32 v13, v13, v13
	v_max_f32_e32 v13, v13, v14
.LBB52_76:
	s_or_b64 exec, exec, s[14:15]
	ds_bpermute_b32 v14, v11, v13
	v_max_f32_e32 v13, v13, v13
	v_mul_hi_u32 v15, s28, v47
	s_waitcnt lgkmcnt(0)
	v_max_f32_e32 v14, v14, v14
	v_max_f32_e32 v13, v13, v14
	ds_bpermute_b32 v14, v10, v13
	v_add_u32_e32 v15, v47, v15
	v_lshrrev_b32_e32 v15, s29, v15
	v_mul_lo_u32 v15, v15, s30
	s_waitcnt lgkmcnt(0)
	v_max_f32_e32 v14, v14, v14
	v_max_f32_e32 v13, v13, v14
	ds_bpermute_b32 v14, v12, v13
	v_sub_u32_e32 v15, v47, v15
	s_waitcnt lgkmcnt(0)
	v_max_f32_e32 v14, v14, v14
	v_max_f32_e32 v13, v13, v14
	ds_bpermute_b32 v14, v17, v13
	s_waitcnt lgkmcnt(0)
	v_max_f32_e32 v14, v14, v14
	v_max_f32_e32 v47, v13, v14
	v_mul_lo_u32 v13, v15, s22
	ds_bpermute_b32 v97, v55, v47
	v_add_u32_e32 v14, s16, v13
	v_mov_b32_e32 v13, v5
	s_and_saveexec_b64 s[14:15], s[12:13]
	s_cbranch_execz .LBB52_81
; %bb.77:
	s_and_b64 vcc, exec, s[6:7]
	s_cbranch_vccnz .LBB52_79
; %bb.78:
	v_add_u32_e32 v15, v14, v0
	v_ashrrev_i32_e32 v16, 31, v15
	v_lshlrev_b64 v[15:16], 1, v[15:16]
	v_mov_b32_e32 v13, s41
	v_add_co_u32_e32 v15, vcc, s40, v15
	v_addc_co_u32_e32 v16, vcc, v13, v16, vcc
	global_load_ushort v13, v[15:16], off
	s_waitcnt vmcnt(0)
	v_cvt_f32_f16_e32 v13, v13
	v_mul_f32_e32 v13, v21, v13
	s_branch .LBB52_80
.LBB52_79:
	v_mov_b32_e32 v13, 0
.LBB52_80:
	v_add_f32_e32 v80, v80, v13
	v_add_f32_e32 v13, 0x40051340, v80
	v_max_f32_e32 v15, v5, v5
	v_max_f32_e32 v13, v15, v13
.LBB52_81:
	s_or_b64 exec, exec, s[14:15]
	s_and_saveexec_b64 s[14:15], s[10:11]
	s_cbranch_execz .LBB52_86
; %bb.82:
	s_and_b64 vcc, exec, s[6:7]
	s_cbranch_vccnz .LBB52_84
; %bb.83:
	v_ashrrev_i32_e32 v15, 31, v14
	v_add_co_u32_e32 v14, vcc, v14, v0
	v_addc_co_u32_e32 v15, vcc, 0, v15, vcc
	v_lshlrev_b64 v[14:15], 1, v[14:15]
	v_mov_b32_e32 v16, s41
	v_add_co_u32_e32 v14, vcc, s40, v14
	v_addc_co_u32_e32 v15, vcc, v16, v15, vcc
	global_load_ushort v14, v[14:15], off offset:64
	s_waitcnt vmcnt(0)
	v_cvt_f32_f16_e32 v14, v14
	v_mul_f32_e32 v14, v21, v14
	s_branch .LBB52_85
.LBB52_84:
	v_mov_b32_e32 v14, 0
.LBB52_85:
	v_add_f32_e32 v83, v83, v14
	v_add_f32_e32 v14, 0x40051340, v83
	v_max_f32_e32 v13, v13, v13
	v_max_f32_e32 v13, v13, v14
.LBB52_86:
	s_or_b64 exec, exec, s[14:15]
	ds_bpermute_b32 v14, v11, v13
	v_max_f32_e32 v13, v13, v13
	v_or_b32_e32 v16, 4, v41
	v_mul_hi_u32 v15, s28, v16
	s_waitcnt lgkmcnt(0)
	v_max_f32_e32 v14, v14, v14
	v_max_f32_e32 v13, v13, v14
	ds_bpermute_b32 v14, v10, v13
	v_add_u32_e32 v15, v16, v15
	v_lshrrev_b32_e32 v15, s29, v15
	v_mul_lo_u32 v15, v15, s30
	s_waitcnt lgkmcnt(0)
	v_max_f32_e32 v14, v14, v14
	v_max_f32_e32 v13, v13, v14
	ds_bpermute_b32 v14, v12, v13
	v_sub_u32_e32 v15, v16, v15
	s_waitcnt lgkmcnt(0)
	v_max_f32_e32 v14, v14, v14
	v_max_f32_e32 v13, v13, v14
	ds_bpermute_b32 v14, v17, v13
	s_waitcnt lgkmcnt(0)
	v_max_f32_e32 v14, v14, v14
	v_max_f32_e32 v13, v13, v14
	v_mul_lo_u32 v14, v15, s22
	ds_bpermute_b32 v25, v55, v13
	v_add_u32_e32 v15, s16, v14
	v_mov_b32_e32 v14, v6
	s_and_saveexec_b64 s[14:15], s[12:13]
	s_cbranch_execz .LBB52_91
; %bb.87:
	s_and_b64 vcc, exec, s[6:7]
	s_cbranch_vccnz .LBB52_89
; %bb.88:
	v_add_u32_e32 v22, v15, v0
	v_ashrrev_i32_e32 v23, 31, v22
	v_lshlrev_b64 v[22:23], 1, v[22:23]
	v_mov_b32_e32 v14, s41
	v_add_co_u32_e32 v22, vcc, s40, v22
	v_addc_co_u32_e32 v23, vcc, v14, v23, vcc
	global_load_ushort v14, v[22:23], off
	s_waitcnt vmcnt(0)
	v_cvt_f32_f16_e32 v14, v14
	v_mul_f32_e32 v14, v21, v14
	s_branch .LBB52_90
.LBB52_89:
	v_mov_b32_e32 v14, 0
.LBB52_90:
	v_add_f32_e32 v78, v78, v14
	v_add_f32_e32 v14, 0x40051340, v78
	v_max_f32_e32 v16, v6, v6
	v_max_f32_e32 v14, v16, v14
.LBB52_91:
	s_or_b64 exec, exec, s[14:15]
	s_and_saveexec_b64 s[14:15], s[10:11]
	s_cbranch_execz .LBB52_96
; %bb.92:
	s_and_b64 vcc, exec, s[6:7]
	s_cbranch_vccnz .LBB52_94
; %bb.93:
	v_ashrrev_i32_e32 v16, 31, v15
	v_add_co_u32_e32 v15, vcc, v15, v0
	v_addc_co_u32_e32 v16, vcc, 0, v16, vcc
	v_lshlrev_b64 v[15:16], 1, v[15:16]
	v_mov_b32_e32 v22, s41
	v_add_co_u32_e32 v15, vcc, s40, v15
	v_addc_co_u32_e32 v16, vcc, v22, v16, vcc
	global_load_ushort v15, v[15:16], off offset:64
	s_waitcnt vmcnt(0)
	v_cvt_f32_f16_e32 v15, v15
	v_mul_f32_e32 v15, v21, v15
	s_branch .LBB52_95
.LBB52_94:
	v_mov_b32_e32 v15, 0
.LBB52_95:
	v_add_f32_e32 v81, v81, v15
	v_add_f32_e32 v15, 0x40051340, v81
	v_max_f32_e32 v14, v14, v14
	v_max_f32_e32 v14, v14, v15
.LBB52_96:
	s_or_b64 exec, exec, s[14:15]
	ds_bpermute_b32 v15, v11, v14
	v_max_f32_e32 v14, v14, v14
	v_or_b32_e32 v22, 5, v41
	v_mul_hi_u32 v16, s28, v22
	s_waitcnt lgkmcnt(0)
	v_max_f32_e32 v15, v15, v15
	v_max_f32_e32 v14, v14, v15
	ds_bpermute_b32 v15, v10, v14
	v_add_u32_e32 v16, v22, v16
	v_lshrrev_b32_e32 v16, s29, v16
	v_mul_lo_u32 v16, v16, s30
	s_waitcnt lgkmcnt(0)
	v_max_f32_e32 v15, v15, v15
	v_max_f32_e32 v14, v14, v15
	ds_bpermute_b32 v15, v12, v14
	v_sub_u32_e32 v16, v22, v16
	s_waitcnt lgkmcnt(0)
	v_max_f32_e32 v15, v15, v15
	v_max_f32_e32 v14, v14, v15
	ds_bpermute_b32 v15, v17, v14
	s_waitcnt lgkmcnt(0)
	v_max_f32_e32 v15, v15, v15
	v_max_f32_e32 v14, v14, v15
	v_mul_lo_u32 v15, v16, s22
	ds_bpermute_b32 v24, v55, v14
	v_add_u32_e32 v16, s16, v15
	v_mov_b32_e32 v15, v7
	s_and_saveexec_b64 s[14:15], s[12:13]
	s_cbranch_execz .LBB52_101
; %bb.97:
	s_and_b64 vcc, exec, s[6:7]
	s_cbranch_vccnz .LBB52_99
; %bb.98:
	v_add_u32_e32 v22, v16, v0
	v_ashrrev_i32_e32 v23, 31, v22
	v_lshlrev_b64 v[22:23], 1, v[22:23]
	v_mov_b32_e32 v15, s41
	v_add_co_u32_e32 v22, vcc, s40, v22
	v_addc_co_u32_e32 v23, vcc, v15, v23, vcc
	global_load_ushort v15, v[22:23], off
	s_waitcnt vmcnt(0)
	v_cvt_f32_f16_e32 v15, v15
	v_mul_f32_e32 v15, v21, v15
	s_branch .LBB52_100
.LBB52_99:
	v_mov_b32_e32 v15, 0
.LBB52_100:
	v_add_f32_e32 v76, v76, v15
	v_add_f32_e32 v15, 0x40051340, v76
	v_max_f32_e32 v22, v7, v7
	v_max_f32_e32 v15, v22, v15
.LBB52_101:
	s_or_b64 exec, exec, s[14:15]
	s_and_saveexec_b64 s[14:15], s[10:11]
	s_cbranch_execz .LBB52_106
; %bb.102:
	s_and_b64 vcc, exec, s[6:7]
	s_cbranch_vccnz .LBB52_104
; %bb.103:
	v_ashrrev_i32_e32 v23, 31, v16
	v_add_co_u32_e32 v22, vcc, v16, v0
	v_addc_co_u32_e32 v23, vcc, 0, v23, vcc
	v_lshlrev_b64 v[22:23], 1, v[22:23]
	v_mov_b32_e32 v16, s41
	v_add_co_u32_e32 v22, vcc, s40, v22
	v_addc_co_u32_e32 v23, vcc, v16, v23, vcc
	global_load_ushort v16, v[22:23], off offset:64
	s_waitcnt vmcnt(0)
	v_cvt_f32_f16_e32 v16, v16
	v_mul_f32_e32 v16, v21, v16
	s_branch .LBB52_105
.LBB52_104:
	v_mov_b32_e32 v16, 0
.LBB52_105:
	v_add_f32_e32 v79, v79, v16
	v_add_f32_e32 v16, 0x40051340, v79
	v_max_f32_e32 v15, v15, v15
	v_max_f32_e32 v15, v15, v16
.LBB52_106:
	s_or_b64 exec, exec, s[14:15]
	ds_bpermute_b32 v16, v11, v15
	v_max_f32_e32 v15, v15, v15
	v_mul_hi_u32 v22, s28, v20
	s_waitcnt lgkmcnt(0)
	v_max_f32_e32 v16, v16, v16
	v_max_f32_e32 v15, v15, v16
	ds_bpermute_b32 v16, v10, v15
	v_add_u32_e32 v22, v20, v22
	v_lshrrev_b32_e32 v22, s29, v22
	v_mul_lo_u32 v22, v22, s30
	s_waitcnt lgkmcnt(0)
	v_max_f32_e32 v16, v16, v16
	v_max_f32_e32 v15, v15, v16
	ds_bpermute_b32 v16, v12, v15
	v_sub_u32_e32 v20, v20, v22
	s_waitcnt lgkmcnt(0)
	v_max_f32_e32 v16, v16, v16
	v_max_f32_e32 v15, v15, v16
	ds_bpermute_b32 v16, v17, v15
	s_waitcnt lgkmcnt(0)
	v_max_f32_e32 v16, v16, v16
	v_max_f32_e32 v15, v15, v16
	v_mul_lo_u32 v16, v20, s22
	ds_bpermute_b32 v23, v55, v15
	v_add_u32_e32 v98, s16, v16
	v_mov_b32_e32 v16, v8
	s_and_saveexec_b64 s[14:15], s[12:13]
	s_cbranch_execz .LBB52_111
; %bb.107:
	s_and_b64 vcc, exec, s[6:7]
	s_cbranch_vccnz .LBB52_109
; %bb.108:
	v_add_u32_e32 v26, v98, v0
	v_ashrrev_i32_e32 v27, 31, v26
	v_lshlrev_b64 v[26:27], 1, v[26:27]
	v_mov_b32_e32 v16, s41
	v_add_co_u32_e32 v26, vcc, s40, v26
	v_addc_co_u32_e32 v27, vcc, v16, v27, vcc
	global_load_ushort v16, v[26:27], off
	s_waitcnt vmcnt(0)
	v_cvt_f32_f16_e32 v16, v16
	v_mul_f32_e32 v16, v21, v16
	s_branch .LBB52_110
.LBB52_109:
	v_mov_b32_e32 v16, 0
.LBB52_110:
	v_add_f32_e32 v74, v74, v16
	v_add_f32_e32 v16, 0x40051340, v74
	v_max_f32_e32 v20, v8, v8
	v_max_f32_e32 v16, v20, v16
.LBB52_111:
	s_or_b64 exec, exec, s[14:15]
	s_and_saveexec_b64 s[14:15], s[10:11]
	s_cbranch_execz .LBB52_116
; %bb.112:
	s_and_b64 vcc, exec, s[6:7]
	s_cbranch_vccnz .LBB52_114
; %bb.113:
	v_ashrrev_i32_e32 v20, 31, v98
	v_add_co_u32_e32 v26, vcc, v98, v0
	v_addc_co_u32_e32 v27, vcc, 0, v20, vcc
	v_lshlrev_b64 v[26:27], 1, v[26:27]
	v_mov_b32_e32 v20, s41
	v_add_co_u32_e32 v26, vcc, s40, v26
	v_addc_co_u32_e32 v27, vcc, v20, v27, vcc
	global_load_ushort v20, v[26:27], off offset:64
	s_waitcnt vmcnt(0)
	v_cvt_f32_f16_e32 v20, v20
	v_mul_f32_e32 v98, v21, v20
	s_branch .LBB52_115
.LBB52_114:
	v_mov_b32_e32 v98, 0
.LBB52_115:
	v_add_f32_e32 v77, v77, v98
	v_add_f32_e32 v20, 0x40051340, v77
	v_max_f32_e32 v16, v16, v16
	v_max_f32_e32 v16, v16, v20
.LBB52_116:
	s_or_b64 exec, exec, s[14:15]
	ds_bpermute_b32 v20, v11, v16
	v_max_f32_e32 v16, v16, v16
	v_mul_hi_u32 v22, s28, v19
	v_mov_b32_e32 v98, v9
	s_waitcnt lgkmcnt(0)
	v_max_f32_e32 v20, v20, v20
	v_max_f32_e32 v16, v16, v20
	ds_bpermute_b32 v20, v10, v16
	v_add_u32_e32 v22, v19, v22
	v_lshrrev_b32_e32 v22, s29, v22
	v_mul_lo_u32 v22, v22, s30
	s_waitcnt lgkmcnt(0)
	v_max_f32_e32 v20, v20, v20
	v_max_f32_e32 v16, v16, v20
	ds_bpermute_b32 v20, v12, v16
	v_sub_u32_e32 v19, v19, v22
	v_mul_lo_u32 v19, v19, s22
	s_waitcnt lgkmcnt(0)
	v_max_f32_e32 v20, v20, v20
	v_max_f32_e32 v16, v16, v20
	ds_bpermute_b32 v20, v17, v16
	v_add_u32_e32 v99, s16, v19
	s_waitcnt lgkmcnt(0)
	v_max_f32_e32 v20, v20, v20
	v_max_f32_e32 v16, v16, v20
	ds_bpermute_b32 v22, v55, v16
	s_and_saveexec_b64 s[14:15], s[12:13]
	s_cbranch_execz .LBB52_121
; %bb.117:
	s_and_b64 vcc, exec, s[6:7]
	s_cbranch_vccnz .LBB52_119
; %bb.118:
	v_add_u32_e32 v19, v99, v0
	v_ashrrev_i32_e32 v20, 31, v19
	v_lshlrev_b64 v[19:20], 1, v[19:20]
	v_mov_b32_e32 v26, s41
	v_add_co_u32_e32 v19, vcc, s40, v19
	v_addc_co_u32_e32 v20, vcc, v26, v20, vcc
	global_load_ushort v19, v[19:20], off
	s_waitcnt vmcnt(0)
	v_cvt_f32_f16_e32 v19, v19
	v_mul_f32_e32 v98, v21, v19
	s_branch .LBB52_120
.LBB52_119:
	v_mov_b32_e32 v98, 0
.LBB52_120:
	v_add_f32_e32 v73, v73, v98
	v_add_f32_e32 v19, 0x40051340, v73
	v_max_f32_e32 v20, v9, v9
	v_max_f32_e32 v98, v20, v19
.LBB52_121:
	s_or_b64 exec, exec, s[14:15]
	s_and_saveexec_b64 s[12:13], s[10:11]
	s_cbranch_execz .LBB52_126
; %bb.122:
	s_and_b64 vcc, exec, s[6:7]
	s_cbranch_vccnz .LBB52_124
; %bb.123:
	v_ashrrev_i32_e32 v20, 31, v99
	v_add_co_u32_e32 v19, vcc, v99, v0
	v_addc_co_u32_e32 v20, vcc, 0, v20, vcc
	v_lshlrev_b64 v[19:20], 1, v[19:20]
	v_mov_b32_e32 v26, s41
	v_add_co_u32_e32 v19, vcc, s40, v19
	v_addc_co_u32_e32 v20, vcc, v26, v20, vcc
	global_load_ushort v19, v[19:20], off offset:64
	s_waitcnt vmcnt(0)
	v_cvt_f32_f16_e32 v19, v19
	v_mul_f32_e32 v21, v21, v19
	s_branch .LBB52_125
.LBB52_124:
	v_mov_b32_e32 v21, 0
.LBB52_125:
	v_add_f32_e32 v75, v75, v21
	v_add_f32_e32 v19, 0x40051340, v75
	v_max_f32_e32 v20, v98, v98
	v_max_f32_e32 v98, v20, v19
.LBB52_126:
	s_or_b64 exec, exec, s[12:13]
	ds_bpermute_b32 v11, v11, v98
	v_max_f32_e32 v20, v98, v98
	s_waitcnt lgkmcnt(1)
	v_max_f32_e32 v19, v22, v22
	v_max_f32_e32 v16, v16, v16
	v_max_f32_e32 v16, v16, v19
	s_waitcnt lgkmcnt(0)
	v_max_f32_e32 v11, v11, v11
	v_max_f32_e32 v11, v20, v11
	ds_bpermute_b32 v10, v10, v11
	v_max_f32_e32 v19, v23, v23
	v_max_f32_e32 v15, v15, v15
	v_max_f32_e32 v13, v13, v13
	v_max_f32_e32 v15, v15, v19
	s_waitcnt lgkmcnt(0)
	v_max_f32_e32 v10, v10, v10
	v_max_f32_e32 v10, v11, v10
	ds_bpermute_b32 v11, v12, v10
	v_max_f32_e32 v12, v25, v25
	;; [unrolled: 8-line block ×4, first 2 shown]
	v_max_f32_e32 v19, v48, v48
	v_max_f32_e32 v11, v19, v17
	;; [unrolled: 1-line block ×5, first 2 shown]
	s_waitcnt lgkmcnt(0)
	v_max_f32_e32 v17, v21, v21
	v_sub_f32_e32 v19, v86, v10
	v_max_f32_e32 v17, v20, v17
	s_mov_b32 s14, 0x3fb8aa3b
	v_mul_f32_e32 v20, 0x3fb8aa3b, v19
	v_fma_f32 v21, v19, s14, -v20
	v_rndne_f32_e32 v22, v20
	v_fmac_f32_e32 v21, 0x32a5705f, v19
	v_sub_f32_e32 v20, v20, v22
	v_add_f32_e32 v20, v20, v21
	v_exp_f32_e32 v20, v20
	v_cvt_i32_f32_e32 v21, v22
	s_mov_b32 s15, 0xc2ce8ed0
	v_sub_f32_e32 v23, v2, v10
	v_cmp_ngt_f32_e32 vcc, s15, v19
	v_ldexp_f32 v2, v20, v21
	s_mov_b32 s22, 0x42b17218
	v_cndmask_b32_e32 v20, 0, v2, vcc
	v_mov_b32_e32 v2, 0x7f800000
	v_cmp_nlt_f32_e32 vcc, s22, v19
	v_cndmask_b32_e32 v19, v2, v20, vcc
	v_sub_f32_e32 v20, v88, v10
	v_mul_f32_e32 v21, 0x3fb8aa3b, v20
	v_fma_f32 v24, v20, s14, -v21
	v_rndne_f32_e32 v25, v21
	v_fmac_f32_e32 v24, 0x32a5705f, v20
	v_sub_f32_e32 v21, v21, v25
	v_add_f32_e32 v21, v21, v24
	v_exp_f32_e32 v21, v21
	v_cvt_i32_f32_e32 v24, v25
	v_cmp_ngt_f32_e64 s[6:7], s15, v20
	v_cmp_gt_u32_e32 vcc, s23, v0
	v_cndmask_b32_e32 v19, 0, v19, vcc
	v_ldexp_f32 v21, v21, v24
	v_cndmask_b32_e64 v21, 0, v21, s[6:7]
	v_cmp_nlt_f32_e64 s[6:7], s22, v20
	v_cndmask_b32_e64 v20, v2, v21, s[6:7]
	v_mul_f32_e32 v21, 0x3fb8aa3b, v23
	v_fma_f32 v24, v23, s14, -v21
	v_rndne_f32_e32 v25, v21
	v_fmac_f32_e32 v24, 0x32a5705f, v23
	v_sub_f32_e32 v21, v21, v25
	v_add_f32_e32 v21, v21, v24
	v_exp_f32_e32 v24, v21
	v_cvt_i32_f32_e32 v25, v25
	v_cmp_gt_u32_e64 s[6:7], s23, v49
	v_cndmask_b32_e64 v20, 0, v20, s[6:7]
	v_cvt_f16_f32_e32 v47, v19
	v_add_f32_e32 v21, v19, v20
	v_ldexp_f32 v19, v24, v25
	v_cmp_ngt_f32_e64 s[10:11], s15, v23
	v_cndmask_b32_e64 v19, 0, v19, s[10:11]
	v_cmp_nlt_f32_e64 s[10:11], s22, v23
	v_cndmask_b32_e64 v19, v2, v19, s[10:11]
	v_cvt_f16_f32_e32 v23, v19
	v_cvt_f16_f32_e32 v48, v20
	v_sub_f32_e32 v20, v84, v11
	v_fmac_f32_e32 v21, v72, v19
	v_mul_u32_u24_e32 v19, 0x10001, v23
	v_mul_f32_e32 v23, 0x3fb8aa3b, v20
	v_fma_f32 v24, v20, s14, -v23
	v_rndne_f32_e32 v25, v23
	v_fmac_f32_e32 v24, 0x32a5705f, v20
	v_sub_f32_e32 v23, v23, v25
	v_add_f32_e32 v23, v23, v24
	v_exp_f32_e32 v23, v23
	v_cvt_i32_f32_e32 v24, v25
	v_pk_mul_f16 v55, v63, v19
	v_pk_mul_f16 v53, v64, v19
	v_sub_f32_e32 v19, v3, v11
	v_ldexp_f32 v3, v23, v24
	v_sub_f32_e32 v23, v87, v11
	v_mul_f32_e32 v24, 0x3fb8aa3b, v23
	v_fma_f32 v25, v23, s14, -v24
	v_rndne_f32_e32 v26, v24
	v_fmac_f32_e32 v25, 0x32a5705f, v23
	v_sub_f32_e32 v24, v24, v26
	v_add_f32_e32 v24, v24, v25
	v_exp_f32_e32 v24, v24
	v_cvt_i32_f32_e32 v25, v26
	v_cmp_ngt_f32_e64 s[10:11], s15, v20
	v_cndmask_b32_e64 v3, 0, v3, s[10:11]
	v_cmp_nlt_f32_e64 s[10:11], s22, v20
	v_ldexp_f32 v24, v24, v25
	v_mul_f32_e32 v25, 0x3fb8aa3b, v19
	v_fma_f32 v26, v19, s14, -v25
	v_rndne_f32_e32 v27, v25
	v_fmac_f32_e32 v26, 0x32a5705f, v19
	v_sub_f32_e32 v25, v25, v27
	v_add_f32_e32 v25, v25, v26
	v_exp_f32_e32 v25, v25
	v_cvt_i32_f32_e32 v26, v27
	v_cndmask_b32_e64 v3, v2, v3, s[10:11]
	v_cmp_ngt_f32_e64 s[10:11], s15, v23
	v_cndmask_b32_e64 v24, 0, v24, s[10:11]
	v_cmp_nlt_f32_e64 s[10:11], s22, v23
	v_cndmask_b32_e64 v23, v2, v24, s[10:11]
	v_cndmask_b32_e64 v24, 0, v23, s[6:7]
	v_ldexp_f32 v23, v25, v26
	v_cmp_ngt_f32_e64 s[10:11], s15, v19
	v_cndmask_b32_e64 v23, 0, v23, s[10:11]
	v_cmp_nlt_f32_e64 s[10:11], s22, v19
	v_cndmask_b32_e64 v19, v2, v23, s[10:11]
	v_cvt_f16_f32_e32 v25, v19
	v_cndmask_b32_e32 v20, 0, v3, vcc
	v_cvt_f16_f32_e32 v3, v20
	v_add_f32_e32 v23, v20, v24
	v_sub_f32_e32 v20, v82, v12
	v_cvt_f16_f32_e32 v52, v24
	v_mul_f32_e32 v24, 0x3fb8aa3b, v20
	v_fmac_f32_e32 v23, v71, v19
	v_mul_u32_u24_e32 v19, 0x10001, v25
	v_fma_f32 v25, v20, s14, -v24
	v_rndne_f32_e32 v26, v24
	v_fmac_f32_e32 v25, 0x32a5705f, v20
	v_sub_f32_e32 v24, v24, v26
	v_add_f32_e32 v24, v24, v25
	v_exp_f32_e32 v24, v24
	v_cvt_i32_f32_e32 v25, v26
	v_pk_mul_f16 v63, v61, v19
	v_pk_mul_f16 v61, v62, v19
	v_sub_f32_e32 v19, v4, v12
	v_ldexp_f32 v4, v24, v25
	v_sub_f32_e32 v24, v85, v12
	v_mul_f32_e32 v25, 0x3fb8aa3b, v24
	v_fma_f32 v26, v24, s14, -v25
	v_rndne_f32_e32 v27, v25
	v_fmac_f32_e32 v26, 0x32a5705f, v24
	v_sub_f32_e32 v25, v25, v27
	v_add_f32_e32 v25, v25, v26
	v_exp_f32_e32 v25, v25
	v_cvt_i32_f32_e32 v26, v27
	v_cmp_ngt_f32_e64 s[10:11], s15, v20
	v_cndmask_b32_e64 v4, 0, v4, s[10:11]
	v_cmp_nlt_f32_e64 s[10:11], s22, v20
	v_ldexp_f32 v25, v25, v26
	v_mul_f32_e32 v26, 0x3fb8aa3b, v19
	v_fma_f32 v27, v19, s14, -v26
	v_rndne_f32_e32 v28, v26
	v_fmac_f32_e32 v27, 0x32a5705f, v19
	v_sub_f32_e32 v26, v26, v28
	v_add_f32_e32 v26, v26, v27
	v_exp_f32_e32 v26, v26
	v_cvt_i32_f32_e32 v27, v28
	v_cndmask_b32_e64 v4, v2, v4, s[10:11]
	v_cmp_ngt_f32_e64 s[10:11], s15, v24
	v_cndmask_b32_e64 v25, 0, v25, s[10:11]
	v_cmp_nlt_f32_e64 s[10:11], s22, v24
	v_cndmask_b32_e64 v24, v2, v25, s[10:11]
	v_cndmask_b32_e64 v25, 0, v24, s[6:7]
	v_ldexp_f32 v24, v26, v27
	v_cmp_ngt_f32_e64 s[10:11], s15, v19
	v_cndmask_b32_e64 v24, 0, v24, s[10:11]
	v_cmp_nlt_f32_e64 s[10:11], s22, v19
	v_cndmask_b32_e64 v19, v2, v24, s[10:11]
	v_cvt_f16_f32_e32 v26, v19
	v_cndmask_b32_e32 v20, 0, v4, vcc
	v_cvt_f16_f32_e32 v4, v20
	v_add_f32_e32 v24, v20, v25
	v_sub_f32_e32 v20, v80, v13
	v_cvt_f16_f32_e32 v64, v25
	v_mul_f32_e32 v25, 0x3fb8aa3b, v20
	v_fmac_f32_e32 v24, v70, v19
	v_mul_u32_u24_e32 v19, 0x10001, v26
	v_fma_f32 v26, v20, s14, -v25
	v_rndne_f32_e32 v27, v25
	v_fmac_f32_e32 v26, 0x32a5705f, v20
	v_sub_f32_e32 v25, v25, v27
	v_add_f32_e32 v25, v25, v26
	v_exp_f32_e32 v25, v25
	v_cvt_i32_f32_e32 v26, v27
	v_pk_mul_f16 v62, v59, v19
	v_pk_mul_f16 v59, v60, v19
	v_sub_f32_e32 v19, v5, v13
	v_ldexp_f32 v5, v25, v26
	v_sub_f32_e32 v25, v83, v13
	v_mul_f32_e32 v26, 0x3fb8aa3b, v25
	v_fma_f32 v27, v25, s14, -v26
	v_rndne_f32_e32 v28, v26
	v_fmac_f32_e32 v27, 0x32a5705f, v25
	v_sub_f32_e32 v26, v26, v28
	v_add_f32_e32 v26, v26, v27
	v_exp_f32_e32 v26, v26
	v_cvt_i32_f32_e32 v27, v28
	v_cmp_ngt_f32_e64 s[10:11], s15, v20
	v_cndmask_b32_e64 v5, 0, v5, s[10:11]
	v_cmp_nlt_f32_e64 s[10:11], s22, v20
	v_cndmask_b32_e64 v5, v2, v5, s[10:11]
	v_ldexp_f32 v26, v26, v27
	v_cmp_ngt_f32_e64 s[10:11], s15, v25
	v_cndmask_b32_e64 v26, 0, v26, s[10:11]
	v_cmp_nlt_f32_e64 s[10:11], s22, v25
	v_cndmask_b32_e64 v25, v2, v26, s[10:11]
	v_mul_f32_e32 v26, 0x3fb8aa3b, v19
	v_fma_f32 v27, v19, s14, -v26
	v_rndne_f32_e32 v28, v26
	v_fmac_f32_e32 v27, 0x32a5705f, v19
	v_sub_f32_e32 v26, v26, v28
	v_add_f32_e32 v26, v26, v27
	v_exp_f32_e32 v26, v26
	v_cvt_i32_f32_e32 v27, v28
	v_cndmask_b32_e32 v20, 0, v5, vcc
	v_cndmask_b32_e64 v28, 0, v25, s[6:7]
	v_cvt_f16_f32_e32 v5, v20
	v_add_f32_e32 v25, v20, v28
	v_ldexp_f32 v20, v26, v27
	v_sub_f32_e32 v26, v78, v14
	v_cmp_ngt_f32_e64 s[10:11], s15, v19
	v_mul_f32_e32 v27, 0x3fb8aa3b, v26
	v_cvt_f16_f32_e32 v70, v28
	v_cndmask_b32_e64 v20, 0, v20, s[10:11]
	v_cmp_nlt_f32_e64 s[10:11], s22, v19
	v_fma_f32 v28, v26, s14, -v27
	v_rndne_f32_e32 v29, v27
	v_cndmask_b32_e64 v19, v2, v20, s[10:11]
	v_fmac_f32_e32 v28, 0x32a5705f, v26
	v_sub_f32_e32 v27, v27, v29
	v_cvt_f16_f32_e32 v20, v19
	v_add_f32_e32 v27, v27, v28
	v_exp_f32_e32 v27, v27
	v_cvt_i32_f32_e32 v28, v29
	v_fmac_f32_e32 v25, v69, v19
	v_sub_f32_e32 v19, v81, v14
	v_mul_u32_u24_e32 v69, 0x10001, v20
	v_mul_f32_e32 v20, 0x3fb8aa3b, v19
	v_sub_f32_e32 v60, v6, v14
	v_ldexp_f32 v6, v27, v28
	v_fma_f32 v27, v19, s14, -v20
	v_rndne_f32_e32 v28, v20
	v_fmac_f32_e32 v27, 0x32a5705f, v19
	v_sub_f32_e32 v20, v20, v28
	v_add_f32_e32 v20, v20, v27
	v_exp_f32_e32 v20, v20
	v_cvt_i32_f32_e32 v27, v28
	v_cmp_ngt_f32_e64 s[10:11], s15, v26
	v_cndmask_b32_e64 v6, 0, v6, s[10:11]
	v_cmp_nlt_f32_e64 s[10:11], s22, v26
	v_cndmask_b32_e64 v6, v2, v6, s[10:11]
	v_ldexp_f32 v20, v20, v27
	v_cmp_ngt_f32_e64 s[10:11], s15, v19
	v_cndmask_b32_e64 v20, 0, v20, s[10:11]
	v_cmp_nlt_f32_e64 s[10:11], s22, v19
	v_cndmask_b32_e64 v19, v2, v20, s[10:11]
	v_sub_f32_e32 v20, v76, v15
	v_mul_f32_e32 v26, 0x3fb8aa3b, v20
	v_fma_f32 v27, v20, s14, -v26
	v_rndne_f32_e32 v28, v26
	v_fmac_f32_e32 v27, 0x32a5705f, v20
	v_sub_f32_e32 v26, v26, v28
	v_add_f32_e32 v26, v26, v27
	v_exp_f32_e32 v26, v26
	v_cvt_i32_f32_e32 v27, v28
	v_cmp_ngt_f32_e64 s[10:11], s15, v20
	v_cndmask_b32_e32 v71, 0, v6, vcc
	v_cvt_f16_f32_e32 v6, v71
	v_ldexp_f32 v26, v26, v27
	v_sub_f32_e32 v27, v79, v15
	v_mul_f32_e32 v28, 0x3fb8aa3b, v27
	v_fma_f32 v29, v27, s14, -v28
	v_rndne_f32_e32 v32, v28
	v_fmac_f32_e32 v29, 0x32a5705f, v27
	v_sub_f32_e32 v28, v28, v32
	v_add_f32_e32 v28, v28, v29
	v_exp_f32_e32 v28, v28
	v_cvt_i32_f32_e32 v29, v32
	v_cndmask_b32_e64 v26, 0, v26, s[10:11]
	v_cmp_nlt_f32_e64 s[10:11], s22, v20
	v_cndmask_b32_e64 v20, v2, v26, s[10:11]
	v_ldexp_f32 v26, v28, v29
	v_sub_f32_e32 v28, v74, v16
	v_mul_f32_e32 v29, 0x3fb8aa3b, v28
	v_fma_f32 v32, v28, s14, -v29
	v_rndne_f32_e32 v33, v29
	v_fmac_f32_e32 v32, 0x32a5705f, v28
	v_sub_f32_e32 v29, v29, v33
	v_add_f32_e32 v29, v29, v32
	v_exp_f32_e32 v29, v29
	v_cvt_i32_f32_e32 v32, v33
	v_cmp_ngt_f32_e64 s[10:11], s15, v27
	v_cndmask_b32_e64 v26, 0, v26, s[10:11]
	v_cmp_nlt_f32_e64 s[10:11], s22, v27
	v_cndmask_b32_e64 v26, v2, v26, s[10:11]
	v_sub_f32_e32 v27, v77, v16
	v_cndmask_b32_e64 v33, 0, v26, s[6:7]
	v_ldexp_f32 v26, v29, v32
	v_mul_f32_e32 v29, 0x3fb8aa3b, v27
	v_fma_f32 v32, v27, s14, -v29
	v_rndne_f32_e32 v35, v29
	v_fmac_f32_e32 v32, 0x32a5705f, v27
	v_sub_f32_e32 v29, v29, v35
	v_add_f32_e32 v29, v29, v32
	v_exp_f32_e32 v29, v29
	v_cvt_i32_f32_e32 v32, v35
	v_cmp_ngt_f32_e64 s[10:11], s15, v28
	v_cndmask_b32_e64 v26, 0, v26, s[10:11]
	v_cmp_nlt_f32_e64 s[10:11], s22, v28
	v_ldexp_f32 v28, v29, v32
	v_sub_f32_e32 v29, v73, v17
	v_mul_f32_e32 v32, 0x3fb8aa3b, v29
	v_fma_f32 v36, v29, s14, -v32
	v_rndne_f32_e32 v37, v32
	v_fmac_f32_e32 v36, 0x32a5705f, v29
	v_sub_f32_e32 v32, v32, v37
	v_add_f32_e32 v32, v32, v36
	v_exp_f32_e32 v32, v32
	v_cvt_i32_f32_e32 v36, v37
	v_cndmask_b32_e64 v26, v2, v26, s[10:11]
	v_cmp_ngt_f32_e64 s[10:11], s15, v27
	v_cndmask_b32_e64 v28, 0, v28, s[10:11]
	v_cmp_nlt_f32_e64 s[10:11], s22, v27
	v_cndmask_b32_e64 v27, v2, v28, s[10:11]
	v_sub_f32_e32 v28, v75, v17
	v_cndmask_b32_e64 v37, 0, v27, s[6:7]
	v_ldexp_f32 v27, v32, v36
	v_mul_f32_e32 v32, 0x3fb8aa3b, v28
	v_fma_f32 v36, v28, s14, -v32
	v_rndne_f32_e32 v74, v32
	v_cmp_ngt_f32_e64 s[10:11], s15, v29
	v_fmac_f32_e32 v36, 0x32a5705f, v28
	v_sub_f32_e32 v32, v32, v74
	v_cndmask_b32_e64 v27, 0, v27, s[10:11]
	v_add_f32_e32 v32, v32, v36
	v_cmp_nlt_f32_e64 s[10:11], s22, v29
	v_exp_f32_e32 v32, v32
	v_cvt_i32_f32_e32 v36, v74
	v_cndmask_b32_e64 v27, v2, v27, s[10:11]
	v_cndmask_b32_e32 v35, 0, v26, vcc
	v_cndmask_b32_e32 v74, 0, v27, vcc
	v_cvt_f16_f32_e32 v26, v35
	v_cvt_f16_f32_e32 v27, v74
	v_cndmask_b32_e32 v76, 0, v20, vcc
	v_ldexp_f32 v29, v32, v36
	v_cmp_ngt_f32_e32 vcc, s15, v28
	v_cndmask_b32_e32 v29, 0, v29, vcc
	v_cmp_nlt_f32_e32 vcc, s22, v28
	v_cndmask_b32_e32 v28, v2, v29, vcc
	v_pack_b32_f16 v29, v26, v27
	v_pack_b32_f16 v27, v4, v5
	v_lshl_add_u32 v4, v1, 1, v125
	v_cvt_f16_f32_e32 v20, v76
	v_mul_lo_u32 v5, s8, v4
	v_cndmask_b32_e64 v72, 0, v19, s[6:7]
	v_cndmask_b32_e64 v32, 0, v28, s[6:7]
	v_cvt_f16_f32_e32 v19, v72
	v_cvt_f16_f32_e32 v34, v33
	;; [unrolled: 1-line block ×4, first 2 shown]
	v_lshlrev_b32_e32 v22, 10, v1
	v_add_u32_e32 v75, 0x4000, v22
	v_pack_b32_f16 v28, v6, v20
	v_ashrrev_i32_e32 v6, 31, v5
	v_lshl_add_u32 v77, v0, 4, v75
	v_pack_b32_f16 v26, v47, v3
	v_lshlrev_b64 v[5:6], 2, v[5:6]
	s_barrier
	ds_write_b128 v77, v[26:29]
	v_lshl_add_u32 v3, v49, 4, v75
	v_pack_b32_f16 v29, v73, v36
	v_pack_b32_f16 v28, v19, v34
	v_pack_b32_f16 v27, v64, v70
	v_pack_b32_f16 v26, v48, v52
	ds_write_b128 v3, v[26:29]
	v_mov_b32_e32 v1, s19
	v_add_co_u32_e32 v3, vcc, s17, v5
	v_addc_co_u32_e32 v1, vcc, v1, v6, vcc
	v_lshlrev_b32_e32 v34, 2, v124
	v_add_co_u32_e32 v5, vcc, v3, v34
	s_mul_hi_i32 s7, s16, s8
	s_mul_i32 s6, s16, s8
	v_addc_co_u32_e32 v6, vcc, 0, v1, vcc
	s_lshl_b64 s[6:7], s[6:7], 2
	v_mov_b32_e32 v1, s7
	v_add_co_u32_e32 v3, vcc, s6, v5
	s_mov_b64 s[12:13], src_private_base
	v_addc_co_u32_e32 v1, vcc, v6, v1, vcc
	v_mov_b32_e32 v48, 0
	v_mov_b32_e32 v49, s13
	v_cmp_gt_i32_e32 vcc, s23, v4
	v_mov_b32_e32 v52, 0
	buffer_store_dword v48, off, s[0:3], 0
	buffer_store_dword v48, off, s[0:3], 0 offset:4
	buffer_store_dword v48, off, s[0:3], 0 offset:8
	;; [unrolled: 1-line block ×3, first 2 shown]
	v_cndmask_b32_e32 v20, v49, v1, vcc
	v_cndmask_b32_e32 v19, v52, v3, vcc
	flat_load_dwordx4 v[26:29], v[19:20]
	v_mul_f32_e32 v30, 0x3fb8aa3b, v60
	v_fma_f32 v31, v60, s14, -v30
	v_rndne_f32_e32 v1, v30
	v_fmac_f32_e32 v31, 0x32a5705f, v60
	v_sub_f32_e32 v3, v30, v1
	v_add_f32_e32 v3, v3, v31
	v_exp_f32_e32 v3, v3
	v_cvt_i32_f32_e32 v19, v1
	v_sub_f32_e32 v7, v7, v15
	v_mul_f32_e32 v20, 0x3fb8aa3b, v7
	v_cmp_ngt_f32_e32 vcc, s15, v60
	v_ldexp_f32 v3, v3, v19
	v_fma_f32 v30, v7, s14, -v20
	v_rndne_f32_e32 v31, v20
	v_cndmask_b32_e32 v3, 0, v3, vcc
	v_cmp_nlt_f32_e32 vcc, s22, v60
	v_fmac_f32_e32 v30, 0x32a5705f, v7
	v_sub_f32_e32 v20, v20, v31
	v_cndmask_b32_e32 v3, v2, v3, vcc
	v_add_f32_e32 v20, v20, v30
	v_cvt_f16_f32_e32 v19, v3
	v_exp_f32_e32 v20, v20
	v_cvt_i32_f32_e32 v30, v31
	v_add_f32_e32 v1, v71, v72
	v_fmac_f32_e32 v1, v66, v3
	v_mul_u32_u24_e32 v3, 0x10001, v19
	v_ldexp_f32 v19, v20, v30
	v_cmp_ngt_f32_e32 vcc, s15, v7
	v_cndmask_b32_e32 v19, 0, v19, vcc
	v_cmp_nlt_f32_e32 vcc, s22, v7
	v_cndmask_b32_e32 v7, v2, v19, vcc
	v_cvt_f16_f32_e32 v20, v7
	v_add_f32_e32 v19, v76, v33
	v_fmac_f32_e32 v19, v67, v7
	v_sub_f32_e32 v7, v8, v16
	v_mul_f32_e32 v8, 0x3fb8aa3b, v7
	v_pk_mul_f16 v54, v54, v3
	v_pk_mul_f16 v56, v56, v3
	v_mul_u32_u24_e32 v3, 0x10001, v20
	v_fma_f32 v20, v7, s14, -v8
	v_rndne_f32_e32 v30, v8
	v_fmac_f32_e32 v20, 0x32a5705f, v7
	v_sub_f32_e32 v8, v8, v30
	v_add_f32_e32 v8, v8, v20
	v_exp_f32_e32 v8, v8
	v_cvt_i32_f32_e32 v30, v30
	v_pk_mul_f16 v50, v50, v3
	v_pk_mul_f16 v51, v51, v3
	v_cmp_ngt_f32_e32 vcc, s15, v7
	v_ldexp_f32 v3, v8, v30
	v_sub_f32_e32 v8, v9, v17
	v_mul_f32_e32 v9, 0x3fb8aa3b, v8
	v_fma_f32 v30, v8, s14, -v9
	v_rndne_f32_e32 v31, v9
	v_cndmask_b32_e32 v3, 0, v3, vcc
	v_cmp_nlt_f32_e32 vcc, s22, v7
	v_fmac_f32_e32 v30, 0x32a5705f, v8
	v_sub_f32_e32 v9, v9, v31
	v_cndmask_b32_e32 v3, v2, v3, vcc
	v_add_f32_e32 v9, v9, v30
	v_cvt_f16_f32_e32 v7, v3
	v_exp_f32_e32 v9, v9
	v_cvt_i32_f32_e32 v30, v31
	v_add_f32_e32 v20, v35, v37
	v_fmac_f32_e32 v20, v68, v3
	v_mul_u32_u24_e32 v3, 0x10001, v7
	v_ldexp_f32 v7, v9, v30
	v_cmp_ngt_f32_e32 vcc, s15, v8
	v_cndmask_b32_e32 v7, 0, v7, vcc
	v_cmp_nlt_f32_e32 vcc, s22, v8
	v_cndmask_b32_e32 v2, v2, v7, vcc
	v_cvt_f16_f32_e32 v7, v2
	v_add_f32_e32 v47, v74, v32
	v_fmac_f32_e32 v47, v65, v2
	v_pk_mul_f16 v60, v45, v3
	v_mul_u32_u24_e32 v2, 0x10001, v7
	v_lshl_or_b32 v7, v4, 8, v34
	v_pk_mul_f16 v8, v46, v3
	v_pk_mul_f16 v9, v43, v2
	;; [unrolled: 1-line block ×3, first 2 shown]
	s_waitcnt vmcnt(0) lgkmcnt(0)
	ds_write_b128 v7, v[26:29] offset:24576
	s_waitcnt lgkmcnt(0)
	s_barrier
	v_add_u32_e32 v3, 0x6000, v18
	ds_read_b128 v[26:29], v22 offset:16384
	ds_read2_b64 v[30:33], v3 offset1:32
	ds_read_b128 v[34:37], v22 offset:16400
	ds_read_b128 v[43:46], v22 offset:16416
	;; [unrolled: 1-line block ×3, first 2 shown]
	s_mov_b32 s12, 0x10001
	v_pk_mul_f16 v57, v57, v69
	v_pk_mul_f16 v58, v58, v69
	s_waitcnt lgkmcnt(4)
	v_mul_u32_u24_sdwa v68, v26, s12 dst_sel:DWORD dst_unused:UNUSED_PAD src0_sel:WORD_0 src1_sel:DWORD
	v_mul_u32_u24_sdwa v26, v26, s12 dst_sel:DWORD dst_unused:UNUSED_PAD src0_sel:WORD_1 src1_sel:DWORD
	v_mul_u32_u24_sdwa v69, v27, s12 dst_sel:DWORD dst_unused:UNUSED_PAD src0_sel:WORD_0 src1_sel:DWORD
	v_mul_u32_u24_sdwa v27, v27, s12 dst_sel:DWORD dst_unused:UNUSED_PAD src0_sel:WORD_1 src1_sel:DWORD
	v_mul_u32_u24_sdwa v70, v28, s12 dst_sel:DWORD dst_unused:UNUSED_PAD src0_sel:WORD_0 src1_sel:DWORD
	v_mul_u32_u24_sdwa v28, v28, s12 dst_sel:DWORD dst_unused:UNUSED_PAD src0_sel:WORD_1 src1_sel:DWORD
	v_mul_u32_u24_sdwa v71, v29, s12 dst_sel:DWORD dst_unused:UNUSED_PAD src0_sel:WORD_0 src1_sel:DWORD
	v_mul_u32_u24_sdwa v29, v29, s12 dst_sel:DWORD dst_unused:UNUSED_PAD src0_sel:WORD_1 src1_sel:DWORD
	s_waitcnt lgkmcnt(3)
	v_pk_fma_f16 v55, v30, v68, v55
	v_pk_fma_f16 v63, v30, v26, v63
	;; [unrolled: 1-line block ×16, first 2 shown]
	s_waitcnt lgkmcnt(2)
	v_mul_u32_u24_sdwa v29, v34, s12 dst_sel:DWORD dst_unused:UNUSED_PAD src0_sel:WORD_0 src1_sel:DWORD
	v_mul_u32_u24_sdwa v31, v34, s12 dst_sel:DWORD dst_unused:UNUSED_PAD src0_sel:WORD_1 src1_sel:DWORD
	v_mul_u32_u24_sdwa v34, v35, s12 dst_sel:DWORD dst_unused:UNUSED_PAD src0_sel:WORD_0 src1_sel:DWORD
	v_mul_u32_u24_sdwa v35, v35, s12 dst_sel:DWORD dst_unused:UNUSED_PAD src0_sel:WORD_1 src1_sel:DWORD
	;; [unrolled: 2-line block ×4, first 2 shown]
	v_pk_fma_f16 v55, v32, v29, v55
	v_pk_fma_f16 v59, v32, v31, v63
	;; [unrolled: 1-line block ×13, first 2 shown]
	ds_read2_b64 v[26:29], v3 offset0:64 offset1:96
	v_pk_fma_f16 v35, v33, v51, v56
	v_pk_fma_f16 v8, v33, v58, v8
	;; [unrolled: 1-line block ×3, first 2 shown]
	s_waitcnt lgkmcnt(2)
	v_mul_u32_u24_sdwa v33, v43, s12 dst_sel:DWORD dst_unused:UNUSED_PAD src0_sel:WORD_0 src1_sel:DWORD
	v_mul_u32_u24_sdwa v37, v43, s12 dst_sel:DWORD dst_unused:UNUSED_PAD src0_sel:WORD_1 src1_sel:DWORD
	v_mul_u32_u24_sdwa v43, v44, s12 dst_sel:DWORD dst_unused:UNUSED_PAD src0_sel:WORD_0 src1_sel:DWORD
	v_mul_u32_u24_sdwa v44, v44, s12 dst_sel:DWORD dst_unused:UNUSED_PAD src0_sel:WORD_1 src1_sel:DWORD
	v_mul_u32_u24_sdwa v51, v45, s12 dst_sel:DWORD dst_unused:UNUSED_PAD src0_sel:WORD_0 src1_sel:DWORD
	v_mul_u32_u24_sdwa v45, v45, s12 dst_sel:DWORD dst_unused:UNUSED_PAD src0_sel:WORD_1 src1_sel:DWORD
	v_mul_u32_u24_sdwa v53, v46, s12 dst_sel:DWORD dst_unused:UNUSED_PAD src0_sel:WORD_0 src1_sel:DWORD
	v_mul_u32_u24_sdwa v46, v46, s12 dst_sel:DWORD dst_unused:UNUSED_PAD src0_sel:WORD_1 src1_sel:DWORD
	s_waitcnt lgkmcnt(0)
	v_pk_fma_f16 v55, v26, v33, v55
	v_pk_fma_f16 v56, v26, v37, v59
	;; [unrolled: 1-line block ×14, first 2 shown]
	v_mul_u32_u24_sdwa v35, v64, s12 dst_sel:DWORD dst_unused:UNUSED_PAD src0_sel:WORD_1 src1_sel:DWORD
	v_mul_u32_u24_sdwa v36, v65, s12 dst_sel:DWORD dst_unused:UNUSED_PAD src0_sel:WORD_0 src1_sel:DWORD
	v_mul_u32_u24_sdwa v37, v65, s12 dst_sel:DWORD dst_unused:UNUSED_PAD src0_sel:WORD_1 src1_sel:DWORD
	v_mul_u32_u24_sdwa v43, v66, s12 dst_sel:DWORD dst_unused:UNUSED_PAD src0_sel:WORD_0 src1_sel:DWORD
	v_mul_u32_u24_sdwa v45, v67, s12 dst_sel:DWORD dst_unused:UNUSED_PAD src0_sel:WORD_0 src1_sel:DWORD
	v_pk_fma_f16 v8, v27, v53, v8
	v_pk_fma_f16 v2, v27, v46, v2
	v_mul_u32_u24_sdwa v27, v64, s12 dst_sel:DWORD dst_unused:UNUSED_PAD src0_sel:WORD_0 src1_sel:DWORD
	v_mul_u32_u24_sdwa v44, v66, s12 dst_sel:DWORD dst_unused:UNUSED_PAD src0_sel:WORD_1 src1_sel:DWORD
	v_mul_u32_u24_sdwa v46, v67, s12 dst_sel:DWORD dst_unused:UNUSED_PAD src0_sel:WORD_1 src1_sel:DWORD
	v_pk_fma_f16 v53, v28, v35, v56
	v_pk_fma_f16 v56, v28, v37, v57
	;; [unrolled: 1-line block ×8, first 2 shown]
	ds_read_b128 v[30:33], v22 offset:16448
	v_pk_fma_f16 v51, v28, v27, v55
	v_pk_fma_f16 v55, v28, v36, v58
	;; [unrolled: 1-line block ×8, first 2 shown]
	ds_read2_b64 v[26:29], v3 offset0:128 offset1:160
	ds_read_b128 v[34:37], v22 offset:16464
	s_waitcnt lgkmcnt(2)
	v_mul_u32_u24_sdwa v45, v30, s12 dst_sel:DWORD dst_unused:UNUSED_PAD src0_sel:WORD_0 src1_sel:DWORD
	v_mul_u32_u24_sdwa v30, v30, s12 dst_sel:DWORD dst_unused:UNUSED_PAD src0_sel:WORD_1 src1_sel:DWORD
	v_mul_u32_u24_sdwa v46, v31, s12 dst_sel:DWORD dst_unused:UNUSED_PAD src0_sel:WORD_0 src1_sel:DWORD
	v_mul_u32_u24_sdwa v31, v31, s12 dst_sel:DWORD dst_unused:UNUSED_PAD src0_sel:WORD_1 src1_sel:DWORD
	v_mul_u32_u24_sdwa v62, v32, s12 dst_sel:DWORD dst_unused:UNUSED_PAD src0_sel:WORD_0 src1_sel:DWORD
	v_mul_u32_u24_sdwa v32, v32, s12 dst_sel:DWORD dst_unused:UNUSED_PAD src0_sel:WORD_1 src1_sel:DWORD
	v_mul_u32_u24_sdwa v63, v33, s12 dst_sel:DWORD dst_unused:UNUSED_PAD src0_sel:WORD_0 src1_sel:DWORD
	v_mul_u32_u24_sdwa v33, v33, s12 dst_sel:DWORD dst_unused:UNUSED_PAD src0_sel:WORD_1 src1_sel:DWORD
	s_waitcnt lgkmcnt(1)
	v_pk_fma_f16 v51, v26, v45, v51
	v_pk_fma_f16 v53, v26, v30, v53
	;; [unrolled: 1-line block ×16, first 2 shown]
	s_waitcnt lgkmcnt(0)
	v_mul_u32_u24_sdwa v27, v34, s12 dst_sel:DWORD dst_unused:UNUSED_PAD src0_sel:WORD_0 src1_sel:DWORD
	v_mul_u32_u24_sdwa v33, v34, s12 dst_sel:DWORD dst_unused:UNUSED_PAD src0_sel:WORD_1 src1_sel:DWORD
	v_mul_u32_u24_sdwa v34, v35, s12 dst_sel:DWORD dst_unused:UNUSED_PAD src0_sel:WORD_0 src1_sel:DWORD
	v_mul_u32_u24_sdwa v35, v35, s12 dst_sel:DWORD dst_unused:UNUSED_PAD src0_sel:WORD_1 src1_sel:DWORD
	;; [unrolled: 2-line block ×4, first 2 shown]
	v_pk_fma_f16 v53, v28, v33, v53
	v_pk_fma_f16 v54, v28, v44, v54
	;; [unrolled: 1-line block ×6, first 2 shown]
	ds_read_b128 v[30:33], v22 offset:16480
	v_pk_fma_f16 v51, v28, v27, v51
	v_pk_fma_f16 v55, v28, v34, v55
	;; [unrolled: 1-line block ×10, first 2 shown]
	ds_read2_b64 v[26:29], v3 offset0:192 offset1:224
	ds_read_b128 v[34:37], v22 offset:16496
	s_waitcnt lgkmcnt(2)
	v_mul_u32_u24_sdwa v46, v30, s12 dst_sel:DWORD dst_unused:UNUSED_PAD src0_sel:WORD_0 src1_sel:DWORD
	v_mul_u32_u24_sdwa v30, v30, s12 dst_sel:DWORD dst_unused:UNUSED_PAD src0_sel:WORD_1 src1_sel:DWORD
	v_mul_u32_u24_sdwa v61, v31, s12 dst_sel:DWORD dst_unused:UNUSED_PAD src0_sel:WORD_0 src1_sel:DWORD
	v_mul_u32_u24_sdwa v31, v31, s12 dst_sel:DWORD dst_unused:UNUSED_PAD src0_sel:WORD_1 src1_sel:DWORD
	;; [unrolled: 2-line block ×4, first 2 shown]
	s_waitcnt lgkmcnt(1)
	v_pk_fma_f16 v51, v26, v46, v51
	v_pk_fma_f16 v53, v26, v30, v53
	;; [unrolled: 1-line block ×16, first 2 shown]
	s_waitcnt lgkmcnt(0)
	v_mul_u32_u24_sdwa v27, v34, s12 dst_sel:DWORD dst_unused:UNUSED_PAD src0_sel:WORD_0 src1_sel:DWORD
	v_mul_u32_u24_sdwa v33, v34, s12 dst_sel:DWORD dst_unused:UNUSED_PAD src0_sel:WORD_1 src1_sel:DWORD
	v_mul_u32_u24_sdwa v34, v35, s12 dst_sel:DWORD dst_unused:UNUSED_PAD src0_sel:WORD_0 src1_sel:DWORD
	v_mul_u32_u24_sdwa v35, v35, s12 dst_sel:DWORD dst_unused:UNUSED_PAD src0_sel:WORD_1 src1_sel:DWORD
	;; [unrolled: 2-line block ×4, first 2 shown]
	v_pk_fma_f16 v53, v28, v33, v53
	v_pk_fma_f16 v54, v28, v44, v54
	;; [unrolled: 1-line block ×8, first 2 shown]
	ds_read_b128 v[30:33], v22 offset:16512
	v_pk_fma_f16 v46, v29, v37, v2
	v_add_u32_e32 v2, 0x6800, v18
	v_pk_fma_f16 v51, v28, v27, v51
	v_pk_fma_f16 v55, v28, v34, v55
	;; [unrolled: 1-line block ×7, first 2 shown]
	ds_read2_b64 v[26:29], v2 offset1:32
	ds_read_b128 v[34:37], v22 offset:16528
	s_waitcnt lgkmcnt(2)
	v_mul_u32_u24_sdwa v18, v30, s12 dst_sel:DWORD dst_unused:UNUSED_PAD src0_sel:WORD_0 src1_sel:DWORD
	v_mul_u32_u24_sdwa v30, v30, s12 dst_sel:DWORD dst_unused:UNUSED_PAD src0_sel:WORD_1 src1_sel:DWORD
	v_mul_u32_u24_sdwa v61, v31, s12 dst_sel:DWORD dst_unused:UNUSED_PAD src0_sel:WORD_0 src1_sel:DWORD
	v_mul_u32_u24_sdwa v31, v31, s12 dst_sel:DWORD dst_unused:UNUSED_PAD src0_sel:WORD_1 src1_sel:DWORD
	;; [unrolled: 2-line block ×4, first 2 shown]
	s_waitcnt lgkmcnt(1)
	v_pk_fma_f16 v51, v26, v18, v51
	v_pk_fma_f16 v53, v26, v30, v53
	;; [unrolled: 1-line block ×16, first 2 shown]
	s_waitcnt lgkmcnt(0)
	v_mul_u32_u24_sdwa v33, v34, s12 dst_sel:DWORD dst_unused:UNUSED_PAD src0_sel:WORD_0 src1_sel:DWORD
	v_mul_u32_u24_sdwa v44, v35, s12 dst_sel:DWORD dst_unused:UNUSED_PAD src0_sel:WORD_0 src1_sel:DWORD
	v_mul_u32_u24_sdwa v35, v35, s12 dst_sel:DWORD dst_unused:UNUSED_PAD src0_sel:WORD_1 src1_sel:DWORD
	v_mul_u32_u24_sdwa v45, v36, s12 dst_sel:DWORD dst_unused:UNUSED_PAD src0_sel:WORD_0 src1_sel:DWORD
	v_mul_u32_u24_sdwa v36, v36, s12 dst_sel:DWORD dst_unused:UNUSED_PAD src0_sel:WORD_1 src1_sel:DWORD
	v_mul_u32_u24_sdwa v34, v34, s12 dst_sel:DWORD dst_unused:UNUSED_PAD src0_sel:WORD_1 src1_sel:DWORD
	v_mul_u32_u24_sdwa v46, v37, s12 dst_sel:DWORD dst_unused:UNUSED_PAD src0_sel:WORD_0 src1_sel:DWORD
	v_mul_u32_u24_sdwa v37, v37, s12 dst_sel:DWORD dst_unused:UNUSED_PAD src0_sel:WORD_1 src1_sel:DWORD
	v_pk_fma_f16 v51, v28, v33, v51
	v_pk_fma_f16 v55, v28, v44, v55
	;; [unrolled: 1-line block ×8, first 2 shown]
	ds_read_b128 v[30:33], v22 offset:16544
	v_pk_fma_f16 v53, v28, v34, v53
	v_pk_fma_f16 v56, v28, v35, v56
	;; [unrolled: 1-line block ×8, first 2 shown]
	ds_read2_b64 v[26:29], v2 offset0:64 offset1:96
	ds_read_b128 v[34:37], v22 offset:16560
	s_waitcnt lgkmcnt(2)
	v_mul_u32_u24_sdwa v60, v30, s12 dst_sel:DWORD dst_unused:UNUSED_PAD src0_sel:WORD_0 src1_sel:DWORD
	v_mul_u32_u24_sdwa v30, v30, s12 dst_sel:DWORD dst_unused:UNUSED_PAD src0_sel:WORD_1 src1_sel:DWORD
	v_mul_u32_u24_sdwa v61, v31, s12 dst_sel:DWORD dst_unused:UNUSED_PAD src0_sel:WORD_0 src1_sel:DWORD
	v_mul_u32_u24_sdwa v31, v31, s12 dst_sel:DWORD dst_unused:UNUSED_PAD src0_sel:WORD_1 src1_sel:DWORD
	;; [unrolled: 2-line block ×4, first 2 shown]
	s_waitcnt lgkmcnt(1)
	v_pk_fma_f16 v51, v26, v60, v51
	v_pk_fma_f16 v53, v26, v30, v53
	;; [unrolled: 1-line block ×16, first 2 shown]
	s_waitcnt lgkmcnt(0)
	v_mul_u32_u24_sdwa v33, v34, s12 dst_sel:DWORD dst_unused:UNUSED_PAD src0_sel:WORD_0 src1_sel:DWORD
	v_mul_u32_u24_sdwa v44, v35, s12 dst_sel:DWORD dst_unused:UNUSED_PAD src0_sel:WORD_0 src1_sel:DWORD
	v_mul_u32_u24_sdwa v35, v35, s12 dst_sel:DWORD dst_unused:UNUSED_PAD src0_sel:WORD_1 src1_sel:DWORD
	v_mul_u32_u24_sdwa v45, v36, s12 dst_sel:DWORD dst_unused:UNUSED_PAD src0_sel:WORD_0 src1_sel:DWORD
	v_mul_u32_u24_sdwa v36, v36, s12 dst_sel:DWORD dst_unused:UNUSED_PAD src0_sel:WORD_1 src1_sel:DWORD
	v_pk_fma_f16 v51, v28, v33, v51
	v_pk_fma_f16 v18, v29, v33, v18
	;; [unrolled: 1-line block ×5, first 2 shown]
	ds_read_b128 v[30:33], v22 offset:16576
	v_mul_u32_u24_sdwa v34, v34, s12 dst_sel:DWORD dst_unused:UNUSED_PAD src0_sel:WORD_1 src1_sel:DWORD
	v_mul_u32_u24_sdwa v46, v37, s12 dst_sel:DWORD dst_unused:UNUSED_PAD src0_sel:WORD_0 src1_sel:DWORD
	v_mul_u32_u24_sdwa v37, v37, s12 dst_sel:DWORD dst_unused:UNUSED_PAD src0_sel:WORD_1 src1_sel:DWORD
	v_pk_fma_f16 v53, v28, v34, v53
	v_pk_fma_f16 v55, v28, v44, v55
	;; [unrolled: 1-line block ×11, first 2 shown]
	ds_read2_b64 v[26:29], v2 offset0:128 offset1:160
	ds_read_b128 v[34:37], v22 offset:16592
	s_or_b32 s6, s16, 16
	s_mul_hi_i32 s7, s6, s8
	s_mul_i32 s6, s6, s8
	s_waitcnt lgkmcnt(2)
	v_mul_u32_u24_sdwa v8, v30, s12 dst_sel:DWORD dst_unused:UNUSED_PAD src0_sel:WORD_0 src1_sel:DWORD
	v_mul_u32_u24_sdwa v73, v33, s12 dst_sel:DWORD dst_unused:UNUSED_PAD src0_sel:WORD_0 src1_sel:DWORD
	s_lshl_b64 s[6:7], s[6:7], 2
	s_waitcnt lgkmcnt(1)
	v_pk_fma_f16 v51, v26, v8, v51
	v_pk_fma_f16 v79, v26, v73, v57
	;; [unrolled: 1-line block ×3, first 2 shown]
	v_mov_b32_e32 v8, s7
	v_add_co_u32_e32 v57, vcc, s6, v5
	s_add_i32 s10, s23, -16
	v_addc_co_u32_e32 v8, vcc, v6, v8, vcc
	v_mul_u32_u24_sdwa v68, v30, s12 dst_sel:DWORD dst_unused:UNUSED_PAD src0_sel:WORD_1 src1_sel:DWORD
	v_mul_u32_u24_sdwa v69, v31, s12 dst_sel:DWORD dst_unused:UNUSED_PAD src0_sel:WORD_0 src1_sel:DWORD
	v_mul_u32_u24_sdwa v70, v31, s12 dst_sel:DWORD dst_unused:UNUSED_PAD src0_sel:WORD_1 src1_sel:DWORD
	v_mul_u32_u24_sdwa v71, v32, s12 dst_sel:DWORD dst_unused:UNUSED_PAD src0_sel:WORD_0 src1_sel:DWORD
	v_mul_u32_u24_sdwa v72, v32, s12 dst_sel:DWORD dst_unused:UNUSED_PAD src0_sel:WORD_1 src1_sel:DWORD
	v_mul_u32_u24_sdwa v74, v33, s12 dst_sel:DWORD dst_unused:UNUSED_PAD src0_sel:WORD_1 src1_sel:DWORD
	v_cmp_gt_i32_e32 vcc, s10, v4
	v_pk_fma_f16 v75, v26, v68, v53
	v_pk_fma_f16 v76, v26, v69, v55
	;; [unrolled: 1-line block ×6, first 2 shown]
	ds_read2_b64 v[30:33], v2 offset0:192 offset1:224
	ds_read_b128 v[43:46], v22 offset:16608
	ds_read_b128 v[53:56], v22 offset:16624
	s_waitcnt lgkmcnt(0)
	s_barrier
	buffer_store_dword v48, off, s[0:3], 0
	buffer_store_dword v48, off, s[0:3], 0 offset:4
	buffer_store_dword v48, off, s[0:3], 0 offset:8
	;; [unrolled: 1-line block ×3, first 2 shown]
	v_cndmask_b32_e32 v9, v49, v8, vcc
	v_cndmask_b32_e32 v8, v52, v57, vcc
	flat_load_dwordx4 v[57:60], v[8:9]
	v_pk_fma_f16 v8, v27, v68, v61
	v_pk_fma_f16 v9, v27, v69, v62
	v_pk_fma_f16 v61, v27, v70, v63
	v_pk_fma_f16 v62, v27, v71, v64
	v_pk_fma_f16 v63, v27, v72, v65
	v_pk_fma_f16 v64, v27, v73, v66
	v_pk_fma_f16 v27, v27, v74, v67
	v_mul_u32_u24_sdwa v65, v34, s12 dst_sel:DWORD dst_unused:UNUSED_PAD src0_sel:WORD_0 src1_sel:DWORD
	v_mul_u32_u24_sdwa v34, v34, s12 dst_sel:DWORD dst_unused:UNUSED_PAD src0_sel:WORD_1 src1_sel:DWORD
	v_mul_u32_u24_sdwa v66, v35, s12 dst_sel:DWORD dst_unused:UNUSED_PAD src0_sel:WORD_0 src1_sel:DWORD
	v_mul_u32_u24_sdwa v35, v35, s12 dst_sel:DWORD dst_unused:UNUSED_PAD src0_sel:WORD_1 src1_sel:DWORD
	v_mul_u32_u24_sdwa v67, v36, s12 dst_sel:DWORD dst_unused:UNUSED_PAD src0_sel:WORD_0 src1_sel:DWORD
	v_mul_u32_u24_sdwa v36, v36, s12 dst_sel:DWORD dst_unused:UNUSED_PAD src0_sel:WORD_1 src1_sel:DWORD
	v_mul_u32_u24_sdwa v68, v37, s12 dst_sel:DWORD dst_unused:UNUSED_PAD src0_sel:WORD_0 src1_sel:DWORD
	v_mul_u32_u24_sdwa v37, v37, s12 dst_sel:DWORD dst_unused:UNUSED_PAD src0_sel:WORD_1 src1_sel:DWORD
	v_pk_fma_f16 v51, v28, v65, v51
	v_pk_fma_f16 v69, v28, v34, v75
	v_pk_fma_f16 v70, v28, v66, v76
	v_pk_fma_f16 v71, v28, v35, v77
	v_pk_fma_f16 v72, v28, v67, v78
	v_pk_fma_f16 v50, v28, v36, v50
	v_pk_fma_f16 v73, v28, v68, v79
	v_pk_fma_f16 v26, v28, v37, v26
	v_pk_fma_f16 v18, v29, v65, v18
	v_pk_fma_f16 v8, v29, v34, v8
	v_pk_fma_f16 v9, v29, v66, v9
	v_pk_fma_f16 v28, v29, v35, v61
	v_pk_fma_f16 v34, v29, v67, v62
	v_pk_fma_f16 v35, v29, v36, v63
	v_pk_fma_f16 v36, v29, v68, v64
	v_pk_fma_f16 v27, v29, v37, v27
	v_mul_u32_u24_sdwa v29, v43, s12 dst_sel:DWORD dst_unused:UNUSED_PAD src0_sel:WORD_0 src1_sel:DWORD
	v_mul_u32_u24_sdwa v37, v43, s12 dst_sel:DWORD dst_unused:UNUSED_PAD src0_sel:WORD_1 src1_sel:DWORD
	v_mul_u32_u24_sdwa v43, v44, s12 dst_sel:DWORD dst_unused:UNUSED_PAD src0_sel:WORD_0 src1_sel:DWORD
	v_mul_u32_u24_sdwa v44, v44, s12 dst_sel:DWORD dst_unused:UNUSED_PAD src0_sel:WORD_1 src1_sel:DWORD
	v_mul_u32_u24_sdwa v61, v45, s12 dst_sel:DWORD dst_unused:UNUSED_PAD src0_sel:WORD_0 src1_sel:DWORD
	v_mul_u32_u24_sdwa v45, v45, s12 dst_sel:DWORD dst_unused:UNUSED_PAD src0_sel:WORD_1 src1_sel:DWORD
	v_mul_u32_u24_sdwa v62, v46, s12 dst_sel:DWORD dst_unused:UNUSED_PAD src0_sel:WORD_0 src1_sel:DWORD
	v_mul_u32_u24_sdwa v46, v46, s12 dst_sel:DWORD dst_unused:UNUSED_PAD src0_sel:WORD_1 src1_sel:DWORD
	v_pk_fma_f16 v51, v30, v29, v51
	v_pk_fma_f16 v63, v30, v37, v69
	v_pk_fma_f16 v64, v30, v43, v70
	v_pk_fma_f16 v65, v30, v44, v71
	v_pk_fma_f16 v66, v30, v61, v72
	v_pk_fma_f16 v50, v30, v45, v50
	v_pk_fma_f16 v67, v30, v62, v73
	v_pk_fma_f16 v26, v30, v46, v26
	v_pk_fma_f16 v18, v31, v29, v18
	;; [unrolled: 24-line block ×3, first 2 shown]
	v_pk_fma_f16 v8, v33, v35, v8
	v_pk_fma_f16 v9, v33, v36, v9
	;; [unrolled: 1-line block ×7, first 2 shown]
	s_waitcnt vmcnt(0) lgkmcnt(0)
	ds_write_b128 v7, v[57:60] offset:24576
	s_waitcnt lgkmcnt(0)
	s_barrier
	ds_read_b128 v[26:29], v22 offset:16640
	ds_read2_b64 v[30:33], v3 offset1:32
	ds_read_b128 v[34:37], v22 offset:16656
	ds_read_b128 v[43:46], v22 offset:16672
	ds_read_b128 v[53:56], v22 offset:16688
	s_waitcnt lgkmcnt(4)
	v_mul_u32_u24_sdwa v57, v26, s12 dst_sel:DWORD dst_unused:UNUSED_PAD src0_sel:WORD_0 src1_sel:DWORD
	v_mul_u32_u24_sdwa v26, v26, s12 dst_sel:DWORD dst_unused:UNUSED_PAD src0_sel:WORD_1 src1_sel:DWORD
	v_mul_u32_u24_sdwa v58, v27, s12 dst_sel:DWORD dst_unused:UNUSED_PAD src0_sel:WORD_0 src1_sel:DWORD
	v_mul_u32_u24_sdwa v27, v27, s12 dst_sel:DWORD dst_unused:UNUSED_PAD src0_sel:WORD_1 src1_sel:DWORD
	;; [unrolled: 2-line block ×4, first 2 shown]
	s_waitcnt lgkmcnt(3)
	v_pk_fma_f16 v51, v30, v57, v51
	v_pk_fma_f16 v61, v30, v26, v61
	;; [unrolled: 1-line block ×16, first 2 shown]
	s_waitcnt lgkmcnt(2)
	v_mul_u32_u24_sdwa v31, v34, s12 dst_sel:DWORD dst_unused:UNUSED_PAD src0_sel:WORD_0 src1_sel:DWORD
	v_mul_u32_u24_sdwa v34, v34, s12 dst_sel:DWORD dst_unused:UNUSED_PAD src0_sel:WORD_1 src1_sel:DWORD
	v_mul_u32_u24_sdwa v58, v35, s12 dst_sel:DWORD dst_unused:UNUSED_PAD src0_sel:WORD_0 src1_sel:DWORD
	v_mul_u32_u24_sdwa v35, v35, s12 dst_sel:DWORD dst_unused:UNUSED_PAD src0_sel:WORD_1 src1_sel:DWORD
	;; [unrolled: 2-line block ×4, first 2 shown]
	v_pk_fma_f16 v51, v32, v31, v51
	v_pk_fma_f16 v61, v32, v34, v61
	;; [unrolled: 1-line block ×16, first 2 shown]
	ds_read2_b64 v[26:29], v3 offset0:64 offset1:96
	s_waitcnt lgkmcnt(2)
	v_mul_u32_u24_sdwa v36, v43, s12 dst_sel:DWORD dst_unused:UNUSED_PAD src0_sel:WORD_0 src1_sel:DWORD
	v_mul_u32_u24_sdwa v37, v43, s12 dst_sel:DWORD dst_unused:UNUSED_PAD src0_sel:WORD_1 src1_sel:DWORD
	v_mul_u32_u24_sdwa v43, v44, s12 dst_sel:DWORD dst_unused:UNUSED_PAD src0_sel:WORD_0 src1_sel:DWORD
	v_mul_u32_u24_sdwa v44, v44, s12 dst_sel:DWORD dst_unused:UNUSED_PAD src0_sel:WORD_1 src1_sel:DWORD
	;; [unrolled: 2-line block ×4, first 2 shown]
	s_waitcnt lgkmcnt(0)
	v_pk_fma_f16 v51, v26, v36, v51
	v_pk_fma_f16 v59, v26, v37, v61
	;; [unrolled: 1-line block ×16, first 2 shown]
	v_mul_u32_u24_sdwa v33, v53, s12 dst_sel:DWORD dst_unused:UNUSED_PAD src0_sel:WORD_0 src1_sel:DWORD
	v_mul_u32_u24_sdwa v35, v53, s12 dst_sel:DWORD dst_unused:UNUSED_PAD src0_sel:WORD_1 src1_sel:DWORD
	v_mul_u32_u24_sdwa v37, v54, s12 dst_sel:DWORD dst_unused:UNUSED_PAD src0_sel:WORD_1 src1_sel:DWORD
	v_mul_u32_u24_sdwa v43, v55, s12 dst_sel:DWORD dst_unused:UNUSED_PAD src0_sel:WORD_0 src1_sel:DWORD
	v_mul_u32_u24_sdwa v44, v55, s12 dst_sel:DWORD dst_unused:UNUSED_PAD src0_sel:WORD_1 src1_sel:DWORD
	v_mul_u32_u24_sdwa v36, v54, s12 dst_sel:DWORD dst_unused:UNUSED_PAD src0_sel:WORD_0 src1_sel:DWORD
	v_mul_u32_u24_sdwa v45, v56, s12 dst_sel:DWORD dst_unused:UNUSED_PAD src0_sel:WORD_0 src1_sel:DWORD
	v_mul_u32_u24_sdwa v46, v56, s12 dst_sel:DWORD dst_unused:UNUSED_PAD src0_sel:WORD_1 src1_sel:DWORD
	v_pk_fma_f16 v51, v28, v33, v51
	v_pk_fma_f16 v53, v28, v35, v59
	;; [unrolled: 1-line block ×8, first 2 shown]
	ds_read_b128 v[30:33], v22 offset:16704
	v_pk_fma_f16 v54, v28, v36, v60
	v_pk_fma_f16 v55, v28, v37, v61
	;; [unrolled: 1-line block ×8, first 2 shown]
	ds_read2_b64 v[26:29], v3 offset0:128 offset1:160
	ds_read_b128 v[34:37], v22 offset:16720
	s_waitcnt lgkmcnt(2)
	v_mul_u32_u24_sdwa v60, v30, s12 dst_sel:DWORD dst_unused:UNUSED_PAD src0_sel:WORD_0 src1_sel:DWORD
	v_mul_u32_u24_sdwa v30, v30, s12 dst_sel:DWORD dst_unused:UNUSED_PAD src0_sel:WORD_1 src1_sel:DWORD
	v_mul_u32_u24_sdwa v61, v31, s12 dst_sel:DWORD dst_unused:UNUSED_PAD src0_sel:WORD_0 src1_sel:DWORD
	v_mul_u32_u24_sdwa v31, v31, s12 dst_sel:DWORD dst_unused:UNUSED_PAD src0_sel:WORD_1 src1_sel:DWORD
	;; [unrolled: 2-line block ×4, first 2 shown]
	s_waitcnt lgkmcnt(1)
	v_pk_fma_f16 v51, v26, v60, v51
	v_pk_fma_f16 v53, v26, v30, v53
	;; [unrolled: 1-line block ×16, first 2 shown]
	s_waitcnt lgkmcnt(0)
	v_mul_u32_u24_sdwa v33, v34, s12 dst_sel:DWORD dst_unused:UNUSED_PAD src0_sel:WORD_0 src1_sel:DWORD
	v_mul_u32_u24_sdwa v44, v35, s12 dst_sel:DWORD dst_unused:UNUSED_PAD src0_sel:WORD_0 src1_sel:DWORD
	v_mul_u32_u24_sdwa v35, v35, s12 dst_sel:DWORD dst_unused:UNUSED_PAD src0_sel:WORD_1 src1_sel:DWORD
	v_mul_u32_u24_sdwa v45, v36, s12 dst_sel:DWORD dst_unused:UNUSED_PAD src0_sel:WORD_0 src1_sel:DWORD
	v_mul_u32_u24_sdwa v36, v36, s12 dst_sel:DWORD dst_unused:UNUSED_PAD src0_sel:WORD_1 src1_sel:DWORD
	v_mul_u32_u24_sdwa v34, v34, s12 dst_sel:DWORD dst_unused:UNUSED_PAD src0_sel:WORD_1 src1_sel:DWORD
	v_mul_u32_u24_sdwa v46, v37, s12 dst_sel:DWORD dst_unused:UNUSED_PAD src0_sel:WORD_0 src1_sel:DWORD
	v_mul_u32_u24_sdwa v37, v37, s12 dst_sel:DWORD dst_unused:UNUSED_PAD src0_sel:WORD_1 src1_sel:DWORD
	v_pk_fma_f16 v51, v28, v33, v51
	v_pk_fma_f16 v54, v28, v44, v54
	;; [unrolled: 1-line block ×8, first 2 shown]
	ds_read_b128 v[30:33], v22 offset:16736
	v_pk_fma_f16 v53, v28, v34, v53
	v_pk_fma_f16 v55, v28, v35, v55
	;; [unrolled: 1-line block ×8, first 2 shown]
	ds_read2_b64 v[26:29], v3 offset0:192 offset1:224
	ds_read_b128 v[34:37], v22 offset:16752
	s_waitcnt lgkmcnt(2)
	v_mul_u32_u24_sdwa v60, v30, s12 dst_sel:DWORD dst_unused:UNUSED_PAD src0_sel:WORD_0 src1_sel:DWORD
	v_mul_u32_u24_sdwa v30, v30, s12 dst_sel:DWORD dst_unused:UNUSED_PAD src0_sel:WORD_1 src1_sel:DWORD
	v_mul_u32_u24_sdwa v61, v31, s12 dst_sel:DWORD dst_unused:UNUSED_PAD src0_sel:WORD_0 src1_sel:DWORD
	v_mul_u32_u24_sdwa v31, v31, s12 dst_sel:DWORD dst_unused:UNUSED_PAD src0_sel:WORD_1 src1_sel:DWORD
	v_mul_u32_u24_sdwa v62, v32, s12 dst_sel:DWORD dst_unused:UNUSED_PAD src0_sel:WORD_0 src1_sel:DWORD
	v_mul_u32_u24_sdwa v32, v32, s12 dst_sel:DWORD dst_unused:UNUSED_PAD src0_sel:WORD_1 src1_sel:DWORD
	v_mul_u32_u24_sdwa v63, v33, s12 dst_sel:DWORD dst_unused:UNUSED_PAD src0_sel:WORD_0 src1_sel:DWORD
	v_mul_u32_u24_sdwa v33, v33, s12 dst_sel:DWORD dst_unused:UNUSED_PAD src0_sel:WORD_1 src1_sel:DWORD
	s_waitcnt lgkmcnt(1)
	v_pk_fma_f16 v51, v26, v60, v51
	v_pk_fma_f16 v53, v26, v30, v53
	;; [unrolled: 1-line block ×16, first 2 shown]
	s_waitcnt lgkmcnt(0)
	v_mul_u32_u24_sdwa v33, v34, s12 dst_sel:DWORD dst_unused:UNUSED_PAD src0_sel:WORD_0 src1_sel:DWORD
	v_mul_u32_u24_sdwa v44, v35, s12 dst_sel:DWORD dst_unused:UNUSED_PAD src0_sel:WORD_0 src1_sel:DWORD
	v_mul_u32_u24_sdwa v35, v35, s12 dst_sel:DWORD dst_unused:UNUSED_PAD src0_sel:WORD_1 src1_sel:DWORD
	v_mul_u32_u24_sdwa v45, v36, s12 dst_sel:DWORD dst_unused:UNUSED_PAD src0_sel:WORD_0 src1_sel:DWORD
	v_mul_u32_u24_sdwa v36, v36, s12 dst_sel:DWORD dst_unused:UNUSED_PAD src0_sel:WORD_1 src1_sel:DWORD
	v_mul_u32_u24_sdwa v34, v34, s12 dst_sel:DWORD dst_unused:UNUSED_PAD src0_sel:WORD_1 src1_sel:DWORD
	v_mul_u32_u24_sdwa v46, v37, s12 dst_sel:DWORD dst_unused:UNUSED_PAD src0_sel:WORD_0 src1_sel:DWORD
	v_mul_u32_u24_sdwa v37, v37, s12 dst_sel:DWORD dst_unused:UNUSED_PAD src0_sel:WORD_1 src1_sel:DWORD
	v_pk_fma_f16 v51, v28, v33, v51
	v_pk_fma_f16 v54, v28, v44, v54
	;; [unrolled: 1-line block ×8, first 2 shown]
	ds_read_b128 v[30:33], v22 offset:16768
	v_pk_fma_f16 v53, v28, v34, v53
	v_pk_fma_f16 v55, v28, v35, v55
	;; [unrolled: 1-line block ×8, first 2 shown]
	ds_read2_b64 v[26:29], v2 offset1:32
	ds_read_b128 v[34:37], v22 offset:16784
	s_waitcnt lgkmcnt(2)
	v_mul_u32_u24_sdwa v60, v30, s12 dst_sel:DWORD dst_unused:UNUSED_PAD src0_sel:WORD_0 src1_sel:DWORD
	v_mul_u32_u24_sdwa v30, v30, s12 dst_sel:DWORD dst_unused:UNUSED_PAD src0_sel:WORD_1 src1_sel:DWORD
	v_mul_u32_u24_sdwa v61, v31, s12 dst_sel:DWORD dst_unused:UNUSED_PAD src0_sel:WORD_0 src1_sel:DWORD
	v_mul_u32_u24_sdwa v31, v31, s12 dst_sel:DWORD dst_unused:UNUSED_PAD src0_sel:WORD_1 src1_sel:DWORD
	;; [unrolled: 2-line block ×4, first 2 shown]
	s_waitcnt lgkmcnt(1)
	v_pk_fma_f16 v51, v26, v60, v51
	v_pk_fma_f16 v53, v26, v30, v53
	;; [unrolled: 1-line block ×16, first 2 shown]
	s_waitcnt lgkmcnt(0)
	v_mul_u32_u24_sdwa v33, v34, s12 dst_sel:DWORD dst_unused:UNUSED_PAD src0_sel:WORD_0 src1_sel:DWORD
	v_mul_u32_u24_sdwa v44, v35, s12 dst_sel:DWORD dst_unused:UNUSED_PAD src0_sel:WORD_0 src1_sel:DWORD
	v_mul_u32_u24_sdwa v35, v35, s12 dst_sel:DWORD dst_unused:UNUSED_PAD src0_sel:WORD_1 src1_sel:DWORD
	v_mul_u32_u24_sdwa v45, v36, s12 dst_sel:DWORD dst_unused:UNUSED_PAD src0_sel:WORD_0 src1_sel:DWORD
	v_mul_u32_u24_sdwa v36, v36, s12 dst_sel:DWORD dst_unused:UNUSED_PAD src0_sel:WORD_1 src1_sel:DWORD
	v_mul_u32_u24_sdwa v34, v34, s12 dst_sel:DWORD dst_unused:UNUSED_PAD src0_sel:WORD_1 src1_sel:DWORD
	v_mul_u32_u24_sdwa v46, v37, s12 dst_sel:DWORD dst_unused:UNUSED_PAD src0_sel:WORD_0 src1_sel:DWORD
	v_mul_u32_u24_sdwa v37, v37, s12 dst_sel:DWORD dst_unused:UNUSED_PAD src0_sel:WORD_1 src1_sel:DWORD
	v_pk_fma_f16 v51, v28, v33, v51
	v_pk_fma_f16 v54, v28, v44, v54
	;; [unrolled: 1-line block ×8, first 2 shown]
	ds_read_b128 v[30:33], v22 offset:16800
	v_pk_fma_f16 v53, v28, v34, v53
	v_pk_fma_f16 v55, v28, v35, v55
	;; [unrolled: 1-line block ×8, first 2 shown]
	ds_read2_b64 v[26:29], v2 offset0:64 offset1:96
	ds_read_b128 v[34:37], v22 offset:16816
	s_waitcnt lgkmcnt(2)
	v_mul_u32_u24_sdwa v60, v30, s12 dst_sel:DWORD dst_unused:UNUSED_PAD src0_sel:WORD_0 src1_sel:DWORD
	v_mul_u32_u24_sdwa v30, v30, s12 dst_sel:DWORD dst_unused:UNUSED_PAD src0_sel:WORD_1 src1_sel:DWORD
	v_mul_u32_u24_sdwa v61, v31, s12 dst_sel:DWORD dst_unused:UNUSED_PAD src0_sel:WORD_0 src1_sel:DWORD
	v_mul_u32_u24_sdwa v31, v31, s12 dst_sel:DWORD dst_unused:UNUSED_PAD src0_sel:WORD_1 src1_sel:DWORD
	;; [unrolled: 2-line block ×4, first 2 shown]
	s_waitcnt lgkmcnt(1)
	v_pk_fma_f16 v51, v26, v60, v51
	v_pk_fma_f16 v53, v26, v30, v53
	;; [unrolled: 1-line block ×16, first 2 shown]
	s_waitcnt lgkmcnt(0)
	v_mul_u32_u24_sdwa v33, v34, s12 dst_sel:DWORD dst_unused:UNUSED_PAD src0_sel:WORD_0 src1_sel:DWORD
	v_mul_u32_u24_sdwa v44, v35, s12 dst_sel:DWORD dst_unused:UNUSED_PAD src0_sel:WORD_0 src1_sel:DWORD
	v_mul_u32_u24_sdwa v35, v35, s12 dst_sel:DWORD dst_unused:UNUSED_PAD src0_sel:WORD_1 src1_sel:DWORD
	v_mul_u32_u24_sdwa v45, v36, s12 dst_sel:DWORD dst_unused:UNUSED_PAD src0_sel:WORD_0 src1_sel:DWORD
	v_mul_u32_u24_sdwa v36, v36, s12 dst_sel:DWORD dst_unused:UNUSED_PAD src0_sel:WORD_1 src1_sel:DWORD
	v_pk_fma_f16 v51, v28, v33, v51
	v_pk_fma_f16 v18, v29, v33, v18
	;; [unrolled: 1-line block ×5, first 2 shown]
	ds_read_b128 v[30:33], v22 offset:16832
	v_mul_u32_u24_sdwa v34, v34, s12 dst_sel:DWORD dst_unused:UNUSED_PAD src0_sel:WORD_1 src1_sel:DWORD
	v_mul_u32_u24_sdwa v46, v37, s12 dst_sel:DWORD dst_unused:UNUSED_PAD src0_sel:WORD_0 src1_sel:DWORD
	v_mul_u32_u24_sdwa v37, v37, s12 dst_sel:DWORD dst_unused:UNUSED_PAD src0_sel:WORD_1 src1_sel:DWORD
	v_pk_fma_f16 v53, v28, v34, v53
	v_pk_fma_f16 v54, v28, v44, v54
	;; [unrolled: 1-line block ×11, first 2 shown]
	ds_read2_b64 v[26:29], v2 offset0:128 offset1:160
	ds_read_b128 v[34:37], v22 offset:16848
	s_or_b32 s6, s16, 32
	s_mul_hi_i32 s7, s6, s8
	s_mul_i32 s6, s6, s8
	s_waitcnt lgkmcnt(2)
	v_mul_u32_u24_sdwa v8, v30, s12 dst_sel:DWORD dst_unused:UNUSED_PAD src0_sel:WORD_0 src1_sel:DWORD
	v_mul_u32_u24_sdwa v73, v33, s12 dst_sel:DWORD dst_unused:UNUSED_PAD src0_sel:WORD_0 src1_sel:DWORD
	s_lshl_b64 s[6:7], s[6:7], 2
	s_waitcnt lgkmcnt(1)
	v_pk_fma_f16 v51, v26, v8, v51
	v_pk_fma_f16 v79, v26, v73, v57
	v_pk_fma_f16 v18, v27, v8, v18
	v_mov_b32_e32 v8, s7
	v_add_co_u32_e32 v57, vcc, s6, v5
	s_sub_i32 s10, s23, 32
	v_addc_co_u32_e32 v8, vcc, v6, v8, vcc
	v_mul_u32_u24_sdwa v68, v30, s12 dst_sel:DWORD dst_unused:UNUSED_PAD src0_sel:WORD_1 src1_sel:DWORD
	v_mul_u32_u24_sdwa v69, v31, s12 dst_sel:DWORD dst_unused:UNUSED_PAD src0_sel:WORD_0 src1_sel:DWORD
	v_mul_u32_u24_sdwa v70, v31, s12 dst_sel:DWORD dst_unused:UNUSED_PAD src0_sel:WORD_1 src1_sel:DWORD
	v_mul_u32_u24_sdwa v71, v32, s12 dst_sel:DWORD dst_unused:UNUSED_PAD src0_sel:WORD_0 src1_sel:DWORD
	v_cmp_gt_i32_e32 vcc, s10, v4
	v_mul_u32_u24_sdwa v72, v32, s12 dst_sel:DWORD dst_unused:UNUSED_PAD src0_sel:WORD_1 src1_sel:DWORD
	v_mul_u32_u24_sdwa v74, v33, s12 dst_sel:DWORD dst_unused:UNUSED_PAD src0_sel:WORD_1 src1_sel:DWORD
	v_pk_fma_f16 v75, v26, v68, v53
	v_pk_fma_f16 v76, v26, v69, v54
	;; [unrolled: 1-line block ×4, first 2 shown]
	ds_read2_b64 v[30:33], v2 offset0:192 offset1:224
	ds_read_b128 v[43:46], v22 offset:16864
	ds_read_b128 v[53:56], v22 offset:16880
	s_waitcnt lgkmcnt(0)
	s_barrier
	buffer_store_dword v48, off, s[0:3], 0
	buffer_store_dword v48, off, s[0:3], 0 offset:4
	buffer_store_dword v48, off, s[0:3], 0 offset:8
	;; [unrolled: 1-line block ×3, first 2 shown]
	v_cndmask_b32_e32 v9, v49, v8, vcc
	v_cndmask_b32_e32 v8, v52, v57, vcc
	v_pk_fma_f16 v50, v26, v72, v50
	v_pk_fma_f16 v26, v26, v74, v58
	flat_load_dwordx4 v[57:60], v[8:9]
	v_pk_fma_f16 v8, v27, v68, v61
	v_pk_fma_f16 v9, v27, v69, v62
	v_pk_fma_f16 v61, v27, v70, v63
	v_pk_fma_f16 v62, v27, v71, v64
	v_pk_fma_f16 v63, v27, v72, v65
	v_pk_fma_f16 v64, v27, v73, v66
	v_pk_fma_f16 v27, v27, v74, v67
	v_mul_u32_u24_sdwa v65, v34, s12 dst_sel:DWORD dst_unused:UNUSED_PAD src0_sel:WORD_0 src1_sel:DWORD
	v_mul_u32_u24_sdwa v34, v34, s12 dst_sel:DWORD dst_unused:UNUSED_PAD src0_sel:WORD_1 src1_sel:DWORD
	v_mul_u32_u24_sdwa v66, v35, s12 dst_sel:DWORD dst_unused:UNUSED_PAD src0_sel:WORD_0 src1_sel:DWORD
	v_mul_u32_u24_sdwa v35, v35, s12 dst_sel:DWORD dst_unused:UNUSED_PAD src0_sel:WORD_1 src1_sel:DWORD
	v_mul_u32_u24_sdwa v67, v36, s12 dst_sel:DWORD dst_unused:UNUSED_PAD src0_sel:WORD_0 src1_sel:DWORD
	v_mul_u32_u24_sdwa v36, v36, s12 dst_sel:DWORD dst_unused:UNUSED_PAD src0_sel:WORD_1 src1_sel:DWORD
	v_mul_u32_u24_sdwa v68, v37, s12 dst_sel:DWORD dst_unused:UNUSED_PAD src0_sel:WORD_0 src1_sel:DWORD
	v_mul_u32_u24_sdwa v37, v37, s12 dst_sel:DWORD dst_unused:UNUSED_PAD src0_sel:WORD_1 src1_sel:DWORD
	v_pk_fma_f16 v51, v28, v65, v51
	v_pk_fma_f16 v69, v28, v34, v75
	v_pk_fma_f16 v70, v28, v66, v76
	v_pk_fma_f16 v71, v28, v35, v77
	v_pk_fma_f16 v72, v28, v67, v78
	v_pk_fma_f16 v50, v28, v36, v50
	v_pk_fma_f16 v73, v28, v68, v79
	v_pk_fma_f16 v26, v28, v37, v26
	v_pk_fma_f16 v18, v29, v65, v18
	v_pk_fma_f16 v8, v29, v34, v8
	v_pk_fma_f16 v9, v29, v66, v9
	v_pk_fma_f16 v28, v29, v35, v61
	v_pk_fma_f16 v34, v29, v67, v62
	v_pk_fma_f16 v35, v29, v36, v63
	v_pk_fma_f16 v36, v29, v68, v64
	v_pk_fma_f16 v27, v29, v37, v27
	v_mul_u32_u24_sdwa v29, v43, s12 dst_sel:DWORD dst_unused:UNUSED_PAD src0_sel:WORD_0 src1_sel:DWORD
	v_mul_u32_u24_sdwa v37, v43, s12 dst_sel:DWORD dst_unused:UNUSED_PAD src0_sel:WORD_1 src1_sel:DWORD
	v_mul_u32_u24_sdwa v43, v44, s12 dst_sel:DWORD dst_unused:UNUSED_PAD src0_sel:WORD_0 src1_sel:DWORD
	v_mul_u32_u24_sdwa v44, v44, s12 dst_sel:DWORD dst_unused:UNUSED_PAD src0_sel:WORD_1 src1_sel:DWORD
	v_mul_u32_u24_sdwa v61, v45, s12 dst_sel:DWORD dst_unused:UNUSED_PAD src0_sel:WORD_0 src1_sel:DWORD
	v_mul_u32_u24_sdwa v45, v45, s12 dst_sel:DWORD dst_unused:UNUSED_PAD src0_sel:WORD_1 src1_sel:DWORD
	v_mul_u32_u24_sdwa v62, v46, s12 dst_sel:DWORD dst_unused:UNUSED_PAD src0_sel:WORD_0 src1_sel:DWORD
	v_mul_u32_u24_sdwa v46, v46, s12 dst_sel:DWORD dst_unused:UNUSED_PAD src0_sel:WORD_1 src1_sel:DWORD
	v_pk_fma_f16 v51, v30, v29, v51
	v_pk_fma_f16 v63, v30, v37, v69
	v_pk_fma_f16 v64, v30, v43, v70
	v_pk_fma_f16 v65, v30, v44, v71
	v_pk_fma_f16 v66, v30, v61, v72
	v_pk_fma_f16 v50, v30, v45, v50
	v_pk_fma_f16 v67, v30, v62, v73
	v_pk_fma_f16 v26, v30, v46, v26
	v_pk_fma_f16 v18, v31, v29, v18
	;; [unrolled: 24-line block ×3, first 2 shown]
	v_pk_fma_f16 v8, v33, v35, v8
	v_pk_fma_f16 v9, v33, v36, v9
	;; [unrolled: 1-line block ×7, first 2 shown]
	s_waitcnt vmcnt(0) lgkmcnt(0)
	ds_write_b128 v7, v[57:60] offset:24576
	s_waitcnt lgkmcnt(0)
	s_barrier
	ds_read_b128 v[26:29], v22 offset:16896
	ds_read2_b64 v[30:33], v3 offset1:32
	ds_read_b128 v[34:37], v22 offset:16912
	ds_read_b128 v[43:46], v22 offset:16928
	;; [unrolled: 1-line block ×3, first 2 shown]
	s_waitcnt lgkmcnt(4)
	v_mul_u32_u24_sdwa v57, v26, s12 dst_sel:DWORD dst_unused:UNUSED_PAD src0_sel:WORD_0 src1_sel:DWORD
	v_mul_u32_u24_sdwa v26, v26, s12 dst_sel:DWORD dst_unused:UNUSED_PAD src0_sel:WORD_1 src1_sel:DWORD
	v_mul_u32_u24_sdwa v58, v27, s12 dst_sel:DWORD dst_unused:UNUSED_PAD src0_sel:WORD_0 src1_sel:DWORD
	v_mul_u32_u24_sdwa v27, v27, s12 dst_sel:DWORD dst_unused:UNUSED_PAD src0_sel:WORD_1 src1_sel:DWORD
	;; [unrolled: 2-line block ×4, first 2 shown]
	s_waitcnt lgkmcnt(3)
	v_pk_fma_f16 v51, v30, v57, v51
	v_pk_fma_f16 v61, v30, v26, v61
	;; [unrolled: 1-line block ×16, first 2 shown]
	s_waitcnt lgkmcnt(2)
	v_mul_u32_u24_sdwa v31, v34, s12 dst_sel:DWORD dst_unused:UNUSED_PAD src0_sel:WORD_0 src1_sel:DWORD
	v_mul_u32_u24_sdwa v34, v34, s12 dst_sel:DWORD dst_unused:UNUSED_PAD src0_sel:WORD_1 src1_sel:DWORD
	v_mul_u32_u24_sdwa v58, v35, s12 dst_sel:DWORD dst_unused:UNUSED_PAD src0_sel:WORD_0 src1_sel:DWORD
	v_mul_u32_u24_sdwa v35, v35, s12 dst_sel:DWORD dst_unused:UNUSED_PAD src0_sel:WORD_1 src1_sel:DWORD
	;; [unrolled: 2-line block ×4, first 2 shown]
	v_pk_fma_f16 v51, v32, v31, v51
	v_pk_fma_f16 v61, v32, v34, v61
	;; [unrolled: 1-line block ×16, first 2 shown]
	ds_read2_b64 v[26:29], v3 offset0:64 offset1:96
	s_waitcnt lgkmcnt(2)
	v_mul_u32_u24_sdwa v36, v43, s12 dst_sel:DWORD dst_unused:UNUSED_PAD src0_sel:WORD_0 src1_sel:DWORD
	v_mul_u32_u24_sdwa v37, v43, s12 dst_sel:DWORD dst_unused:UNUSED_PAD src0_sel:WORD_1 src1_sel:DWORD
	v_mul_u32_u24_sdwa v43, v44, s12 dst_sel:DWORD dst_unused:UNUSED_PAD src0_sel:WORD_0 src1_sel:DWORD
	v_mul_u32_u24_sdwa v44, v44, s12 dst_sel:DWORD dst_unused:UNUSED_PAD src0_sel:WORD_1 src1_sel:DWORD
	;; [unrolled: 2-line block ×4, first 2 shown]
	s_waitcnt lgkmcnt(0)
	v_pk_fma_f16 v51, v26, v36, v51
	v_pk_fma_f16 v59, v26, v37, v61
	;; [unrolled: 1-line block ×16, first 2 shown]
	v_mul_u32_u24_sdwa v33, v53, s12 dst_sel:DWORD dst_unused:UNUSED_PAD src0_sel:WORD_0 src1_sel:DWORD
	v_mul_u32_u24_sdwa v35, v53, s12 dst_sel:DWORD dst_unused:UNUSED_PAD src0_sel:WORD_1 src1_sel:DWORD
	v_mul_u32_u24_sdwa v37, v54, s12 dst_sel:DWORD dst_unused:UNUSED_PAD src0_sel:WORD_1 src1_sel:DWORD
	v_mul_u32_u24_sdwa v43, v55, s12 dst_sel:DWORD dst_unused:UNUSED_PAD src0_sel:WORD_0 src1_sel:DWORD
	v_mul_u32_u24_sdwa v44, v55, s12 dst_sel:DWORD dst_unused:UNUSED_PAD src0_sel:WORD_1 src1_sel:DWORD
	v_mul_u32_u24_sdwa v36, v54, s12 dst_sel:DWORD dst_unused:UNUSED_PAD src0_sel:WORD_0 src1_sel:DWORD
	v_mul_u32_u24_sdwa v45, v56, s12 dst_sel:DWORD dst_unused:UNUSED_PAD src0_sel:WORD_0 src1_sel:DWORD
	v_mul_u32_u24_sdwa v46, v56, s12 dst_sel:DWORD dst_unused:UNUSED_PAD src0_sel:WORD_1 src1_sel:DWORD
	v_pk_fma_f16 v51, v28, v33, v51
	v_pk_fma_f16 v53, v28, v35, v59
	;; [unrolled: 1-line block ×8, first 2 shown]
	ds_read_b128 v[30:33], v22 offset:16960
	v_pk_fma_f16 v54, v28, v36, v60
	v_pk_fma_f16 v55, v28, v37, v61
	v_pk_fma_f16 v57, v28, v45, v63
	v_pk_fma_f16 v58, v28, v46, v26
	v_pk_fma_f16 v8, v29, v35, v8
	v_pk_fma_f16 v9, v29, v36, v9
	v_pk_fma_f16 v45, v29, v45, v34
	v_pk_fma_f16 v46, v29, v46, v27
	ds_read2_b64 v[26:29], v3 offset0:128 offset1:160
	ds_read_b128 v[34:37], v22 offset:16976
	s_waitcnt lgkmcnt(2)
	v_mul_u32_u24_sdwa v60, v30, s12 dst_sel:DWORD dst_unused:UNUSED_PAD src0_sel:WORD_0 src1_sel:DWORD
	v_mul_u32_u24_sdwa v30, v30, s12 dst_sel:DWORD dst_unused:UNUSED_PAD src0_sel:WORD_1 src1_sel:DWORD
	v_mul_u32_u24_sdwa v61, v31, s12 dst_sel:DWORD dst_unused:UNUSED_PAD src0_sel:WORD_0 src1_sel:DWORD
	v_mul_u32_u24_sdwa v31, v31, s12 dst_sel:DWORD dst_unused:UNUSED_PAD src0_sel:WORD_1 src1_sel:DWORD
	;; [unrolled: 2-line block ×4, first 2 shown]
	s_waitcnt lgkmcnt(1)
	v_pk_fma_f16 v51, v26, v60, v51
	v_pk_fma_f16 v53, v26, v30, v53
	;; [unrolled: 1-line block ×16, first 2 shown]
	s_waitcnt lgkmcnt(0)
	v_mul_u32_u24_sdwa v33, v34, s12 dst_sel:DWORD dst_unused:UNUSED_PAD src0_sel:WORD_0 src1_sel:DWORD
	v_mul_u32_u24_sdwa v44, v35, s12 dst_sel:DWORD dst_unused:UNUSED_PAD src0_sel:WORD_0 src1_sel:DWORD
	v_mul_u32_u24_sdwa v35, v35, s12 dst_sel:DWORD dst_unused:UNUSED_PAD src0_sel:WORD_1 src1_sel:DWORD
	v_mul_u32_u24_sdwa v45, v36, s12 dst_sel:DWORD dst_unused:UNUSED_PAD src0_sel:WORD_0 src1_sel:DWORD
	v_mul_u32_u24_sdwa v36, v36, s12 dst_sel:DWORD dst_unused:UNUSED_PAD src0_sel:WORD_1 src1_sel:DWORD
	v_mul_u32_u24_sdwa v34, v34, s12 dst_sel:DWORD dst_unused:UNUSED_PAD src0_sel:WORD_1 src1_sel:DWORD
	v_mul_u32_u24_sdwa v46, v37, s12 dst_sel:DWORD dst_unused:UNUSED_PAD src0_sel:WORD_0 src1_sel:DWORD
	v_mul_u32_u24_sdwa v37, v37, s12 dst_sel:DWORD dst_unused:UNUSED_PAD src0_sel:WORD_1 src1_sel:DWORD
	v_pk_fma_f16 v51, v28, v33, v51
	v_pk_fma_f16 v54, v28, v44, v54
	v_pk_fma_f16 v56, v28, v45, v56
	v_pk_fma_f16 v18, v29, v33, v18
	v_pk_fma_f16 v9, v29, v44, v9
	v_pk_fma_f16 v44, v29, v35, v30
	v_pk_fma_f16 v45, v29, v45, v31
	v_pk_fma_f16 v59, v29, v36, v32
	ds_read_b128 v[30:33], v22 offset:16992
	v_pk_fma_f16 v53, v28, v34, v53
	v_pk_fma_f16 v55, v28, v35, v55
	;; [unrolled: 1-line block ×8, first 2 shown]
	ds_read2_b64 v[26:29], v3 offset0:192 offset1:224
	ds_read_b128 v[34:37], v22 offset:17008
	s_waitcnt lgkmcnt(2)
	v_mul_u32_u24_sdwa v60, v30, s12 dst_sel:DWORD dst_unused:UNUSED_PAD src0_sel:WORD_0 src1_sel:DWORD
	v_mul_u32_u24_sdwa v30, v30, s12 dst_sel:DWORD dst_unused:UNUSED_PAD src0_sel:WORD_1 src1_sel:DWORD
	v_mul_u32_u24_sdwa v61, v31, s12 dst_sel:DWORD dst_unused:UNUSED_PAD src0_sel:WORD_0 src1_sel:DWORD
	v_mul_u32_u24_sdwa v31, v31, s12 dst_sel:DWORD dst_unused:UNUSED_PAD src0_sel:WORD_1 src1_sel:DWORD
	v_mul_u32_u24_sdwa v62, v32, s12 dst_sel:DWORD dst_unused:UNUSED_PAD src0_sel:WORD_0 src1_sel:DWORD
	v_mul_u32_u24_sdwa v32, v32, s12 dst_sel:DWORD dst_unused:UNUSED_PAD src0_sel:WORD_1 src1_sel:DWORD
	v_mul_u32_u24_sdwa v63, v33, s12 dst_sel:DWORD dst_unused:UNUSED_PAD src0_sel:WORD_0 src1_sel:DWORD
	v_mul_u32_u24_sdwa v33, v33, s12 dst_sel:DWORD dst_unused:UNUSED_PAD src0_sel:WORD_1 src1_sel:DWORD
	s_waitcnt lgkmcnt(1)
	v_pk_fma_f16 v51, v26, v60, v51
	v_pk_fma_f16 v53, v26, v30, v53
	;; [unrolled: 1-line block ×16, first 2 shown]
	s_waitcnt lgkmcnt(0)
	v_mul_u32_u24_sdwa v33, v34, s12 dst_sel:DWORD dst_unused:UNUSED_PAD src0_sel:WORD_0 src1_sel:DWORD
	v_mul_u32_u24_sdwa v44, v35, s12 dst_sel:DWORD dst_unused:UNUSED_PAD src0_sel:WORD_0 src1_sel:DWORD
	v_mul_u32_u24_sdwa v35, v35, s12 dst_sel:DWORD dst_unused:UNUSED_PAD src0_sel:WORD_1 src1_sel:DWORD
	v_mul_u32_u24_sdwa v45, v36, s12 dst_sel:DWORD dst_unused:UNUSED_PAD src0_sel:WORD_0 src1_sel:DWORD
	v_mul_u32_u24_sdwa v36, v36, s12 dst_sel:DWORD dst_unused:UNUSED_PAD src0_sel:WORD_1 src1_sel:DWORD
	v_mul_u32_u24_sdwa v34, v34, s12 dst_sel:DWORD dst_unused:UNUSED_PAD src0_sel:WORD_1 src1_sel:DWORD
	v_mul_u32_u24_sdwa v46, v37, s12 dst_sel:DWORD dst_unused:UNUSED_PAD src0_sel:WORD_0 src1_sel:DWORD
	v_mul_u32_u24_sdwa v37, v37, s12 dst_sel:DWORD dst_unused:UNUSED_PAD src0_sel:WORD_1 src1_sel:DWORD
	v_pk_fma_f16 v51, v28, v33, v51
	v_pk_fma_f16 v54, v28, v44, v54
	;; [unrolled: 1-line block ×8, first 2 shown]
	ds_read_b128 v[30:33], v22 offset:17024
	v_pk_fma_f16 v53, v28, v34, v53
	v_pk_fma_f16 v55, v28, v35, v55
	;; [unrolled: 1-line block ×8, first 2 shown]
	ds_read2_b64 v[26:29], v2 offset1:32
	ds_read_b128 v[34:37], v22 offset:17040
	s_waitcnt lgkmcnt(2)
	v_mul_u32_u24_sdwa v60, v30, s12 dst_sel:DWORD dst_unused:UNUSED_PAD src0_sel:WORD_0 src1_sel:DWORD
	v_mul_u32_u24_sdwa v30, v30, s12 dst_sel:DWORD dst_unused:UNUSED_PAD src0_sel:WORD_1 src1_sel:DWORD
	v_mul_u32_u24_sdwa v61, v31, s12 dst_sel:DWORD dst_unused:UNUSED_PAD src0_sel:WORD_0 src1_sel:DWORD
	v_mul_u32_u24_sdwa v31, v31, s12 dst_sel:DWORD dst_unused:UNUSED_PAD src0_sel:WORD_1 src1_sel:DWORD
	;; [unrolled: 2-line block ×4, first 2 shown]
	s_waitcnt lgkmcnt(1)
	v_pk_fma_f16 v51, v26, v60, v51
	v_pk_fma_f16 v53, v26, v30, v53
	;; [unrolled: 1-line block ×16, first 2 shown]
	s_waitcnt lgkmcnt(0)
	v_mul_u32_u24_sdwa v33, v34, s12 dst_sel:DWORD dst_unused:UNUSED_PAD src0_sel:WORD_0 src1_sel:DWORD
	v_mul_u32_u24_sdwa v44, v35, s12 dst_sel:DWORD dst_unused:UNUSED_PAD src0_sel:WORD_0 src1_sel:DWORD
	v_mul_u32_u24_sdwa v35, v35, s12 dst_sel:DWORD dst_unused:UNUSED_PAD src0_sel:WORD_1 src1_sel:DWORD
	v_mul_u32_u24_sdwa v45, v36, s12 dst_sel:DWORD dst_unused:UNUSED_PAD src0_sel:WORD_0 src1_sel:DWORD
	v_mul_u32_u24_sdwa v36, v36, s12 dst_sel:DWORD dst_unused:UNUSED_PAD src0_sel:WORD_1 src1_sel:DWORD
	v_mul_u32_u24_sdwa v34, v34, s12 dst_sel:DWORD dst_unused:UNUSED_PAD src0_sel:WORD_1 src1_sel:DWORD
	v_mul_u32_u24_sdwa v46, v37, s12 dst_sel:DWORD dst_unused:UNUSED_PAD src0_sel:WORD_0 src1_sel:DWORD
	v_mul_u32_u24_sdwa v37, v37, s12 dst_sel:DWORD dst_unused:UNUSED_PAD src0_sel:WORD_1 src1_sel:DWORD
	v_pk_fma_f16 v51, v28, v33, v51
	v_pk_fma_f16 v54, v28, v44, v54
	;; [unrolled: 1-line block ×8, first 2 shown]
	ds_read_b128 v[30:33], v22 offset:17056
	v_pk_fma_f16 v53, v28, v34, v53
	v_pk_fma_f16 v55, v28, v35, v55
	;; [unrolled: 1-line block ×8, first 2 shown]
	ds_read2_b64 v[26:29], v2 offset0:64 offset1:96
	ds_read_b128 v[34:37], v22 offset:17072
	s_waitcnt lgkmcnt(2)
	v_mul_u32_u24_sdwa v60, v30, s12 dst_sel:DWORD dst_unused:UNUSED_PAD src0_sel:WORD_0 src1_sel:DWORD
	v_mul_u32_u24_sdwa v30, v30, s12 dst_sel:DWORD dst_unused:UNUSED_PAD src0_sel:WORD_1 src1_sel:DWORD
	v_mul_u32_u24_sdwa v61, v31, s12 dst_sel:DWORD dst_unused:UNUSED_PAD src0_sel:WORD_0 src1_sel:DWORD
	v_mul_u32_u24_sdwa v31, v31, s12 dst_sel:DWORD dst_unused:UNUSED_PAD src0_sel:WORD_1 src1_sel:DWORD
	;; [unrolled: 2-line block ×4, first 2 shown]
	s_waitcnt lgkmcnt(1)
	v_pk_fma_f16 v51, v26, v60, v51
	v_pk_fma_f16 v53, v26, v30, v53
	;; [unrolled: 1-line block ×16, first 2 shown]
	s_waitcnt lgkmcnt(0)
	v_mul_u32_u24_sdwa v33, v34, s12 dst_sel:DWORD dst_unused:UNUSED_PAD src0_sel:WORD_0 src1_sel:DWORD
	v_mul_u32_u24_sdwa v44, v35, s12 dst_sel:DWORD dst_unused:UNUSED_PAD src0_sel:WORD_0 src1_sel:DWORD
	v_mul_u32_u24_sdwa v35, v35, s12 dst_sel:DWORD dst_unused:UNUSED_PAD src0_sel:WORD_1 src1_sel:DWORD
	v_mul_u32_u24_sdwa v45, v36, s12 dst_sel:DWORD dst_unused:UNUSED_PAD src0_sel:WORD_0 src1_sel:DWORD
	v_mul_u32_u24_sdwa v36, v36, s12 dst_sel:DWORD dst_unused:UNUSED_PAD src0_sel:WORD_1 src1_sel:DWORD
	v_pk_fma_f16 v51, v28, v33, v51
	v_pk_fma_f16 v18, v29, v33, v18
	;; [unrolled: 1-line block ×5, first 2 shown]
	ds_read_b128 v[30:33], v22 offset:17088
	v_mul_u32_u24_sdwa v34, v34, s12 dst_sel:DWORD dst_unused:UNUSED_PAD src0_sel:WORD_1 src1_sel:DWORD
	v_mul_u32_u24_sdwa v46, v37, s12 dst_sel:DWORD dst_unused:UNUSED_PAD src0_sel:WORD_0 src1_sel:DWORD
	v_mul_u32_u24_sdwa v37, v37, s12 dst_sel:DWORD dst_unused:UNUSED_PAD src0_sel:WORD_1 src1_sel:DWORD
	v_pk_fma_f16 v53, v28, v34, v53
	v_pk_fma_f16 v54, v28, v44, v54
	;; [unrolled: 1-line block ×11, first 2 shown]
	ds_read2_b64 v[26:29], v2 offset0:128 offset1:160
	ds_read_b128 v[34:37], v22 offset:17104
	s_or_b32 s6, s16, 48
	s_mul_hi_i32 s7, s6, s8
	s_mul_i32 s6, s6, s8
	s_waitcnt lgkmcnt(2)
	v_mul_u32_u24_sdwa v43, v30, s12 dst_sel:DWORD dst_unused:UNUSED_PAD src0_sel:WORD_0 src1_sel:DWORD
	v_mul_u32_u24_sdwa v64, v30, s12 dst_sel:DWORD dst_unused:UNUSED_PAD src0_sel:WORD_1 src1_sel:DWORD
	v_mul_u32_u24_sdwa v65, v31, s12 dst_sel:DWORD dst_unused:UNUSED_PAD src0_sel:WORD_0 src1_sel:DWORD
	v_mul_u32_u24_sdwa v66, v31, s12 dst_sel:DWORD dst_unused:UNUSED_PAD src0_sel:WORD_1 src1_sel:DWORD
	;; [unrolled: 2-line block ×3, first 2 shown]
	s_lshl_b64 s[6:7], s[6:7], 2
	v_mul_u32_u24_sdwa v69, v33, s12 dst_sel:DWORD dst_unused:UNUSED_PAD src0_sel:WORD_0 src1_sel:DWORD
	v_mul_u32_u24_sdwa v70, v33, s12 dst_sel:DWORD dst_unused:UNUSED_PAD src0_sel:WORD_1 src1_sel:DWORD
	s_waitcnt lgkmcnt(1)
	v_pk_fma_f16 v71, v26, v43, v51
	v_pk_fma_f16 v72, v26, v64, v53
	;; [unrolled: 1-line block ×7, first 2 shown]
	ds_read2_b64 v[30:33], v2 offset0:192 offset1:224
	ds_read_b128 v[43:46], v22 offset:17120
	ds_read_b128 v[53:56], v22 offset:17136
	s_waitcnt lgkmcnt(0)
	s_barrier
	buffer_store_dword v48, off, s[0:3], 0
	buffer_store_dword v48, off, s[0:3], 0 offset:4
	buffer_store_dword v48, off, s[0:3], 0 offset:8
	;; [unrolled: 1-line block ×3, first 2 shown]
	v_mov_b32_e32 v48, s7
	v_add_co_u32_e32 v50, vcc, s6, v5
	s_sub_i32 s8, s23, 48
	v_addc_co_u32_e32 v5, vcc, v6, v48, vcc
	v_cmp_gt_i32_e32 vcc, s8, v4
	v_cndmask_b32_e32 v5, v49, v5, vcc
	v_cndmask_b32_e32 v4, v52, v50, vcc
	flat_load_dwordx4 v[48:51], v[4:5]
	v_pk_fma_f16 v57, v26, v69, v57
	v_pk_fma_f16 v26, v26, v70, v58
	v_pk_fma_f16 v4, v27, v64, v8
	v_pk_fma_f16 v5, v27, v65, v9
	v_pk_fma_f16 v6, v27, v66, v59
	v_pk_fma_f16 v8, v27, v67, v60
	v_pk_fma_f16 v9, v27, v68, v61
	v_pk_fma_f16 v52, v27, v69, v62
	v_pk_fma_f16 v27, v27, v70, v63
	v_mul_u32_u24_sdwa v58, v34, s12 dst_sel:DWORD dst_unused:UNUSED_PAD src0_sel:WORD_0 src1_sel:DWORD
	v_mul_u32_u24_sdwa v34, v34, s12 dst_sel:DWORD dst_unused:UNUSED_PAD src0_sel:WORD_1 src1_sel:DWORD
	v_mul_u32_u24_sdwa v59, v35, s12 dst_sel:DWORD dst_unused:UNUSED_PAD src0_sel:WORD_0 src1_sel:DWORD
	v_mul_u32_u24_sdwa v35, v35, s12 dst_sel:DWORD dst_unused:UNUSED_PAD src0_sel:WORD_1 src1_sel:DWORD
	v_mul_u32_u24_sdwa v60, v36, s12 dst_sel:DWORD dst_unused:UNUSED_PAD src0_sel:WORD_0 src1_sel:DWORD
	v_mul_u32_u24_sdwa v36, v36, s12 dst_sel:DWORD dst_unused:UNUSED_PAD src0_sel:WORD_1 src1_sel:DWORD
	v_mul_u32_u24_sdwa v61, v37, s12 dst_sel:DWORD dst_unused:UNUSED_PAD src0_sel:WORD_0 src1_sel:DWORD
	v_mul_u32_u24_sdwa v37, v37, s12 dst_sel:DWORD dst_unused:UNUSED_PAD src0_sel:WORD_1 src1_sel:DWORD
	v_pk_fma_f16 v62, v28, v58, v71
	v_pk_fma_f16 v63, v28, v34, v72
	v_pk_fma_f16 v64, v28, v59, v73
	v_pk_fma_f16 v65, v28, v35, v74
	v_pk_fma_f16 v66, v28, v60, v75
	v_pk_fma_f16 v67, v28, v36, v76
	v_pk_fma_f16 v57, v28, v61, v57
	v_pk_fma_f16 v26, v28, v37, v26
	v_pk_fma_f16 v18, v29, v58, v18
	v_pk_fma_f16 v4, v29, v34, v4
	v_pk_fma_f16 v5, v29, v59, v5
	v_pk_fma_f16 v6, v29, v35, v6
	v_pk_fma_f16 v8, v29, v60, v8
	v_pk_fma_f16 v9, v29, v36, v9
	v_pk_fma_f16 v28, v29, v61, v52
	v_pk_fma_f16 v27, v29, v37, v27
	v_mul_u32_u24_sdwa v29, v43, s12 dst_sel:DWORD dst_unused:UNUSED_PAD src0_sel:WORD_0 src1_sel:DWORD
	v_mul_u32_u24_sdwa v34, v43, s12 dst_sel:DWORD dst_unused:UNUSED_PAD src0_sel:WORD_1 src1_sel:DWORD
	v_mul_u32_u24_sdwa v35, v44, s12 dst_sel:DWORD dst_unused:UNUSED_PAD src0_sel:WORD_0 src1_sel:DWORD
	v_mul_u32_u24_sdwa v36, v44, s12 dst_sel:DWORD dst_unused:UNUSED_PAD src0_sel:WORD_1 src1_sel:DWORD
	v_mul_u32_u24_sdwa v37, v45, s12 dst_sel:DWORD dst_unused:UNUSED_PAD src0_sel:WORD_0 src1_sel:DWORD
	v_mul_u32_u24_sdwa v43, v45, s12 dst_sel:DWORD dst_unused:UNUSED_PAD src0_sel:WORD_1 src1_sel:DWORD
	v_mul_u32_u24_sdwa v44, v46, s12 dst_sel:DWORD dst_unused:UNUSED_PAD src0_sel:WORD_0 src1_sel:DWORD
	v_mul_u32_u24_sdwa v45, v46, s12 dst_sel:DWORD dst_unused:UNUSED_PAD src0_sel:WORD_1 src1_sel:DWORD
	v_pk_fma_f16 v46, v30, v29, v62
	v_pk_fma_f16 v52, v30, v34, v63
	v_pk_fma_f16 v58, v30, v35, v64
	v_pk_fma_f16 v59, v30, v36, v65
	v_pk_fma_f16 v60, v30, v37, v66
	v_pk_fma_f16 v61, v30, v43, v67
	v_pk_fma_f16 v57, v30, v44, v57
	;; [unrolled: 24-line block ×3, first 2 shown]
	v_pk_fma_f16 v59, v32, v43, v26
	v_pk_fma_f16 v18, v33, v29, v18
	;; [unrolled: 1-line block ×9, first 2 shown]
	s_waitcnt vmcnt(0) lgkmcnt(0)
	ds_write_b128 v7, v[48:51] offset:24576
	s_waitcnt lgkmcnt(0)
	s_barrier
	ds_read_b128 v[4:7], v22 offset:17152
	ds_read2_b64 v[26:29], v3 offset1:32
	ds_read_b128 v[30:33], v22 offset:17168
	ds_read_b128 v[34:37], v22 offset:17184
	;; [unrolled: 1-line block ×3, first 2 shown]
	s_waitcnt lgkmcnt(4)
	v_mul_u32_u24_sdwa v48, v4, s12 dst_sel:DWORD dst_unused:UNUSED_PAD src0_sel:WORD_0 src1_sel:DWORD
	v_mul_u32_u24_sdwa v4, v4, s12 dst_sel:DWORD dst_unused:UNUSED_PAD src0_sel:WORD_1 src1_sel:DWORD
	v_mul_u32_u24_sdwa v49, v5, s12 dst_sel:DWORD dst_unused:UNUSED_PAD src0_sel:WORD_0 src1_sel:DWORD
	v_mul_u32_u24_sdwa v5, v5, s12 dst_sel:DWORD dst_unused:UNUSED_PAD src0_sel:WORD_1 src1_sel:DWORD
	;; [unrolled: 2-line block ×4, first 2 shown]
	s_waitcnt lgkmcnt(3)
	v_pk_fma_f16 v53, v26, v48, v53
	v_pk_fma_f16 v52, v26, v4, v52
	;; [unrolled: 1-line block ×16, first 2 shown]
	s_waitcnt lgkmcnt(2)
	v_mul_u32_u24_sdwa v27, v30, s12 dst_sel:DWORD dst_unused:UNUSED_PAD src0_sel:WORD_0 src1_sel:DWORD
	v_mul_u32_u24_sdwa v30, v30, s12 dst_sel:DWORD dst_unused:UNUSED_PAD src0_sel:WORD_1 src1_sel:DWORD
	v_mul_u32_u24_sdwa v49, v31, s12 dst_sel:DWORD dst_unused:UNUSED_PAD src0_sel:WORD_0 src1_sel:DWORD
	v_mul_u32_u24_sdwa v31, v31, s12 dst_sel:DWORD dst_unused:UNUSED_PAD src0_sel:WORD_1 src1_sel:DWORD
	v_mul_u32_u24_sdwa v50, v32, s12 dst_sel:DWORD dst_unused:UNUSED_PAD src0_sel:WORD_0 src1_sel:DWORD
	v_mul_u32_u24_sdwa v32, v32, s12 dst_sel:DWORD dst_unused:UNUSED_PAD src0_sel:WORD_1 src1_sel:DWORD
	v_mul_u32_u24_sdwa v51, v33, s12 dst_sel:DWORD dst_unused:UNUSED_PAD src0_sel:WORD_0 src1_sel:DWORD
	v_mul_u32_u24_sdwa v33, v33, s12 dst_sel:DWORD dst_unused:UNUSED_PAD src0_sel:WORD_1 src1_sel:DWORD
	v_pk_fma_f16 v53, v28, v27, v53
	v_pk_fma_f16 v52, v28, v30, v52
	;; [unrolled: 1-line block ×16, first 2 shown]
	ds_read2_b64 v[4:7], v3 offset0:64 offset1:96
	s_waitcnt lgkmcnt(2)
	v_mul_u32_u24_sdwa v32, v34, s12 dst_sel:DWORD dst_unused:UNUSED_PAD src0_sel:WORD_0 src1_sel:DWORD
	v_mul_u32_u24_sdwa v33, v34, s12 dst_sel:DWORD dst_unused:UNUSED_PAD src0_sel:WORD_1 src1_sel:DWORD
	v_mul_u32_u24_sdwa v34, v35, s12 dst_sel:DWORD dst_unused:UNUSED_PAD src0_sel:WORD_0 src1_sel:DWORD
	v_mul_u32_u24_sdwa v35, v35, s12 dst_sel:DWORD dst_unused:UNUSED_PAD src0_sel:WORD_1 src1_sel:DWORD
	;; [unrolled: 2-line block ×4, first 2 shown]
	s_waitcnt lgkmcnt(0)
	v_pk_fma_f16 v50, v4, v32, v53
	v_pk_fma_f16 v51, v4, v33, v52
	;; [unrolled: 1-line block ×16, first 2 shown]
	v_mul_u32_u24_sdwa v29, v43, s12 dst_sel:DWORD dst_unused:UNUSED_PAD src0_sel:WORD_0 src1_sel:DWORD
	v_mul_u32_u24_sdwa v31, v43, s12 dst_sel:DWORD dst_unused:UNUSED_PAD src0_sel:WORD_1 src1_sel:DWORD
	v_mul_u32_u24_sdwa v32, v44, s12 dst_sel:DWORD dst_unused:UNUSED_PAD src0_sel:WORD_0 src1_sel:DWORD
	v_mul_u32_u24_sdwa v33, v44, s12 dst_sel:DWORD dst_unused:UNUSED_PAD src0_sel:WORD_1 src1_sel:DWORD
	v_mul_u32_u24_sdwa v34, v45, s12 dst_sel:DWORD dst_unused:UNUSED_PAD src0_sel:WORD_0 src1_sel:DWORD
	v_mul_u32_u24_sdwa v35, v45, s12 dst_sel:DWORD dst_unused:UNUSED_PAD src0_sel:WORD_1 src1_sel:DWORD
	v_mul_u32_u24_sdwa v36, v46, s12 dst_sel:DWORD dst_unused:UNUSED_PAD src0_sel:WORD_0 src1_sel:DWORD
	v_mul_u32_u24_sdwa v37, v46, s12 dst_sel:DWORD dst_unused:UNUSED_PAD src0_sel:WORD_1 src1_sel:DWORD
	v_pk_fma_f16 v43, v6, v29, v50
	v_pk_fma_f16 v45, v6, v32, v52
	;; [unrolled: 1-line block ×8, first 2 shown]
	ds_read_b128 v[26:29], v22 offset:17216
	v_pk_fma_f16 v44, v6, v31, v51
	v_pk_fma_f16 v49, v6, v35, v55
	;; [unrolled: 1-line block ×8, first 2 shown]
	ds_read2_b64 v[4:7], v3 offset0:128 offset1:160
	ds_read_b128 v[30:33], v22 offset:17232
	s_waitcnt lgkmcnt(2)
	v_mul_u32_u24_sdwa v36, v26, s12 dst_sel:DWORD dst_unused:UNUSED_PAD src0_sel:WORD_0 src1_sel:DWORD
	v_mul_u32_u24_sdwa v26, v26, s12 dst_sel:DWORD dst_unused:UNUSED_PAD src0_sel:WORD_1 src1_sel:DWORD
	v_mul_u32_u24_sdwa v37, v27, s12 dst_sel:DWORD dst_unused:UNUSED_PAD src0_sel:WORD_0 src1_sel:DWORD
	v_mul_u32_u24_sdwa v27, v27, s12 dst_sel:DWORD dst_unused:UNUSED_PAD src0_sel:WORD_1 src1_sel:DWORD
	;; [unrolled: 2-line block ×4, first 2 shown]
	s_waitcnt lgkmcnt(1)
	v_pk_fma_f16 v43, v4, v36, v43
	v_pk_fma_f16 v44, v4, v26, v44
	;; [unrolled: 1-line block ×16, first 2 shown]
	s_waitcnt lgkmcnt(0)
	v_mul_u32_u24_sdwa v29, v30, s12 dst_sel:DWORD dst_unused:UNUSED_PAD src0_sel:WORD_0 src1_sel:DWORD
	v_mul_u32_u24_sdwa v30, v30, s12 dst_sel:DWORD dst_unused:UNUSED_PAD src0_sel:WORD_1 src1_sel:DWORD
	v_mul_u32_u24_sdwa v34, v31, s12 dst_sel:DWORD dst_unused:UNUSED_PAD src0_sel:WORD_0 src1_sel:DWORD
	v_mul_u32_u24_sdwa v31, v31, s12 dst_sel:DWORD dst_unused:UNUSED_PAD src0_sel:WORD_1 src1_sel:DWORD
	;; [unrolled: 2-line block ×4, first 2 shown]
	v_pk_fma_f16 v43, v6, v29, v43
	v_pk_fma_f16 v45, v6, v34, v45
	;; [unrolled: 1-line block ×9, first 2 shown]
	ds_read_b128 v[26:29], v22 offset:17248
	v_pk_fma_f16 v44, v6, v30, v44
	v_pk_fma_f16 v46, v6, v31, v46
	;; [unrolled: 1-line block ×7, first 2 shown]
	ds_read2_b64 v[3:6], v3 offset0:192 offset1:224
	ds_read_b128 v[30:33], v22 offset:17264
	s_waitcnt lgkmcnt(2)
	v_mul_u32_u24_sdwa v37, v26, s12 dst_sel:DWORD dst_unused:UNUSED_PAD src0_sel:WORD_0 src1_sel:DWORD
	v_mul_u32_u24_sdwa v26, v26, s12 dst_sel:DWORD dst_unused:UNUSED_PAD src0_sel:WORD_1 src1_sel:DWORD
	v_mul_u32_u24_sdwa v53, v27, s12 dst_sel:DWORD dst_unused:UNUSED_PAD src0_sel:WORD_0 src1_sel:DWORD
	v_mul_u32_u24_sdwa v27, v27, s12 dst_sel:DWORD dst_unused:UNUSED_PAD src0_sel:WORD_1 src1_sel:DWORD
	;; [unrolled: 2-line block ×4, first 2 shown]
	s_waitcnt lgkmcnt(1)
	v_pk_fma_f16 v43, v3, v37, v43
	v_pk_fma_f16 v44, v3, v26, v44
	;; [unrolled: 1-line block ×16, first 2 shown]
	s_waitcnt lgkmcnt(0)
	v_mul_u32_u24_sdwa v7, v30, s12 dst_sel:DWORD dst_unused:UNUSED_PAD src0_sel:WORD_0 src1_sel:DWORD
	v_mul_u32_u24_sdwa v29, v30, s12 dst_sel:DWORD dst_unused:UNUSED_PAD src0_sel:WORD_1 src1_sel:DWORD
	v_mul_u32_u24_sdwa v30, v31, s12 dst_sel:DWORD dst_unused:UNUSED_PAD src0_sel:WORD_0 src1_sel:DWORD
	v_mul_u32_u24_sdwa v31, v31, s12 dst_sel:DWORD dst_unused:UNUSED_PAD src0_sel:WORD_1 src1_sel:DWORD
	v_mul_u32_u24_sdwa v35, v32, s12 dst_sel:DWORD dst_unused:UNUSED_PAD src0_sel:WORD_0 src1_sel:DWORD
	v_mul_u32_u24_sdwa v32, v32, s12 dst_sel:DWORD dst_unused:UNUSED_PAD src0_sel:WORD_1 src1_sel:DWORD
	v_mul_u32_u24_sdwa v36, v33, s12 dst_sel:DWORD dst_unused:UNUSED_PAD src0_sel:WORD_0 src1_sel:DWORD
	v_mul_u32_u24_sdwa v33, v33, s12 dst_sel:DWORD dst_unused:UNUSED_PAD src0_sel:WORD_1 src1_sel:DWORD
	v_pk_fma_f16 v37, v5, v7, v43
	v_pk_fma_f16 v43, v5, v29, v44
	;; [unrolled: 1-line block ×10, first 2 shown]
	ds_read_b128 v[26:29], v22 offset:17280
	v_pk_fma_f16 v48, v5, v32, v49
	v_pk_fma_f16 v49, v5, v36, v50
	;; [unrolled: 1-line block ×6, first 2 shown]
	ds_read2_b64 v[3:6], v2 offset1:32
	ds_read_b128 v[30:33], v22 offset:17296
	s_waitcnt lgkmcnt(2)
	v_mul_u32_u24_sdwa v52, v26, s12 dst_sel:DWORD dst_unused:UNUSED_PAD src0_sel:WORD_0 src1_sel:DWORD
	v_mul_u32_u24_sdwa v26, v26, s12 dst_sel:DWORD dst_unused:UNUSED_PAD src0_sel:WORD_1 src1_sel:DWORD
	v_mul_u32_u24_sdwa v53, v27, s12 dst_sel:DWORD dst_unused:UNUSED_PAD src0_sel:WORD_0 src1_sel:DWORD
	v_mul_u32_u24_sdwa v27, v27, s12 dst_sel:DWORD dst_unused:UNUSED_PAD src0_sel:WORD_1 src1_sel:DWORD
	;; [unrolled: 2-line block ×4, first 2 shown]
	s_waitcnt lgkmcnt(1)
	v_pk_fma_f16 v37, v3, v52, v37
	v_pk_fma_f16 v43, v3, v26, v43
	;; [unrolled: 1-line block ×16, first 2 shown]
	s_waitcnt lgkmcnt(0)
	v_mul_u32_u24_sdwa v29, v30, s12 dst_sel:DWORD dst_unused:UNUSED_PAD src0_sel:WORD_0 src1_sel:DWORD
	v_mul_u32_u24_sdwa v34, v31, s12 dst_sel:DWORD dst_unused:UNUSED_PAD src0_sel:WORD_0 src1_sel:DWORD
	v_mul_u32_u24_sdwa v31, v31, s12 dst_sel:DWORD dst_unused:UNUSED_PAD src0_sel:WORD_1 src1_sel:DWORD
	v_mul_u32_u24_sdwa v35, v32, s12 dst_sel:DWORD dst_unused:UNUSED_PAD src0_sel:WORD_0 src1_sel:DWORD
	v_mul_u32_u24_sdwa v32, v32, s12 dst_sel:DWORD dst_unused:UNUSED_PAD src0_sel:WORD_1 src1_sel:DWORD
	v_mul_u32_u24_sdwa v30, v30, s12 dst_sel:DWORD dst_unused:UNUSED_PAD src0_sel:WORD_1 src1_sel:DWORD
	v_mul_u32_u24_sdwa v36, v33, s12 dst_sel:DWORD dst_unused:UNUSED_PAD src0_sel:WORD_0 src1_sel:DWORD
	v_mul_u32_u24_sdwa v33, v33, s12 dst_sel:DWORD dst_unused:UNUSED_PAD src0_sel:WORD_1 src1_sel:DWORD
	v_pk_fma_f16 v37, v5, v29, v37
	v_pk_fma_f16 v44, v5, v34, v44
	v_pk_fma_f16 v46, v5, v35, v46
	v_pk_fma_f16 v7, v6, v29, v7
	v_pk_fma_f16 v34, v6, v34, v26
	v_pk_fma_f16 v51, v6, v31, v27
	v_pk_fma_f16 v8, v6, v35, v8
	v_pk_fma_f16 v35, v6, v32, v28
	ds_read_b128 v[26:29], v22 offset:17312
	v_pk_fma_f16 v43, v5, v30, v43
	v_pk_fma_f16 v45, v5, v31, v45
	;; [unrolled: 1-line block ×8, first 2 shown]
	ds_read2_b64 v[3:6], v2 offset0:64 offset1:96
	ds_read_b128 v[30:33], v22 offset:17328
	s_waitcnt lgkmcnt(2)
	v_mul_u32_u24_sdwa v52, v26, s12 dst_sel:DWORD dst_unused:UNUSED_PAD src0_sel:WORD_0 src1_sel:DWORD
	v_mul_u32_u24_sdwa v26, v26, s12 dst_sel:DWORD dst_unused:UNUSED_PAD src0_sel:WORD_1 src1_sel:DWORD
	v_mul_u32_u24_sdwa v53, v27, s12 dst_sel:DWORD dst_unused:UNUSED_PAD src0_sel:WORD_0 src1_sel:DWORD
	v_mul_u32_u24_sdwa v27, v27, s12 dst_sel:DWORD dst_unused:UNUSED_PAD src0_sel:WORD_1 src1_sel:DWORD
	;; [unrolled: 2-line block ×4, first 2 shown]
	s_waitcnt lgkmcnt(1)
	v_pk_fma_f16 v37, v3, v52, v37
	v_pk_fma_f16 v43, v3, v26, v43
	;; [unrolled: 1-line block ×16, first 2 shown]
	s_waitcnt lgkmcnt(0)
	v_mul_u32_u24_sdwa v29, v30, s12 dst_sel:DWORD dst_unused:UNUSED_PAD src0_sel:WORD_0 src1_sel:DWORD
	v_mul_u32_u24_sdwa v34, v31, s12 dst_sel:DWORD dst_unused:UNUSED_PAD src0_sel:WORD_0 src1_sel:DWORD
	v_mul_u32_u24_sdwa v31, v31, s12 dst_sel:DWORD dst_unused:UNUSED_PAD src0_sel:WORD_1 src1_sel:DWORD
	v_mul_u32_u24_sdwa v35, v32, s12 dst_sel:DWORD dst_unused:UNUSED_PAD src0_sel:WORD_0 src1_sel:DWORD
	v_mul_u32_u24_sdwa v32, v32, s12 dst_sel:DWORD dst_unused:UNUSED_PAD src0_sel:WORD_1 src1_sel:DWORD
	v_mul_u32_u24_sdwa v30, v30, s12 dst_sel:DWORD dst_unused:UNUSED_PAD src0_sel:WORD_1 src1_sel:DWORD
	v_mul_u32_u24_sdwa v36, v33, s12 dst_sel:DWORD dst_unused:UNUSED_PAD src0_sel:WORD_0 src1_sel:DWORD
	v_mul_u32_u24_sdwa v33, v33, s12 dst_sel:DWORD dst_unused:UNUSED_PAD src0_sel:WORD_1 src1_sel:DWORD
	v_pk_fma_f16 v37, v5, v29, v37
	v_pk_fma_f16 v44, v5, v34, v44
	;; [unrolled: 1-line block ×8, first 2 shown]
	ds_read_b128 v[26:29], v22 offset:17344
	v_pk_fma_f16 v43, v5, v30, v43
	v_pk_fma_f16 v45, v5, v31, v45
	;; [unrolled: 1-line block ×8, first 2 shown]
	ds_read2_b64 v[3:6], v2 offset0:128 offset1:160
	ds_read_b128 v[30:33], v22 offset:17360
	s_waitcnt lgkmcnt(2)
	v_mul_u32_u24_sdwa v52, v26, s12 dst_sel:DWORD dst_unused:UNUSED_PAD src0_sel:WORD_0 src1_sel:DWORD
	v_mul_u32_u24_sdwa v26, v26, s12 dst_sel:DWORD dst_unused:UNUSED_PAD src0_sel:WORD_1 src1_sel:DWORD
	v_mul_u32_u24_sdwa v53, v27, s12 dst_sel:DWORD dst_unused:UNUSED_PAD src0_sel:WORD_0 src1_sel:DWORD
	v_mul_u32_u24_sdwa v27, v27, s12 dst_sel:DWORD dst_unused:UNUSED_PAD src0_sel:WORD_1 src1_sel:DWORD
	;; [unrolled: 2-line block ×4, first 2 shown]
	s_waitcnt lgkmcnt(1)
	v_pk_fma_f16 v37, v3, v52, v37
	v_pk_fma_f16 v43, v3, v26, v43
	;; [unrolled: 1-line block ×16, first 2 shown]
	s_waitcnt lgkmcnt(0)
	v_mul_u32_u24_sdwa v29, v30, s12 dst_sel:DWORD dst_unused:UNUSED_PAD src0_sel:WORD_0 src1_sel:DWORD
	v_mul_u32_u24_sdwa v30, v30, s12 dst_sel:DWORD dst_unused:UNUSED_PAD src0_sel:WORD_1 src1_sel:DWORD
	v_mul_u32_u24_sdwa v34, v31, s12 dst_sel:DWORD dst_unused:UNUSED_PAD src0_sel:WORD_0 src1_sel:DWORD
	v_mul_u32_u24_sdwa v31, v31, s12 dst_sel:DWORD dst_unused:UNUSED_PAD src0_sel:WORD_1 src1_sel:DWORD
	;; [unrolled: 2-line block ×4, first 2 shown]
	v_pk_fma_f16 v37, v5, v29, v37
	v_pk_fma_f16 v43, v5, v30, v43
	;; [unrolled: 1-line block ×9, first 2 shown]
	ds_read_b128 v[26:29], v22 offset:17376
	v_pk_fma_f16 v44, v5, v34, v44
	v_pk_fma_f16 v46, v5, v35, v46
	;; [unrolled: 1-line block ×7, first 2 shown]
	ds_read2_b64 v[2:5], v2 offset0:192 offset1:224
	ds_read_b128 v[6:9], v22 offset:17392
	s_waitcnt lgkmcnt(2)
	v_mul_u32_u24_sdwa v22, v26, s12 dst_sel:DWORD dst_unused:UNUSED_PAD src0_sel:WORD_0 src1_sel:DWORD
	v_mul_u32_u24_sdwa v26, v26, s12 dst_sel:DWORD dst_unused:UNUSED_PAD src0_sel:WORD_1 src1_sel:DWORD
	v_mul_u32_u24_sdwa v36, v27, s12 dst_sel:DWORD dst_unused:UNUSED_PAD src0_sel:WORD_0 src1_sel:DWORD
	v_mul_u32_u24_sdwa v27, v27, s12 dst_sel:DWORD dst_unused:UNUSED_PAD src0_sel:WORD_1 src1_sel:DWORD
	;; [unrolled: 2-line block ×4, first 2 shown]
	s_waitcnt lgkmcnt(1)
	v_pk_fma_f16 v37, v2, v22, v37
	v_pk_fma_f16 v43, v2, v26, v43
	;; [unrolled: 1-line block ×16, first 2 shown]
	s_waitcnt lgkmcnt(0)
	v_mul_u32_u24_sdwa v29, v6, s12 dst_sel:DWORD dst_unused:UNUSED_PAD src0_sel:WORD_0 src1_sel:DWORD
	v_mul_u32_u24_sdwa v6, v6, s12 dst_sel:DWORD dst_unused:UNUSED_PAD src0_sel:WORD_1 src1_sel:DWORD
	v_mul_u32_u24_sdwa v32, v7, s12 dst_sel:DWORD dst_unused:UNUSED_PAD src0_sel:WORD_0 src1_sel:DWORD
	v_mul_u32_u24_sdwa v7, v7, s12 dst_sel:DWORD dst_unused:UNUSED_PAD src0_sel:WORD_1 src1_sel:DWORD
	;; [unrolled: 2-line block ×4, first 2 shown]
	v_pk_fma_f16 v63, v4, v29, v37
	v_pk_fma_f16 v61, v4, v6, v43
	;; [unrolled: 1-line block ×16, first 2 shown]
	v_mov_b32_e32 v9, v17
	v_mov_b32_e32 v8, v16
	v_mov_b32_e32 v7, v15
	v_mov_b32_e32 v6, v14
	v_mov_b32_e32 v5, v13
	v_mov_b32_e32 v4, v12
	v_mov_b32_e32 v3, v11
	v_mov_b32_e32 v2, v10
	v_mov_b32_e32 v65, v47
	v_mov_b32_e32 v68, v20
	v_mov_b32_e32 v67, v19
	v_mov_b32_e32 v66, v1
	v_mov_b32_e32 v69, v25
	v_mov_b32_e32 v70, v24
	v_mov_b32_e32 v71, v23
	v_mov_b32_e32 v72, v21
	s_barrier
.LBB52_127:
	v_cmp_lt_i32_e32 vcc, v91, v90
	v_cndmask_b32_e32 v1, v89, v91, vcc
	v_cmp_lt_i32_e32 vcc, v92, v90
	v_lshlrev_b32_e32 v1, 2, v1
	v_cndmask_b32_e32 v18, v89, v92, vcc
	v_lshlrev_b32_e32 v21, 2, v18
	ds_bpermute_b32 v18, v1, v72
	v_cmp_lt_i32_e32 vcc, v93, v90
	v_cndmask_b32_e32 v19, v89, v93, vcc
	v_cmp_lt_i32_e32 vcc, v95, v90
	v_lshlrev_b32_e32 v22, 2, v19
	v_cndmask_b32_e32 v19, v89, v95, vcc
	s_waitcnt lgkmcnt(0)
	v_add_f32_e32 v18, v72, v18
	v_lshlrev_b32_e32 v23, 2, v19
	ds_bpermute_b32 v19, v1, v71
	ds_bpermute_b32 v20, v21, v18
	;; [unrolled: 1-line block ×3, first 2 shown]
	v_cmp_lt_i32_e32 vcc, v94, v90
	v_cndmask_b32_e32 v24, v89, v94, vcc
	s_waitcnt lgkmcnt(2)
	v_add_f32_e32 v19, v71, v19
	s_waitcnt lgkmcnt(1)
	v_add_f32_e32 v18, v18, v20
	ds_bpermute_b32 v25, v21, v19
	ds_bpermute_b32 v20, v22, v18
	s_waitcnt lgkmcnt(2)
	v_add_f32_e32 v26, v70, v26
	ds_bpermute_b32 v27, v21, v26
	v_lshlrev_b32_e32 v24, 2, v24
	s_waitcnt lgkmcnt(2)
	v_add_f32_e32 v19, v19, v25
	s_waitcnt lgkmcnt(1)
	v_add_f32_e32 v18, v18, v20
	ds_bpermute_b32 v25, v22, v19
	ds_bpermute_b32 v20, v23, v18
	s_waitcnt lgkmcnt(2)
	v_add_f32_e32 v26, v26, v27
	ds_bpermute_b32 v27, v22, v26
	ds_bpermute_b32 v28, v1, v69
	s_waitcnt lgkmcnt(3)
	v_add_f32_e32 v19, v19, v25
	s_waitcnt lgkmcnt(2)
	v_add_f32_e32 v18, v18, v20
	ds_bpermute_b32 v25, v23, v19
	ds_bpermute_b32 v20, v24, v18
	s_cmp_eq_u64 s[20:21], 0
	s_cselect_b64 s[6:7], -1, 0
	s_cmp_lg_u32 s9, 0
	s_waitcnt lgkmcnt(1)
	v_add_f32_e32 v19, v19, v25
	v_add_f32_e32 v25, v26, v27
	;; [unrolled: 1-line block ×3, first 2 shown]
	s_waitcnt lgkmcnt(0)
	v_add_f32_e32 v18, v18, v20
	ds_bpermute_b32 v20, v1, v66
	ds_bpermute_b32 v27, v21, v26
	;; [unrolled: 1-line block ×4, first 2 shown]
	s_cselect_b64 s[10:11], -1, 0
	s_waitcnt lgkmcnt(3)
	v_add_f32_e32 v20, v66, v20
	s_waitcnt lgkmcnt(2)
	v_add_f32_e32 v26, v26, v27
	ds_bpermute_b32 v29, v21, v20
	ds_bpermute_b32 v27, v22, v26
	s_waitcnt lgkmcnt(3)
	v_add_f32_e32 v25, v25, v28
	s_waitcnt lgkmcnt(2)
	v_add_f32_e32 v19, v19, v30
	s_or_b64 s[6:7], s[10:11], s[6:7]
	s_waitcnt lgkmcnt(1)
	v_add_f32_e32 v20, v20, v29
	s_waitcnt lgkmcnt(0)
	v_add_f32_e32 v26, v26, v27
	ds_bpermute_b32 v28, v22, v20
	ds_bpermute_b32 v29, v24, v25
	;; [unrolled: 1-line block ×3, first 2 shown]
	s_and_b64 vcc, exec, s[6:7]
	s_waitcnt lgkmcnt(2)
	v_add_f32_e32 v28, v20, v28
	s_waitcnt lgkmcnt(1)
	v_add_f32_e32 v20, v25, v29
	;; [unrolled: 2-line block ×3, first 2 shown]
	ds_bpermute_b32 v27, v1, v67
	ds_bpermute_b32 v29, v1, v68
	;; [unrolled: 1-line block ×5, first 2 shown]
	s_waitcnt lgkmcnt(4)
	v_add_f32_e32 v27, v67, v27
	s_waitcnt lgkmcnt(3)
	v_add_f32_e32 v29, v68, v29
	;; [unrolled: 2-line block ×3, first 2 shown]
	ds_bpermute_b32 v31, v21, v27
	ds_bpermute_b32 v32, v21, v29
	;; [unrolled: 1-line block ×3, first 2 shown]
	s_waitcnt lgkmcnt(4)
	v_add_f32_e32 v28, v28, v30
	ds_bpermute_b32 v30, v24, v28
	s_waitcnt lgkmcnt(3)
	v_add_f32_e32 v27, v27, v31
	s_waitcnt lgkmcnt(2)
	v_add_f32_e32 v29, v29, v32
	s_waitcnt lgkmcnt(1)
	v_add_f32_e32 v1, v1, v21
	ds_bpermute_b32 v31, v22, v27
	ds_bpermute_b32 v32, v22, v29
	ds_bpermute_b32 v21, v22, v1
	s_waitcnt lgkmcnt(2)
	v_add_f32_e32 v22, v27, v31
	s_waitcnt lgkmcnt(1)
	v_add_f32_e32 v29, v29, v32
	s_waitcnt lgkmcnt(0)
	v_add_f32_e32 v1, v1, v21
	ds_bpermute_b32 v27, v23, v22
	ds_bpermute_b32 v31, v23, v29
	;; [unrolled: 9-line block ×3, first 2 shown]
	ds_bpermute_b32 v32, v24, v1
	v_add_f32_e32 v21, v25, v26
	v_add_f32_e32 v22, v28, v30
	s_waitcnt lgkmcnt(2)
	v_add_f32_e32 v23, v23, v27
	s_waitcnt lgkmcnt(1)
	;; [unrolled: 2-line block ×3, first 2 shown]
	v_add_f32_e32 v25, v1, v32
	s_cbranch_vccnz .LBB52_130
; %bb.128:
	s_lshl_b64 s[6:7], s[34:35], 2
	s_add_u32 s6, s20, s6
	s_addc_u32 s7, s21, s7
	v_mov_b32_e32 v1, 0
	global_load_dword v48, v1, s[6:7]
	v_max_f32_e32 v1, v2, v2
	v_max_f32_e32 v11, v3, v3
	s_mov_b32 s8, 0x3fb8aa3b
	v_max_f32_e32 v12, v4, v4
	s_mov_b32 s7, 0xc2ce8ed0
	s_mov_b32 s6, 0x42b17218
	v_mov_b32_e32 v47, 0x7f800000
	s_waitcnt vmcnt(0)
	v_max_f32_e32 v17, v48, v48
	v_max_f32_e32 v10, v1, v17
	v_sub_f32_e32 v1, v2, v10
	v_max_f32_e32 v11, v11, v17
	v_sub_f32_e32 v2, v48, v10
	v_mul_f32_e32 v15, 0x3fb8aa3b, v1
	v_sub_f32_e32 v3, v3, v11
	v_mul_f32_e32 v16, 0x3fb8aa3b, v2
	v_fma_f32 v30, v1, s8, -v15
	v_rndne_f32_e32 v31, v15
	v_max_f32_e32 v12, v12, v17
	v_sub_f32_e32 v13, v48, v11
	v_mul_f32_e32 v26, 0x3fb8aa3b, v3
	v_fma_f32 v32, v2, s8, -v16
	v_rndne_f32_e32 v33, v16
	v_fmac_f32_e32 v30, 0x32a5705f, v1
	v_sub_f32_e32 v15, v15, v31
	v_sub_f32_e32 v4, v4, v12
	v_mul_f32_e32 v27, 0x3fb8aa3b, v13
	v_fma_f32 v34, v3, s8, -v26
	v_rndne_f32_e32 v35, v26
	v_fmac_f32_e32 v32, 0x32a5705f, v2
	v_sub_f32_e32 v16, v16, v33
	v_add_f32_e32 v15, v15, v30
	v_mul_f32_e32 v28, 0x3fb8aa3b, v4
	v_fma_f32 v36, v13, s8, -v27
	v_rndne_f32_e32 v37, v27
	v_cvt_i32_f32_e32 v31, v31
	v_fmac_f32_e32 v34, 0x32a5705f, v3
	v_sub_f32_e32 v26, v26, v35
	v_add_f32_e32 v16, v16, v32
	v_exp_f32_e32 v15, v15
	v_fma_f32 v49, v4, s8, -v28
	v_rndne_f32_e32 v52, v28
	v_cvt_i32_f32_e32 v33, v33
	v_fmac_f32_e32 v36, 0x32a5705f, v13
	v_sub_f32_e32 v27, v27, v37
	v_add_f32_e32 v26, v26, v34
	v_exp_f32_e32 v16, v16
	v_cvt_i32_f32_e32 v35, v35
	v_fmac_f32_e32 v49, 0x32a5705f, v4
	v_sub_f32_e32 v28, v28, v52
	v_add_f32_e32 v27, v27, v36
	v_exp_f32_e32 v26, v26
	v_cvt_i32_f32_e32 v37, v37
	v_add_f32_e32 v28, v28, v49
	v_exp_f32_e32 v27, v27
	v_cvt_i32_f32_e32 v52, v52
	v_exp_f32_e32 v28, v28
	v_ldexp_f32 v15, v15, v31
	v_cmp_ngt_f32_e32 vcc, s7, v1
	v_ldexp_f32 v16, v16, v33
	v_cndmask_b32_e32 v15, 0, v15, vcc
	v_cmp_ngt_f32_e32 vcc, s7, v2
	v_ldexp_f32 v26, v26, v35
	v_cndmask_b32_e32 v16, 0, v16, vcc
	;; [unrolled: 3-line block ×4, first 2 shown]
	v_cmp_ngt_f32_e32 vcc, s7, v4
	v_cndmask_b32_e32 v28, 0, v28, vcc
	v_cmp_nlt_f32_e32 vcc, s6, v1
	v_cndmask_b32_e32 v15, v47, v15, vcc
	v_cmp_nlt_f32_e32 vcc, s6, v2
	v_sub_f32_e32 v14, v48, v12
	v_cndmask_b32_e32 v1, v47, v16, vcc
	v_cmp_nlt_f32_e32 vcc, s6, v3
	v_mul_f32_e32 v29, 0x3fb8aa3b, v14
	v_cndmask_b32_e32 v3, v47, v26, vcc
	v_fma_f32 v53, v14, s8, -v29
	v_rndne_f32_e32 v55, v29
	v_cmp_nlt_f32_e32 vcc, s6, v13
	v_cvt_f16_f32_e32 v13, v15
	v_cvt_f16_f32_e32 v16, v3
	v_fmac_f32_e32 v53, 0x32a5705f, v14
	v_sub_f32_e32 v29, v29, v55
	v_add_f32_e32 v29, v29, v53
	v_cvt_i32_f32_e32 v55, v55
	v_exp_f32_e32 v29, v29
	v_cndmask_b32_e32 v2, v47, v27, vcc
	v_fmac_f32_e32 v2, v19, v3
	v_mul_u32_u24_e32 v3, 0x10001, v13
	v_mul_u32_u24_e32 v13, 0x10001, v16
	v_pk_mul_f16 v61, v61, v13
	v_pk_mul_f16 v62, v62, v13
	v_max_f32_e32 v13, v5, v5
	v_cmp_nlt_f32_e32 vcc, s6, v4
	v_max_f32_e32 v13, v13, v17
	v_pk_mul_f16 v63, v63, v3
	v_pk_mul_f16 v64, v64, v3
	v_cndmask_b32_e32 v4, v47, v28, vcc
	v_ldexp_f32 v3, v29, v55
	v_cmp_ngt_f32_e32 vcc, s7, v14
	v_sub_f32_e32 v5, v5, v13
	v_cndmask_b32_e32 v3, 0, v3, vcc
	v_cmp_nlt_f32_e32 vcc, s6, v14
	v_mul_f32_e32 v14, 0x3fb8aa3b, v5
	v_fmac_f32_e32 v1, v18, v15
	v_fma_f32 v15, v5, s8, -v14
	v_rndne_f32_e32 v16, v14
	v_cndmask_b32_e32 v3, v47, v3, vcc
	v_fmac_f32_e32 v15, 0x32a5705f, v5
	v_sub_f32_e32 v14, v14, v16
	v_fmac_f32_e32 v3, v20, v4
	v_cvt_f16_f32_e32 v4, v4
	v_add_f32_e32 v14, v14, v15
	v_exp_f32_e32 v14, v14
	v_cvt_i32_f32_e32 v15, v16
	v_mul_u32_u24_e32 v4, 0x10001, v4
	v_pk_mul_f16 v59, v59, v4
	v_pk_mul_f16 v60, v60, v4
	v_ldexp_f32 v4, v14, v15
	v_sub_f32_e32 v14, v48, v13
	v_mul_f32_e32 v15, 0x3fb8aa3b, v14
	v_fma_f32 v16, v14, s8, -v15
	v_rndne_f32_e32 v18, v15
	v_fmac_f32_e32 v16, 0x32a5705f, v14
	v_sub_f32_e32 v15, v15, v18
	v_add_f32_e32 v15, v15, v16
	v_exp_f32_e32 v15, v15
	v_cvt_i32_f32_e32 v16, v18
	v_cmp_ngt_f32_e32 vcc, s7, v5
	v_cndmask_b32_e32 v4, 0, v4, vcc
	v_cmp_nlt_f32_e32 vcc, s6, v5
	v_cndmask_b32_e32 v5, v47, v4, vcc
	v_ldexp_f32 v4, v15, v16
	v_cmp_ngt_f32_e32 vcc, s7, v14
	v_cndmask_b32_e32 v4, 0, v4, vcc
	v_cmp_nlt_f32_e32 vcc, s6, v14
	v_max_f32_e32 v14, v6, v6
	v_max_f32_e32 v14, v14, v17
	v_sub_f32_e32 v6, v6, v14
	v_mul_f32_e32 v15, 0x3fb8aa3b, v6
	v_fma_f32 v16, v6, s8, -v15
	v_rndne_f32_e32 v18, v15
	v_cndmask_b32_e32 v4, v47, v4, vcc
	v_fmac_f32_e32 v16, 0x32a5705f, v6
	v_sub_f32_e32 v15, v15, v18
	v_fmac_f32_e32 v4, v21, v5
	v_cvt_f16_f32_e32 v5, v5
	v_add_f32_e32 v15, v15, v16
	v_exp_f32_e32 v15, v15
	v_cvt_i32_f32_e32 v16, v18
	v_mul_u32_u24_e32 v5, 0x10001, v5
	v_pk_mul_f16 v57, v57, v5
	v_pk_mul_f16 v58, v58, v5
	v_ldexp_f32 v5, v15, v16
	v_sub_f32_e32 v15, v48, v14
	v_mul_f32_e32 v16, 0x3fb8aa3b, v15
	v_fma_f32 v18, v15, s8, -v16
	v_rndne_f32_e32 v19, v16
	v_fmac_f32_e32 v18, 0x32a5705f, v15
	v_sub_f32_e32 v16, v16, v19
	v_add_f32_e32 v16, v16, v18
	v_exp_f32_e32 v16, v16
	v_cvt_i32_f32_e32 v18, v19
	v_cmp_ngt_f32_e32 vcc, s7, v6
	v_cndmask_b32_e32 v5, 0, v5, vcc
	v_cmp_nlt_f32_e32 vcc, s6, v6
	v_cndmask_b32_e32 v6, v47, v5, vcc
	v_ldexp_f32 v5, v16, v18
	v_cmp_ngt_f32_e32 vcc, s7, v15
	v_cndmask_b32_e32 v5, 0, v5, vcc
	v_cmp_nlt_f32_e32 vcc, s6, v15
	v_max_f32_e32 v15, v7, v7
	v_max_f32_e32 v15, v15, v17
	v_sub_f32_e32 v7, v7, v15
	v_mul_f32_e32 v16, 0x3fb8aa3b, v7
	v_fma_f32 v18, v7, s8, -v16
	v_rndne_f32_e32 v19, v16
	v_cndmask_b32_e32 v5, v47, v5, vcc
	v_fmac_f32_e32 v18, 0x32a5705f, v7
	v_sub_f32_e32 v16, v16, v19
	v_fmac_f32_e32 v5, v22, v6
	v_cvt_f16_f32_e32 v6, v6
	v_add_f32_e32 v16, v16, v18
	v_exp_f32_e32 v16, v16
	v_cvt_i32_f32_e32 v18, v19
	v_mul_u32_u24_e32 v6, 0x10001, v6
	v_pk_mul_f16 v54, v54, v6
	v_pk_mul_f16 v56, v56, v6
	v_ldexp_f32 v6, v16, v18
	v_sub_f32_e32 v16, v48, v15
	v_mul_f32_e32 v18, 0x3fb8aa3b, v16
	v_fma_f32 v19, v16, s8, -v18
	v_rndne_f32_e32 v20, v18
	v_fmac_f32_e32 v19, 0x32a5705f, v16
	v_sub_f32_e32 v18, v18, v20
	v_add_f32_e32 v18, v18, v19
	v_exp_f32_e32 v18, v18
	v_cvt_i32_f32_e32 v19, v20
	v_cmp_ngt_f32_e32 vcc, s7, v7
	v_cndmask_b32_e32 v6, 0, v6, vcc
	v_cmp_nlt_f32_e32 vcc, s6, v7
	v_cndmask_b32_e32 v7, v47, v6, vcc
	v_ldexp_f32 v6, v18, v19
	v_cmp_ngt_f32_e32 vcc, s7, v16
	v_cndmask_b32_e32 v6, 0, v6, vcc
	v_cmp_nlt_f32_e32 vcc, s6, v16
	v_max_f32_e32 v16, v8, v8
	v_max_f32_e32 v16, v16, v17
	v_sub_f32_e32 v8, v8, v16
	v_mul_f32_e32 v18, 0x3fb8aa3b, v8
	v_fma_f32 v19, v8, s8, -v18
	v_rndne_f32_e32 v20, v18
	v_cndmask_b32_e32 v6, v47, v6, vcc
	v_fmac_f32_e32 v19, 0x32a5705f, v8
	v_sub_f32_e32 v18, v18, v20
	v_fmac_f32_e32 v6, v23, v7
	v_cvt_f16_f32_e32 v7, v7
	v_add_f32_e32 v18, v18, v19
	v_exp_f32_e32 v18, v18
	v_cvt_i32_f32_e32 v19, v20
	v_mul_u32_u24_e32 v7, 0x10001, v7
	v_pk_mul_f16 v50, v50, v7
	v_pk_mul_f16 v51, v51, v7
	v_ldexp_f32 v7, v18, v19
	v_sub_f32_e32 v18, v48, v16
	v_mul_f32_e32 v19, 0x3fb8aa3b, v18
	v_fma_f32 v20, v18, s8, -v19
	v_rndne_f32_e32 v21, v19
	v_fmac_f32_e32 v20, 0x32a5705f, v18
	v_sub_f32_e32 v19, v19, v21
	v_add_f32_e32 v19, v19, v20
	v_exp_f32_e32 v19, v19
	v_cvt_i32_f32_e32 v20, v21
	v_cmp_ngt_f32_e32 vcc, s7, v8
	v_cndmask_b32_e32 v7, 0, v7, vcc
	v_cmp_nlt_f32_e32 vcc, s6, v8
	v_cndmask_b32_e32 v8, v47, v7, vcc
	v_ldexp_f32 v7, v19, v20
	v_cmp_ngt_f32_e32 vcc, s7, v18
	v_cndmask_b32_e32 v7, 0, v7, vcc
	v_cmp_nlt_f32_e32 vcc, s6, v18
	v_max_f32_e32 v18, v9, v9
	v_max_f32_e32 v17, v18, v17
	v_sub_f32_e32 v9, v9, v17
	v_mul_f32_e32 v18, 0x3fb8aa3b, v9
	v_fma_f32 v19, v9, s8, -v18
	v_rndne_f32_e32 v20, v18
	v_cndmask_b32_e32 v7, v47, v7, vcc
	v_fmac_f32_e32 v19, 0x32a5705f, v9
	v_sub_f32_e32 v18, v18, v20
	v_fmac_f32_e32 v7, v24, v8
	v_cvt_f16_f32_e32 v8, v8
	v_add_f32_e32 v18, v18, v19
	v_exp_f32_e32 v18, v18
	v_cvt_i32_f32_e32 v19, v20
	v_mul_u32_u24_e32 v8, 0x10001, v8
	v_pk_mul_f16 v45, v45, v8
	v_pk_mul_f16 v46, v46, v8
	v_ldexp_f32 v8, v18, v19
	v_sub_f32_e32 v18, v48, v17
	v_mul_f32_e32 v19, 0x3fb8aa3b, v18
	v_fma_f32 v20, v18, s8, -v19
	v_rndne_f32_e32 v21, v19
	v_fmac_f32_e32 v20, 0x32a5705f, v18
	v_sub_f32_e32 v19, v19, v21
	v_add_f32_e32 v19, v19, v20
	v_exp_f32_e32 v19, v19
	v_cvt_i32_f32_e32 v20, v21
	v_cmp_ngt_f32_e32 vcc, s7, v9
	v_cndmask_b32_e32 v8, 0, v8, vcc
	v_cmp_nlt_f32_e32 vcc, s6, v9
	v_cndmask_b32_e32 v9, v47, v8, vcc
	v_ldexp_f32 v8, v19, v20
	v_cmp_ngt_f32_e32 vcc, s7, v18
	v_cvt_f16_f32_e32 v19, v9
	v_cndmask_b32_e32 v8, 0, v8, vcc
	v_cmp_nlt_f32_e32 vcc, s6, v18
	v_cndmask_b32_e32 v8, v47, v8, vcc
	v_fmac_f32_e32 v8, v25, v9
	v_mul_u32_u24_e32 v9, 0x10001, v19
	v_mov_b32_e32 v25, v8
	v_pk_mul_f16 v43, v43, v9
	v_pk_mul_f16 v44, v44, v9
	v_mov_b32_e32 v24, v7
	v_mov_b32_e32 v23, v6
	;; [unrolled: 1-line block ×7, first 2 shown]
	v_cmp_gt_i32_e32 vcc, s30, v41
	s_and_saveexec_b64 s[6:7], vcc
	s_cbranch_execnz .LBB52_131
.LBB52_129:
	s_endpgm
.LBB52_130:
	v_mov_b32_e32 v1, v18
	v_mov_b32_e32 v2, v19
	v_mov_b32_e32 v3, v20
	v_mov_b32_e32 v4, v21
	v_mov_b32_e32 v5, v22
	v_mov_b32_e32 v6, v23
	v_mov_b32_e32 v7, v24
	v_mov_b32_e32 v8, v25
	v_cmp_gt_i32_e32 vcc, s30, v41
	s_and_saveexec_b64 s[6:7], vcc
	s_cbranch_execz .LBB52_129
.LBB52_131:
	s_load_dword s8, s[4:5], 0xd4
	v_mov_b32_e32 v9, 1.0
	s_waitcnt lgkmcnt(0)
	s_cmp_lg_u32 s8, 1
	s_cselect_b64 s[6:7], -1, 0
	s_cmp_eq_u32 s8, 1
	s_cselect_b64 s[10:11], -1, 0
	s_and_b64 vcc, exec, s[6:7]
	s_cbranch_vccnz .LBB52_133
; %bb.132:
	v_div_scale_f32 v9, s[4:5], v1, v1, 1.0
	v_div_scale_f32 v26, vcc, 1.0, v1, 1.0
	v_rcp_f32_e32 v27, v9
	v_fma_f32 v28, -v9, v27, 1.0
	v_fmac_f32_e32 v27, v28, v27
	v_mul_f32_e32 v28, v26, v27
	v_fma_f32 v29, -v9, v28, v26
	v_fmac_f32_e32 v28, v29, v27
	v_fma_f32 v9, -v9, v28, v26
	v_div_fmas_f32 v9, v9, v27, v28
	v_div_fixup_f32 v9, v9, v1, 1.0
.LBB52_133:
	s_mul_i32 s12, s33, s30
	s_add_i32 s12, s12, s18
	v_add_u32_e32 v1, s12, v39
	v_mul_lo_u32 v1, v1, s31
	v_cmp_eq_u32_e32 vcc, 0, v0
	v_mov_b32_e32 v31, 0
	v_cvt_f32_f16_e32 v26, v63
	v_add_u32_e32 v0, s34, v1
	v_mul_lo_u32 v0, s8, v0
	v_cvt_f32_f16_sdwa v1, v63 dst_sel:DWORD dst_unused:UNUSED_PAD src0_sel:WORD_1
	v_cvt_f32_f16_e32 v28, v64
	v_cvt_f32_f16_sdwa v29, v64 dst_sel:DWORD dst_unused:UNUSED_PAD src0_sel:WORD_1
	v_add_u32_e32 v0, s9, v0
	v_lshl_add_u32 v30, v0, 7, v117
	v_lshlrev_b64 v[30:31], 2, v[30:31]
	v_mul_f32_e32 v27, v9, v1
	v_mov_b32_e32 v1, s25
	v_add_co_u32_e64 v30, s[4:5], s24, v30
	v_mul_f32_e32 v26, v9, v26
	v_mul_f32_e32 v28, v9, v28
	v_mul_f32_e32 v29, v9, v29
	v_addc_co_u32_e64 v31, s[4:5], v1, v31, s[4:5]
	s_and_b64 s[6:7], vcc, s[6:7]
	global_store_dwordx4 v[30:31], v[26:29], off
	s_and_saveexec_b64 s[4:5], s[6:7]
	s_cbranch_execz .LBB52_135
; %bb.134:
	v_ashrrev_i32_e32 v1, 31, v0
	v_lshlrev_b64 v[0:1], 3, v[0:1]
	v_mov_b32_e32 v9, s27
	v_add_co_u32_e32 v0, vcc, s26, v0
	v_addc_co_u32_e32 v1, vcc, v9, v1, vcc
	v_mov_b32_e32 v9, v10
	v_mov_b32_e32 v10, v18
	global_store_dwordx2 v[0:1], v[9:10], off
.LBB52_135:
	s_or_b64 exec, exec, s[4:5]
	v_cmp_gt_i32_e32 vcc, s30, v42
	s_and_b64 exec, exec, vcc
	s_cbranch_execz .LBB52_129
; %bb.136:
	v_cndmask_b32_e64 v0, 0, 1, s[10:11]
	v_cmp_ne_u32_e64 s[4:5], 1, v0
	s_andn2_b64 vcc, exec, s[10:11]
	v_mov_b32_e32 v1, 1.0
	s_cbranch_vccnz .LBB52_138
; %bb.137:
	v_div_scale_f32 v0, s[10:11], v2, v2, 1.0
	v_div_scale_f32 v1, vcc, 1.0, v2, 1.0
	v_rcp_f32_e32 v9, v0
	v_fma_f32 v10, -v0, v9, 1.0
	v_fmac_f32_e32 v9, v10, v9
	v_mul_f32_e32 v10, v1, v9
	v_fma_f32 v18, -v0, v10, v1
	v_fmac_f32_e32 v10, v18, v9
	v_fma_f32 v0, -v0, v10, v1
	v_div_fmas_f32 v0, v0, v9, v10
	v_div_fixup_f32 v1, v0, v2, 1.0
.LBB52_138:
	v_add_u32_e32 v0, s12, v123
	v_mul_lo_u32 v0, v0, s31
	v_cvt_f32_f16_e32 v2, v61
	v_cvt_f32_f16_sdwa v18, v61 dst_sel:DWORD dst_unused:UNUSED_PAD src0_sel:WORD_1
	v_cvt_f32_f16_e32 v28, v62
	v_add_u32_e32 v0, s34, v0
	v_mul_lo_u32 v0, s8, v0
	v_cvt_f32_f16_sdwa v29, v62 dst_sel:DWORD dst_unused:UNUSED_PAD src0_sel:WORD_1
	v_mov_b32_e32 v10, 0
	v_mul_f32_e32 v26, v1, v2
	v_add_u32_e32 v0, s9, v0
	v_lshl_add_u32 v9, v0, 7, v117
	v_mul_f32_e32 v27, v1, v18
	v_mul_f32_e32 v28, v1, v28
	;; [unrolled: 1-line block ×3, first 2 shown]
	v_lshlrev_b64 v[1:2], 2, v[9:10]
	v_mov_b32_e32 v9, s25
	v_add_co_u32_e32 v1, vcc, s24, v1
	v_addc_co_u32_e32 v2, vcc, v9, v2, vcc
	global_store_dwordx4 v[1:2], v[26:29], off
	s_and_saveexec_b64 s[10:11], s[6:7]
	s_cbranch_execz .LBB52_140
; %bb.139:
	v_ashrrev_i32_e32 v1, 31, v0
	v_lshlrev_b64 v[0:1], 3, v[0:1]
	v_mov_b32_e32 v2, s27
	v_add_co_u32_e32 v0, vcc, s26, v0
	v_addc_co_u32_e32 v1, vcc, v2, v1, vcc
	v_mov_b32_e32 v18, v11
	global_store_dwordx2 v[0:1], v[18:19], off
.LBB52_140:
	s_or_b64 exec, exec, s[10:11]
	v_cmp_gt_i32_e32 vcc, s30, v40
	s_and_b64 exec, exec, vcc
	s_cbranch_execz .LBB52_129
; %bb.141:
	s_and_b64 vcc, exec, s[4:5]
	v_mov_b32_e32 v1, 1.0
	s_cbranch_vccnz .LBB52_143
; %bb.142:
	v_div_scale_f32 v0, s[10:11], v3, v3, 1.0
	v_div_scale_f32 v1, vcc, 1.0, v3, 1.0
	v_rcp_f32_e32 v2, v0
	v_fma_f32 v9, -v0, v2, 1.0
	v_fmac_f32_e32 v2, v9, v2
	v_mul_f32_e32 v9, v1, v2
	v_fma_f32 v10, -v0, v9, v1
	v_fmac_f32_e32 v9, v10, v2
	v_fma_f32 v0, -v0, v9, v1
	v_div_fmas_f32 v0, v0, v2, v9
	v_div_fixup_f32 v1, v0, v3, 1.0
.LBB52_143:
	v_add_u32_e32 v0, s12, v121
	v_mul_lo_u32 v0, v0, s31
	v_cvt_f32_f16_e32 v2, v59
	v_cvt_f32_f16_sdwa v9, v59 dst_sel:DWORD dst_unused:UNUSED_PAD src0_sel:WORD_1
	v_cvt_f32_f16_e32 v10, v60
	v_add_u32_e32 v0, s34, v0
	v_mul_lo_u32 v0, s8, v0
	v_cvt_f32_f16_sdwa v11, v60 dst_sel:DWORD dst_unused:UNUSED_PAD src0_sel:WORD_1
	v_mov_b32_e32 v3, 0
	v_mul_f32_e32 v26, v1, v2
	v_add_u32_e32 v0, s9, v0
	v_lshl_add_u32 v2, v0, 7, v117
	v_mul_f32_e32 v27, v1, v9
	v_mul_f32_e32 v28, v1, v10
	;; [unrolled: 1-line block ×3, first 2 shown]
	v_lshlrev_b64 v[1:2], 2, v[2:3]
	v_mov_b32_e32 v3, s25
	v_add_co_u32_e32 v1, vcc, s24, v1
	v_addc_co_u32_e32 v2, vcc, v3, v2, vcc
	global_store_dwordx4 v[1:2], v[26:29], off
	s_and_saveexec_b64 s[10:11], s[6:7]
	s_cbranch_execz .LBB52_145
; %bb.144:
	v_ashrrev_i32_e32 v1, 31, v0
	v_lshlrev_b64 v[0:1], 3, v[0:1]
	v_mov_b32_e32 v2, s27
	v_add_co_u32_e32 v0, vcc, s26, v0
	v_addc_co_u32_e32 v1, vcc, v2, v1, vcc
	v_mov_b32_e32 v19, v12
	global_store_dwordx2 v[0:1], v[19:20], off
.LBB52_145:
	s_or_b64 exec, exec, s[10:11]
	s_waitcnt vmcnt(3)
	v_cmp_gt_i32_e32 vcc, s30, v122
	s_and_b64 exec, exec, vcc
	s_cbranch_execz .LBB52_129
; %bb.146:
	s_and_b64 vcc, exec, s[4:5]
	v_mov_b32_e32 v1, 1.0
	s_cbranch_vccnz .LBB52_148
; %bb.147:
	v_div_scale_f32 v0, s[10:11], v4, v4, 1.0
	v_div_scale_f32 v1, vcc, 1.0, v4, 1.0
	v_rcp_f32_e32 v2, v0
	v_fma_f32 v3, -v0, v2, 1.0
	v_fmac_f32_e32 v2, v3, v2
	v_mul_f32_e32 v3, v1, v2
	v_fma_f32 v9, -v0, v3, v1
	v_fmac_f32_e32 v3, v9, v2
	v_fma_f32 v0, -v0, v3, v1
	v_div_fmas_f32 v0, v0, v2, v3
	v_div_fixup_f32 v1, v0, v4, 1.0
.LBB52_148:
	v_add_u32_e32 v0, s12, v120
	v_mul_lo_u32 v0, v0, s31
	v_cvt_f32_f16_e32 v2, v57
	v_cvt_f32_f16_sdwa v4, v57 dst_sel:DWORD dst_unused:UNUSED_PAD src0_sel:WORD_1
	v_cvt_f32_f16_e32 v11, v58
	v_add_u32_e32 v0, s34, v0
	v_mul_lo_u32 v0, s8, v0
	v_cvt_f32_f16_sdwa v12, v58 dst_sel:DWORD dst_unused:UNUSED_PAD src0_sel:WORD_1
	v_mov_b32_e32 v3, 0
	v_mul_f32_e32 v9, v1, v2
	v_add_u32_e32 v0, s9, v0
	v_lshl_add_u32 v2, v0, 7, v117
	v_mul_f32_e32 v10, v1, v4
	v_mul_f32_e32 v11, v1, v11
	;; [unrolled: 1-line block ×3, first 2 shown]
	v_lshlrev_b64 v[1:2], 2, v[2:3]
	v_mov_b32_e32 v3, s25
	v_add_co_u32_e32 v1, vcc, s24, v1
	v_addc_co_u32_e32 v2, vcc, v3, v2, vcc
	global_store_dwordx4 v[1:2], v[9:12], off
	s_and_saveexec_b64 s[10:11], s[6:7]
	s_cbranch_execz .LBB52_150
; %bb.149:
	v_ashrrev_i32_e32 v1, 31, v0
	v_lshlrev_b64 v[0:1], 3, v[0:1]
	v_mov_b32_e32 v2, s27
	v_add_co_u32_e32 v0, vcc, s26, v0
	v_addc_co_u32_e32 v1, vcc, v2, v1, vcc
	v_mov_b32_e32 v20, v13
	global_store_dwordx2 v[0:1], v[20:21], off
.LBB52_150:
	s_or_b64 exec, exec, s[10:11]
	v_cmp_gt_i32_e32 vcc, s30, v119
	s_and_b64 exec, exec, vcc
	s_cbranch_execz .LBB52_129
; %bb.151:
	s_and_b64 vcc, exec, s[4:5]
	v_mov_b32_e32 v1, 1.0
	s_cbranch_vccnz .LBB52_153
; %bb.152:
	v_div_scale_f32 v0, s[10:11], v5, v5, 1.0
	v_div_scale_f32 v1, vcc, 1.0, v5, 1.0
	v_rcp_f32_e32 v2, v0
	v_fma_f32 v3, -v0, v2, 1.0
	v_fmac_f32_e32 v2, v3, v2
	v_mul_f32_e32 v3, v1, v2
	v_fma_f32 v4, -v0, v3, v1
	v_fmac_f32_e32 v3, v4, v2
	v_fma_f32 v0, -v0, v3, v1
	v_div_fmas_f32 v0, v0, v2, v3
	v_div_fixup_f32 v1, v0, v5, 1.0
.LBB52_153:
	v_add_u32_e32 v0, s12, v116
	v_mul_lo_u32 v0, v0, s31
	v_cvt_f32_f16_e32 v2, v54
	v_cvt_f32_f16_sdwa v3, v54 dst_sel:DWORD dst_unused:UNUSED_PAD src0_sel:WORD_1
	v_cvt_f32_f16_e32 v4, v56
	v_add_u32_e32 v0, s34, v0
	v_mul_lo_u32 v0, s8, v0
	v_cvt_f32_f16_sdwa v5, v56 dst_sel:DWORD dst_unused:UNUSED_PAD src0_sel:WORD_1
	v_mov_b32_e32 v10, 0
	v_mul_f32_e32 v2, v1, v2
	v_add_u32_e32 v0, s9, v0
	v_lshl_add_u32 v9, v0, 7, v117
	v_lshlrev_b64 v[9:10], 2, v[9:10]
	v_mul_f32_e32 v3, v1, v3
	v_mul_f32_e32 v4, v1, v4
	v_mul_f32_e32 v5, v1, v5
	v_mov_b32_e32 v1, s25
	v_add_co_u32_e32 v9, vcc, s24, v9
	v_addc_co_u32_e32 v10, vcc, v1, v10, vcc
	global_store_dwordx4 v[9:10], v[2:5], off
	s_and_saveexec_b64 s[10:11], s[6:7]
	s_cbranch_execz .LBB52_155
; %bb.154:
	v_ashrrev_i32_e32 v1, 31, v0
	v_lshlrev_b64 v[0:1], 3, v[0:1]
	v_mov_b32_e32 v2, s27
	v_add_co_u32_e32 v0, vcc, s26, v0
	v_addc_co_u32_e32 v1, vcc, v2, v1, vcc
	v_mov_b32_e32 v21, v14
	global_store_dwordx2 v[0:1], v[21:22], off
.LBB52_155:
	s_or_b64 exec, exec, s[10:11]
	v_cmp_gt_i32_e32 vcc, s30, v118
	s_and_b64 exec, exec, vcc
	s_cbranch_execz .LBB52_129
; %bb.156:
	s_and_b64 vcc, exec, s[4:5]
	v_mov_b32_e32 v1, 1.0
	s_cbranch_vccnz .LBB52_158
; %bb.157:
	v_div_scale_f32 v0, s[10:11], v6, v6, 1.0
	v_div_scale_f32 v1, vcc, 1.0, v6, 1.0
	v_rcp_f32_e32 v2, v0
	v_fma_f32 v3, -v0, v2, 1.0
	v_fmac_f32_e32 v2, v3, v2
	v_mul_f32_e32 v3, v1, v2
	v_fma_f32 v4, -v0, v3, v1
	v_fmac_f32_e32 v3, v4, v2
	v_fma_f32 v0, -v0, v3, v1
	v_div_fmas_f32 v0, v0, v2, v3
	v_div_fixup_f32 v1, v0, v6, 1.0
.LBB52_158:
	v_add_u32_e32 v0, s12, v115
	v_mul_lo_u32 v0, v0, s31
	v_cvt_f32_f16_e32 v2, v50
	v_cvt_f32_f16_sdwa v3, v50 dst_sel:DWORD dst_unused:UNUSED_PAD src0_sel:WORD_1
	v_cvt_f32_f16_e32 v4, v51
	v_add_u32_e32 v0, s34, v0
	v_mul_lo_u32 v0, s8, v0
	v_cvt_f32_f16_sdwa v5, v51 dst_sel:DWORD dst_unused:UNUSED_PAD src0_sel:WORD_1
	v_mov_b32_e32 v10, 0
	v_mul_f32_e32 v2, v1, v2
	v_add_u32_e32 v0, s9, v0
	v_lshl_add_u32 v9, v0, 7, v117
	v_lshlrev_b64 v[9:10], 2, v[9:10]
	v_mul_f32_e32 v3, v1, v3
	v_mul_f32_e32 v4, v1, v4
	v_mul_f32_e32 v5, v1, v5
	;; [unrolled: 52-line block ×4, first 2 shown]
	v_mov_b32_e32 v1, s25
	v_add_co_u32_e32 v6, vcc, s24, v6
	v_addc_co_u32_e32 v7, vcc, v1, v7, vcc
	global_store_dwordx4 v[6:7], v[2:5], off
	s_and_b64 exec, exec, s[6:7]
	s_cbranch_execz .LBB52_129
; %bb.169:
	v_ashrrev_i32_e32 v1, 31, v0
	v_lshlrev_b64 v[0:1], 3, v[0:1]
	v_mov_b32_e32 v2, s27
	v_add_co_u32_e32 v0, vcc, s26, v0
	v_addc_co_u32_e32 v1, vcc, v2, v1, vcc
	v_mov_b32_e32 v24, v17
	global_store_dwordx2 v[0:1], v[24:25], off
	s_endpgm
	.section	.rodata,"a",@progbits
	.p2align	6, 0x0
	.amdhsa_kernel _ZL15flash_attn_tileILi128ELi128ELi64ELi1ELb0EEvPKcS1_S1_S1_S1_PKiPfP15HIP_vector_typeIfLj2EEffffjfiS5_IjLj3EEiiiiiiiiiiiliiliiiiil
		.amdhsa_group_segment_fixed_size 29696
		.amdhsa_private_segment_fixed_size 32
		.amdhsa_kernarg_size 464
		.amdhsa_user_sgpr_count 8
		.amdhsa_user_sgpr_private_segment_buffer 1
		.amdhsa_user_sgpr_dispatch_ptr 0
		.amdhsa_user_sgpr_queue_ptr 0
		.amdhsa_user_sgpr_kernarg_segment_ptr 1
		.amdhsa_user_sgpr_dispatch_id 0
		.amdhsa_user_sgpr_flat_scratch_init 1
		.amdhsa_user_sgpr_private_segment_size 0
		.amdhsa_uses_dynamic_stack 0
		.amdhsa_system_sgpr_private_segment_wavefront_offset 1
		.amdhsa_system_sgpr_workgroup_id_x 1
		.amdhsa_system_sgpr_workgroup_id_y 1
		.amdhsa_system_sgpr_workgroup_id_z 1
		.amdhsa_system_sgpr_workgroup_info 0
		.amdhsa_system_vgpr_workitem_id 1
		.amdhsa_next_free_vgpr 128
		.amdhsa_next_free_sgpr 96
		.amdhsa_reserve_vcc 1
		.amdhsa_reserve_flat_scratch 1
		.amdhsa_float_round_mode_32 0
		.amdhsa_float_round_mode_16_64 0
		.amdhsa_float_denorm_mode_32 3
		.amdhsa_float_denorm_mode_16_64 3
		.amdhsa_dx10_clamp 1
		.amdhsa_ieee_mode 1
		.amdhsa_fp16_overflow 0
		.amdhsa_exception_fp_ieee_invalid_op 0
		.amdhsa_exception_fp_denorm_src 0
		.amdhsa_exception_fp_ieee_div_zero 0
		.amdhsa_exception_fp_ieee_overflow 0
		.amdhsa_exception_fp_ieee_underflow 0
		.amdhsa_exception_fp_ieee_inexact 0
		.amdhsa_exception_int_div_zero 0
	.end_amdhsa_kernel
	.section	.text._ZL15flash_attn_tileILi128ELi128ELi64ELi1ELb0EEvPKcS1_S1_S1_S1_PKiPfP15HIP_vector_typeIfLj2EEffffjfiS5_IjLj3EEiiiiiiiiiiiliiliiiiil,"axG",@progbits,_ZL15flash_attn_tileILi128ELi128ELi64ELi1ELb0EEvPKcS1_S1_S1_S1_PKiPfP15HIP_vector_typeIfLj2EEffffjfiS5_IjLj3EEiiiiiiiiiiiliiliiiiil,comdat
.Lfunc_end52:
	.size	_ZL15flash_attn_tileILi128ELi128ELi64ELi1ELb0EEvPKcS1_S1_S1_S1_PKiPfP15HIP_vector_typeIfLj2EEffffjfiS5_IjLj3EEiiiiiiiiiiiliiliiiiil, .Lfunc_end52-_ZL15flash_attn_tileILi128ELi128ELi64ELi1ELb0EEvPKcS1_S1_S1_S1_PKiPfP15HIP_vector_typeIfLj2EEffffjfiS5_IjLj3EEiiiiiiiiiiiliiliiiiil
                                        ; -- End function
	.set _ZL15flash_attn_tileILi128ELi128ELi64ELi1ELb0EEvPKcS1_S1_S1_S1_PKiPfP15HIP_vector_typeIfLj2EEffffjfiS5_IjLj3EEiiiiiiiiiiiliiliiiiil.num_vgpr, 128
	.set _ZL15flash_attn_tileILi128ELi128ELi64ELi1ELb0EEvPKcS1_S1_S1_S1_PKiPfP15HIP_vector_typeIfLj2EEffffjfiS5_IjLj3EEiiiiiiiiiiiliiliiiiil.num_agpr, 0
	.set _ZL15flash_attn_tileILi128ELi128ELi64ELi1ELb0EEvPKcS1_S1_S1_S1_PKiPfP15HIP_vector_typeIfLj2EEffffjfiS5_IjLj3EEiiiiiiiiiiiliiliiiiil.numbered_sgpr, 52
	.set _ZL15flash_attn_tileILi128ELi128ELi64ELi1ELb0EEvPKcS1_S1_S1_S1_PKiPfP15HIP_vector_typeIfLj2EEffffjfiS5_IjLj3EEiiiiiiiiiiiliiliiiiil.num_named_barrier, 0
	.set _ZL15flash_attn_tileILi128ELi128ELi64ELi1ELb0EEvPKcS1_S1_S1_S1_PKiPfP15HIP_vector_typeIfLj2EEffffjfiS5_IjLj3EEiiiiiiiiiiiliiliiiiil.private_seg_size, 32
	.set _ZL15flash_attn_tileILi128ELi128ELi64ELi1ELb0EEvPKcS1_S1_S1_S1_PKiPfP15HIP_vector_typeIfLj2EEffffjfiS5_IjLj3EEiiiiiiiiiiiliiliiiiil.uses_vcc, 1
	.set _ZL15flash_attn_tileILi128ELi128ELi64ELi1ELb0EEvPKcS1_S1_S1_S1_PKiPfP15HIP_vector_typeIfLj2EEffffjfiS5_IjLj3EEiiiiiiiiiiiliiliiiiil.uses_flat_scratch, 1
	.set _ZL15flash_attn_tileILi128ELi128ELi64ELi1ELb0EEvPKcS1_S1_S1_S1_PKiPfP15HIP_vector_typeIfLj2EEffffjfiS5_IjLj3EEiiiiiiiiiiiliiliiiiil.has_dyn_sized_stack, 0
	.set _ZL15flash_attn_tileILi128ELi128ELi64ELi1ELb0EEvPKcS1_S1_S1_S1_PKiPfP15HIP_vector_typeIfLj2EEffffjfiS5_IjLj3EEiiiiiiiiiiiliiliiiiil.has_recursion, 0
	.set _ZL15flash_attn_tileILi128ELi128ELi64ELi1ELb0EEvPKcS1_S1_S1_S1_PKiPfP15HIP_vector_typeIfLj2EEffffjfiS5_IjLj3EEiiiiiiiiiiiliiliiiiil.has_indirect_call, 0
	.section	.AMDGPU.csdata,"",@progbits
; Kernel info:
; codeLenInByte = 66820
; TotalNumSgprs: 58
; NumVgprs: 128
; ScratchSize: 32
; MemoryBound: 0
; FloatMode: 240
; IeeeMode: 1
; LDSByteSize: 29696 bytes/workgroup (compile time only)
; SGPRBlocks: 12
; VGPRBlocks: 31
; NumSGPRsForWavesPerEU: 102
; NumVGPRsForWavesPerEU: 128
; Occupancy: 2
; WaveLimiterHint : 0
; COMPUTE_PGM_RSRC2:SCRATCH_EN: 1
; COMPUTE_PGM_RSRC2:USER_SGPR: 8
; COMPUTE_PGM_RSRC2:TRAP_HANDLER: 0
; COMPUTE_PGM_RSRC2:TGID_X_EN: 1
; COMPUTE_PGM_RSRC2:TGID_Y_EN: 1
; COMPUTE_PGM_RSRC2:TGID_Z_EN: 1
; COMPUTE_PGM_RSRC2:TIDIG_COMP_CNT: 1
	.section	.text._ZL25flash_attn_mask_to_KV_maxILi64EEvPK7__half2Piiii,"axG",@progbits,_ZL25flash_attn_mask_to_KV_maxILi64EEvPK7__half2Piiii,comdat
	.globl	_ZL25flash_attn_mask_to_KV_maxILi64EEvPK7__half2Piiii ; -- Begin function _ZL25flash_attn_mask_to_KV_maxILi64EEvPK7__half2Piiii
	.p2align	8
	.type	_ZL25flash_attn_mask_to_KV_maxILi64EEvPK7__half2Piiii,@function
_ZL25flash_attn_mask_to_KV_maxILi64EEvPK7__half2Piiii: ; @_ZL25flash_attn_mask_to_KV_maxILi64EEvPK7__half2Piiii
; %bb.0:
	s_load_dwordx4 s[8:11], s[4:5], 0x0
	v_cmp_gt_u32_e32 vcc, 32, v0
	s_and_saveexec_b64 s[0:1], vcc
; %bb.1:
	v_lshlrev_b32_e32 v1, 2, v0
	v_mov_b32_e32 v2, 1
	ds_write_b32 v1, v2
; %bb.2:
	s_or_b64 exec, exec, s[0:1]
	s_load_dwordx4 s[12:15], s[4:5], 0x10
	s_load_dword s33, s[4:5], 0x20
	v_and_b32_e32 v1, 31, v0
	v_lshlrev_b32_e32 v6, 2, v1
	v_lshrrev_b32_e32 v5, 3, v0
	s_waitcnt lgkmcnt(0)
	s_mul_i32 s1, s6, s13
	s_mul_i32 s0, s14, s7
	s_lshl_b32 s1, s1, 6
	s_add_i32 s0, s0, s1
	s_ashr_i32 s1, s0, 31
	s_lshl_b64 s[0:1], s[0:1], 2
	s_add_u32 s94, s8, s0
	s_addc_u32 s95, s9, s1
	v_cmp_eq_u32_e64 s[0:1], 0, v1
	v_mbcnt_lo_u32_b32 v1, -1, 0
	s_lshl_b32 s12, s12, 8
	s_mov_b64 s[4:5], 0
	v_mov_b32_e32 v2, 0
	s_movk_i32 s92, 0x204
	v_mbcnt_hi_u32_b32 v7, -1, v1
	s_barrier
                                        ; implicit-def: $sgpr2_sgpr3
	s_branch .LBB53_5
.LBB53_3:                               ;   in Loop: Header=BB53_5 Depth=1
	s_or_b64 exec, exec, s[8:9]
	s_waitcnt lgkmcnt(0)
	s_barrier
	ds_read_b32 v10, v6
	s_waitcnt lgkmcnt(0)
	s_barrier
	ds_bpermute_b32 v1, v1, v10
	v_cmp_ne_u32_e32 vcc, 0, v10
	s_waitcnt lgkmcnt(0)
	v_cmp_ne_u32_e64 s[2:3], 0, v1
	s_and_b64 s[2:3], vcc, s[2:3]
	v_cndmask_b32_e64 v1, 0, 1, s[2:3]
	ds_bpermute_b32 v1, v3, v1
	s_waitcnt lgkmcnt(0)
	v_cmp_ne_u32_e32 vcc, 0, v1
	s_and_b64 s[2:3], vcc, s[2:3]
	v_cndmask_b32_e64 v1, 0, 1, s[2:3]
	ds_bpermute_b32 v1, v4, v1
	s_waitcnt lgkmcnt(0)
	v_cmp_ne_u32_e32 vcc, 0, v1
	s_and_b64 s[2:3], vcc, s[2:3]
	v_cndmask_b32_e64 v1, 0, 1, s[2:3]
	ds_bpermute_b32 v1, v8, v1
	s_waitcnt lgkmcnt(0)
	v_cmp_ne_u32_e32 vcc, 0, v1
	s_and_b64 s[2:3], vcc, s[2:3]
	v_cndmask_b32_e64 v1, 0, 1, s[2:3]
	ds_bpermute_b32 v1, v9, v1
	s_xor_b64 s[2:3], s[2:3], -1
	s_waitcnt lgkmcnt(0)
	v_cmp_eq_u32_e32 vcc, 0, v1
	s_or_b64 s[2:3], vcc, s[2:3]
.LBB53_4:                               ;   in Loop: Header=BB53_5 Depth=1
	s_and_b64 s[8:9], exec, s[2:3]
	s_or_b64 s[4:5], s[8:9], s[4:5]
	v_mov_b32_e32 v1, s12
	s_mov_b32 s12, s93
	s_andn2_b64 exec, exec, s[4:5]
	s_cbranch_execz .LBB53_260
.LBB53_5:                               ; =>This Inner Loop Header: Depth=1
	s_add_i32 s93, s12, 0xffffff00
	s_or_b64 s[2:3], s[2:3], exec
	s_cmp_lt_i32 s93, 0
	s_cbranch_scc1 .LBB53_4
; %bb.6:                                ;   in Loop: Header=BB53_5 Depth=1
	s_lshr_b32 s2, s93, 1
	v_add_u32_e32 v1, s2, v0
	v_lshlrev_b64 v[3:4], 2, v[1:2]
	v_mov_b32_e32 v8, s95
	v_add_co_u32_e32 v3, vcc, s94, v3
	v_addc_co_u32_e32 v4, vcc, v8, v4, vcc
	global_load_dword v3, v[3:4], off
	v_mov_b32_e32 v4, 0
	s_waitcnt vmcnt(0)
	v_cmp_class_f16_e64 s[2:3], v3, s92
	v_cmp_class_f16_sdwa s[8:9], v3, s92 src0_sel:WORD_1 src1_sel:DWORD
	s_and_b64 s[8:9], s[2:3], s[8:9]
	s_and_saveexec_b64 s[2:3], s[8:9]
	s_cbranch_execz .LBB53_258
; %bb.7:                                ;   in Loop: Header=BB53_5 Depth=1
	v_add_u32_e32 v3, s13, v1
	v_ashrrev_i32_e32 v4, 31, v3
	v_lshlrev_b64 v[8:9], 2, v[3:4]
	v_mov_b32_e32 v1, s95
	v_add_co_u32_e32 v8, vcc, s94, v8
	v_addc_co_u32_e32 v9, vcc, v1, v9, vcc
	global_load_dword v1, v[8:9], off
	v_mov_b32_e32 v4, 0
	s_waitcnt vmcnt(0)
	v_cmp_class_f16_e64 s[14:15], v1, s92
	s_and_saveexec_b64 s[8:9], s[14:15]
	s_cbranch_execz .LBB53_257
; %bb.8:                                ;   in Loop: Header=BB53_5 Depth=1
	v_cmp_class_f16_sdwa s[16:17], v1, s92 src0_sel:WORD_1 src1_sel:DWORD
	v_mov_b32_e32 v4, 0
	s_and_saveexec_b64 s[14:15], s[16:17]
	s_cbranch_execz .LBB53_256
; %bb.9:                                ;   in Loop: Header=BB53_5 Depth=1
	v_add_u32_e32 v3, s13, v3
	v_ashrrev_i32_e32 v4, 31, v3
	v_lshlrev_b64 v[8:9], 2, v[3:4]
	v_mov_b32_e32 v1, s95
	v_add_co_u32_e32 v8, vcc, s94, v8
	v_addc_co_u32_e32 v9, vcc, v1, v9, vcc
	global_load_dword v1, v[8:9], off
	v_mov_b32_e32 v4, 0
	s_waitcnt vmcnt(0)
	v_cmp_class_f16_e64 s[18:19], v1, s92
	s_and_saveexec_b64 s[16:17], s[18:19]
	s_cbranch_execz .LBB53_255
; %bb.10:                               ;   in Loop: Header=BB53_5 Depth=1
	v_cmp_class_f16_sdwa s[20:21], v1, s92 src0_sel:WORD_1 src1_sel:DWORD
	v_mov_b32_e32 v4, 0
	s_and_saveexec_b64 s[18:19], s[20:21]
	s_cbranch_execz .LBB53_254
; %bb.11:                               ;   in Loop: Header=BB53_5 Depth=1
	v_add_u32_e32 v3, s13, v3
	v_ashrrev_i32_e32 v4, 31, v3
	v_lshlrev_b64 v[8:9], 2, v[3:4]
	v_mov_b32_e32 v1, s95
	v_add_co_u32_e32 v8, vcc, s94, v8
	v_addc_co_u32_e32 v9, vcc, v1, v9, vcc
	global_load_dword v1, v[8:9], off
	v_mov_b32_e32 v4, 0
	s_waitcnt vmcnt(0)
	v_cmp_class_f16_e64 s[22:23], v1, s92
	s_and_saveexec_b64 s[20:21], s[22:23]
	s_cbranch_execz .LBB53_253
; %bb.12:                               ;   in Loop: Header=BB53_5 Depth=1
	v_cmp_class_f16_sdwa s[24:25], v1, s92 src0_sel:WORD_1 src1_sel:DWORD
	v_mov_b32_e32 v4, 0
	s_and_saveexec_b64 s[22:23], s[24:25]
	s_cbranch_execz .LBB53_252
; %bb.13:                               ;   in Loop: Header=BB53_5 Depth=1
	;; [unrolled: 18-line block ×18, first 2 shown]
	v_add_u32_e32 v3, s13, v3
	v_ashrrev_i32_e32 v4, 31, v3
	v_lshlrev_b64 v[8:9], 2, v[3:4]
	v_mov_b32_e32 v1, s95
	v_add_co_u32_e32 v8, vcc, s94, v8
	v_addc_co_u32_e32 v9, vcc, v1, v9, vcc
	global_load_dword v1, v[8:9], off
	v_mov_b32_e32 v4, 0
	s_waitcnt vmcnt(0)
	v_cmp_class_f16_e64 vcc, v1, s92
	s_mov_b64 s[90:91], exec
                                        ; implicit-def: $vgpr14 : SGPR spill to VGPR lane
	v_writelane_b32 v14, s90, 0
	s_and_b64 vcc, s[90:91], vcc
	v_writelane_b32 v14, s91, 1
	s_mov_b64 exec, vcc
	s_cbranch_execz .LBB53_219
; %bb.46:                               ;   in Loop: Header=BB53_5 Depth=1
	v_mov_b32_e32 v4, 0
	v_cmp_class_f16_sdwa s[90:91], v1, s92 src0_sel:WORD_1 src1_sel:DWORD
	s_mov_b64 vcc, exec
	v_writelane_b32 v14, vcc_lo, 2
	s_and_b64 s[90:91], vcc, s[90:91]
	v_writelane_b32 v14, vcc_hi, 3
	s_mov_b64 exec, s[90:91]
	s_cbranch_execz .LBB53_218
; %bb.47:                               ;   in Loop: Header=BB53_5 Depth=1
	v_add_u32_e32 v3, s13, v3
	v_ashrrev_i32_e32 v4, 31, v3
	v_lshlrev_b64 v[8:9], 2, v[3:4]
	v_mov_b32_e32 v1, s95
	v_add_co_u32_e32 v8, vcc, s94, v8
	v_addc_co_u32_e32 v9, vcc, v1, v9, vcc
	global_load_dword v1, v[8:9], off
	v_mov_b32_e32 v4, 0
	s_waitcnt vmcnt(0)
	v_cmp_class_f16_e64 s[90:91], v1, s92
	s_mov_b64 vcc, exec
	v_writelane_b32 v14, vcc_lo, 4
	s_and_b64 s[90:91], vcc, s[90:91]
	v_writelane_b32 v14, vcc_hi, 5
	s_mov_b64 exec, s[90:91]
	s_cbranch_execz .LBB53_217
; %bb.48:                               ;   in Loop: Header=BB53_5 Depth=1
	v_mov_b32_e32 v4, 0
	v_cmp_class_f16_sdwa s[90:91], v1, s92 src0_sel:WORD_1 src1_sel:DWORD
	s_mov_b64 vcc, exec
	v_writelane_b32 v14, vcc_lo, 6
	s_and_b64 s[90:91], vcc, s[90:91]
	v_writelane_b32 v14, vcc_hi, 7
	s_mov_b64 exec, s[90:91]
	s_cbranch_execz .LBB53_216
; %bb.49:                               ;   in Loop: Header=BB53_5 Depth=1
	v_add_u32_e32 v3, s13, v3
	v_ashrrev_i32_e32 v4, 31, v3
	v_lshlrev_b64 v[8:9], 2, v[3:4]
	v_mov_b32_e32 v1, s95
	v_add_co_u32_e32 v8, vcc, s94, v8
	v_addc_co_u32_e32 v9, vcc, v1, v9, vcc
	global_load_dword v1, v[8:9], off
	v_mov_b32_e32 v4, 0
	s_waitcnt vmcnt(0)
	v_cmp_class_f16_e64 s[90:91], v1, s92
	s_mov_b64 vcc, exec
	v_writelane_b32 v14, vcc_lo, 8
	s_and_b64 s[90:91], vcc, s[90:91]
	v_writelane_b32 v14, vcc_hi, 9
	s_mov_b64 exec, s[90:91]
	;; [unrolled: 26-line block ×15, first 2 shown]
	s_cbranch_execz .LBB53_189
; %bb.76:                               ;   in Loop: Header=BB53_5 Depth=1
	v_mov_b32_e32 v4, 0
	v_cmp_class_f16_sdwa s[90:91], v1, s92 src0_sel:WORD_1 src1_sel:DWORD
	s_mov_b64 vcc, exec
	v_writelane_b32 v14, vcc_lo, 62
	s_and_b64 s[90:91], vcc, s[90:91]
	v_writelane_b32 v14, vcc_hi, 63
	s_mov_b64 exec, s[90:91]
	s_cbranch_execz .LBB53_188
; %bb.77:                               ;   in Loop: Header=BB53_5 Depth=1
	v_add_u32_e32 v3, s13, v3
	v_ashrrev_i32_e32 v4, 31, v3
	v_lshlrev_b64 v[8:9], 2, v[3:4]
	v_mov_b32_e32 v1, s95
	v_add_co_u32_e32 v8, vcc, s94, v8
	v_addc_co_u32_e32 v9, vcc, v1, v9, vcc
	global_load_dword v1, v[8:9], off
	v_mov_b32_e32 v4, 0
	s_waitcnt vmcnt(0)
	v_cmp_class_f16_e64 s[90:91], v1, s92
	s_mov_b64 vcc, exec
                                        ; implicit-def: $vgpr13 : SGPR spill to VGPR lane
	v_writelane_b32 v13, vcc_lo, 0
	s_and_b64 s[90:91], vcc, s[90:91]
	v_writelane_b32 v13, vcc_hi, 1
	s_mov_b64 exec, s[90:91]
	s_cbranch_execz .LBB53_187
; %bb.78:                               ;   in Loop: Header=BB53_5 Depth=1
	v_mov_b32_e32 v4, 0
	v_cmp_class_f16_sdwa s[90:91], v1, s92 src0_sel:WORD_1 src1_sel:DWORD
	s_mov_b64 vcc, exec
	v_writelane_b32 v13, vcc_lo, 2
	s_and_b64 s[90:91], vcc, s[90:91]
	v_writelane_b32 v13, vcc_hi, 3
	s_mov_b64 exec, s[90:91]
	s_cbranch_execz .LBB53_186
; %bb.79:                               ;   in Loop: Header=BB53_5 Depth=1
	v_add_u32_e32 v3, s13, v3
	v_ashrrev_i32_e32 v4, 31, v3
	v_lshlrev_b64 v[8:9], 2, v[3:4]
	v_mov_b32_e32 v1, s95
	v_add_co_u32_e32 v8, vcc, s94, v8
	v_addc_co_u32_e32 v9, vcc, v1, v9, vcc
	global_load_dword v1, v[8:9], off
	v_mov_b32_e32 v4, 0
	s_waitcnt vmcnt(0)
	v_cmp_class_f16_e64 s[90:91], v1, s92
	s_mov_b64 vcc, exec
	v_writelane_b32 v13, vcc_lo, 4
	s_and_b64 s[90:91], vcc, s[90:91]
	v_writelane_b32 v13, vcc_hi, 5
	s_mov_b64 exec, s[90:91]
	s_cbranch_execz .LBB53_185
; %bb.80:                               ;   in Loop: Header=BB53_5 Depth=1
	v_mov_b32_e32 v4, 0
	v_cmp_class_f16_sdwa s[90:91], v1, s92 src0_sel:WORD_1 src1_sel:DWORD
	s_mov_b64 vcc, exec
	v_writelane_b32 v13, vcc_lo, 6
	s_and_b64 s[90:91], vcc, s[90:91]
	v_writelane_b32 v13, vcc_hi, 7
	s_mov_b64 exec, s[90:91]
	s_cbranch_execz .LBB53_184
; %bb.81:                               ;   in Loop: Header=BB53_5 Depth=1
	v_add_u32_e32 v3, s13, v3
	v_ashrrev_i32_e32 v4, 31, v3
	v_lshlrev_b64 v[8:9], 2, v[3:4]
	v_mov_b32_e32 v1, s95
	v_add_co_u32_e32 v8, vcc, s94, v8
	v_addc_co_u32_e32 v9, vcc, v1, v9, vcc
	global_load_dword v1, v[8:9], off
	v_mov_b32_e32 v4, 0
	s_waitcnt vmcnt(0)
	v_cmp_class_f16_e64 s[90:91], v1, s92
	s_mov_b64 vcc, exec
	;; [unrolled: 26-line block ×11, first 2 shown]
	v_writelane_b32 v13, vcc_lo, 44
	s_and_b64 s[90:91], vcc, s[90:91]
	v_writelane_b32 v13, vcc_hi, 45
	s_mov_b64 exec, s[90:91]
	s_cbranch_execz .LBB53_165
; %bb.100:                              ;   in Loop: Header=BB53_5 Depth=1
	v_mov_b32_e32 v4, 0
	v_cmp_class_f16_sdwa s[90:91], v1, s92 src0_sel:WORD_1 src1_sel:DWORD
	s_mov_b64 vcc, exec
	v_writelane_b32 v13, vcc_lo, 46
	s_and_b64 s[90:91], vcc, s[90:91]
	v_writelane_b32 v13, vcc_hi, 47
	s_mov_b64 exec, s[90:91]
	s_cbranch_execz .LBB53_164
; %bb.101:                              ;   in Loop: Header=BB53_5 Depth=1
	v_add_u32_e32 v3, s13, v3
	v_ashrrev_i32_e32 v4, 31, v3
	v_lshlrev_b64 v[8:9], 2, v[3:4]
	v_mov_b32_e32 v1, s95
	v_add_co_u32_e32 v8, vcc, s94, v8
	v_addc_co_u32_e32 v9, vcc, v1, v9, vcc
	global_load_dword v1, v[8:9], off
	v_mov_b32_e32 v4, 0
	s_waitcnt vmcnt(0)
	v_cmp_class_f16_e64 s[90:91], v1, s92
	s_mov_b64 vcc, exec
	v_writelane_b32 v13, vcc_lo, 48
	s_and_b64 s[90:91], vcc, s[90:91]
	v_writelane_b32 v13, vcc_hi, 49
	s_mov_b64 exec, s[90:91]
	s_cbranch_execz .LBB53_163
; %bb.102:                              ;   in Loop: Header=BB53_5 Depth=1
	v_mov_b32_e32 v4, 0
	v_cmp_class_f16_sdwa s[90:91], v1, s92 src0_sel:WORD_1 src1_sel:DWORD
	s_mov_b64 vcc, exec
	v_writelane_b32 v13, vcc_lo, 50
	s_and_b64 s[90:91], vcc, s[90:91]
	v_writelane_b32 v13, vcc_hi, 51
	s_mov_b64 exec, s[90:91]
	s_cbranch_execz .LBB53_162
; %bb.103:                              ;   in Loop: Header=BB53_5 Depth=1
	v_add_u32_e32 v3, s13, v3
	v_ashrrev_i32_e32 v4, 31, v3
	v_lshlrev_b64 v[8:9], 2, v[3:4]
	v_mov_b32_e32 v1, s95
	v_add_co_u32_e32 v8, vcc, s94, v8
	v_addc_co_u32_e32 v9, vcc, v1, v9, vcc
	global_load_dword v1, v[8:9], off
	v_mov_b32_e32 v4, 0
	s_waitcnt vmcnt(0)
	v_cmp_class_f16_e64 s[90:91], v1, s92
	s_mov_b64 vcc, exec
	;; [unrolled: 26-line block ×5, first 2 shown]
                                        ; implicit-def: $vgpr12 : SGPR spill to VGPR lane
	v_writelane_b32 v12, vcc_lo, 0
	s_and_b64 s[90:91], vcc, s[90:91]
	v_writelane_b32 v12, vcc_hi, 1
	s_mov_b64 exec, s[90:91]
	s_cbranch_execz .LBB53_155
; %bb.110:                              ;   in Loop: Header=BB53_5 Depth=1
	v_mov_b32_e32 v4, 0
	v_cmp_class_f16_sdwa s[90:91], v1, s92 src0_sel:WORD_1 src1_sel:DWORD
	s_mov_b64 vcc, exec
	v_writelane_b32 v12, vcc_lo, 2
	s_and_b64 s[90:91], vcc, s[90:91]
	v_writelane_b32 v12, vcc_hi, 3
	s_mov_b64 exec, s[90:91]
	s_cbranch_execz .LBB53_154
; %bb.111:                              ;   in Loop: Header=BB53_5 Depth=1
	v_add_u32_e32 v3, s13, v3
	v_ashrrev_i32_e32 v4, 31, v3
	v_lshlrev_b64 v[8:9], 2, v[3:4]
	v_mov_b32_e32 v1, s95
	v_add_co_u32_e32 v8, vcc, s94, v8
	v_addc_co_u32_e32 v9, vcc, v1, v9, vcc
	global_load_dword v1, v[8:9], off
	v_mov_b32_e32 v4, 0
	s_waitcnt vmcnt(0)
	v_cmp_class_f16_e64 s[90:91], v1, s92
	s_mov_b64 vcc, exec
	v_writelane_b32 v12, vcc_lo, 4
	s_and_b64 s[90:91], vcc, s[90:91]
	v_writelane_b32 v12, vcc_hi, 5
	s_mov_b64 exec, s[90:91]
	s_cbranch_execz .LBB53_153
; %bb.112:                              ;   in Loop: Header=BB53_5 Depth=1
	v_mov_b32_e32 v4, 0
	v_cmp_class_f16_sdwa s[90:91], v1, s92 src0_sel:WORD_1 src1_sel:DWORD
	s_mov_b64 vcc, exec
	v_writelane_b32 v12, vcc_lo, 6
	s_and_b64 s[90:91], vcc, s[90:91]
	v_writelane_b32 v12, vcc_hi, 7
	s_mov_b64 exec, s[90:91]
	s_cbranch_execz .LBB53_152
; %bb.113:                              ;   in Loop: Header=BB53_5 Depth=1
	v_add_u32_e32 v3, s13, v3
	v_ashrrev_i32_e32 v4, 31, v3
	v_lshlrev_b64 v[8:9], 2, v[3:4]
	v_mov_b32_e32 v1, s95
	v_add_co_u32_e32 v8, vcc, s94, v8
	v_addc_co_u32_e32 v9, vcc, v1, v9, vcc
	global_load_dword v1, v[8:9], off
	v_mov_b32_e32 v4, 0
	s_waitcnt vmcnt(0)
	v_cmp_class_f16_e64 s[90:91], v1, s92
	s_mov_b64 vcc, exec
	;; [unrolled: 26-line block ×11, first 2 shown]
	v_writelane_b32 v12, vcc_lo, 44
	s_and_b64 s[90:91], vcc, s[90:91]
	v_writelane_b32 v12, vcc_hi, 45
	s_mov_b64 exec, s[90:91]
; %bb.132:                              ;   in Loop: Header=BB53_5 Depth=1
	v_cmp_class_f16_sdwa s[90:91], v1, s92 src0_sel:WORD_1 src1_sel:DWORD
	v_cndmask_b32_e64 v4, 0, 1, s[90:91]
; %bb.133:                              ;   in Loop: Header=BB53_5 Depth=1
	v_readlane_b32 s90, v12, 44
	v_readlane_b32 s91, v12, 45
	s_or_b64 exec, exec, s[90:91]
.LBB53_134:                             ;   in Loop: Header=BB53_5 Depth=1
	v_readlane_b32 s90, v12, 42
	v_readlane_b32 s91, v12, 43
	s_or_b64 exec, exec, s[90:91]
.LBB53_135:                             ;   in Loop: Header=BB53_5 Depth=1
	v_readlane_b32 s90, v12, 40
	v_readlane_b32 s91, v12, 41
	s_or_b64 exec, exec, s[90:91]
.LBB53_136:                             ;   in Loop: Header=BB53_5 Depth=1
	v_readlane_b32 s90, v12, 38
	v_readlane_b32 s91, v12, 39
	s_or_b64 exec, exec, s[90:91]
.LBB53_137:                             ;   in Loop: Header=BB53_5 Depth=1
	v_readlane_b32 s90, v12, 36
	v_readlane_b32 s91, v12, 37
	s_or_b64 exec, exec, s[90:91]
.LBB53_138:                             ;   in Loop: Header=BB53_5 Depth=1
	v_readlane_b32 s90, v12, 34
	v_readlane_b32 s91, v12, 35
	s_or_b64 exec, exec, s[90:91]
.LBB53_139:                             ;   in Loop: Header=BB53_5 Depth=1
	v_readlane_b32 s90, v12, 32
	v_readlane_b32 s91, v12, 33
	s_or_b64 exec, exec, s[90:91]
.LBB53_140:                             ;   in Loop: Header=BB53_5 Depth=1
	v_readlane_b32 s90, v12, 30
	v_readlane_b32 s91, v12, 31
	s_or_b64 exec, exec, s[90:91]
.LBB53_141:                             ;   in Loop: Header=BB53_5 Depth=1
	v_readlane_b32 s90, v12, 28
	v_readlane_b32 s91, v12, 29
	s_or_b64 exec, exec, s[90:91]
.LBB53_142:                             ;   in Loop: Header=BB53_5 Depth=1
	v_readlane_b32 s90, v12, 26
	v_readlane_b32 s91, v12, 27
	s_or_b64 exec, exec, s[90:91]
.LBB53_143:                             ;   in Loop: Header=BB53_5 Depth=1
	v_readlane_b32 s90, v12, 24
	v_readlane_b32 s91, v12, 25
	s_or_b64 exec, exec, s[90:91]
.LBB53_144:                             ;   in Loop: Header=BB53_5 Depth=1
	v_readlane_b32 s90, v12, 22
	v_readlane_b32 s91, v12, 23
	s_or_b64 exec, exec, s[90:91]
.LBB53_145:                             ;   in Loop: Header=BB53_5 Depth=1
	v_readlane_b32 s90, v12, 20
	v_readlane_b32 s91, v12, 21
	s_or_b64 exec, exec, s[90:91]
.LBB53_146:                             ;   in Loop: Header=BB53_5 Depth=1
	v_readlane_b32 s90, v12, 18
	v_readlane_b32 s91, v12, 19
	s_or_b64 exec, exec, s[90:91]
.LBB53_147:                             ;   in Loop: Header=BB53_5 Depth=1
	v_readlane_b32 s90, v12, 16
	v_readlane_b32 s91, v12, 17
	s_or_b64 exec, exec, s[90:91]
.LBB53_148:                             ;   in Loop: Header=BB53_5 Depth=1
	v_readlane_b32 s90, v12, 14
	v_readlane_b32 s91, v12, 15
	s_or_b64 exec, exec, s[90:91]
.LBB53_149:                             ;   in Loop: Header=BB53_5 Depth=1
	v_readlane_b32 s90, v12, 12
	v_readlane_b32 s91, v12, 13
	s_or_b64 exec, exec, s[90:91]
.LBB53_150:                             ;   in Loop: Header=BB53_5 Depth=1
	v_readlane_b32 s90, v12, 10
	v_readlane_b32 s91, v12, 11
	s_or_b64 exec, exec, s[90:91]
.LBB53_151:                             ;   in Loop: Header=BB53_5 Depth=1
	v_readlane_b32 s90, v12, 8
	v_readlane_b32 s91, v12, 9
	s_or_b64 exec, exec, s[90:91]
.LBB53_152:                             ;   in Loop: Header=BB53_5 Depth=1
	v_readlane_b32 s90, v12, 6
	v_readlane_b32 s91, v12, 7
	s_or_b64 exec, exec, s[90:91]
.LBB53_153:                             ;   in Loop: Header=BB53_5 Depth=1
	v_readlane_b32 s90, v12, 4
	v_readlane_b32 s91, v12, 5
	s_or_b64 exec, exec, s[90:91]
.LBB53_154:                             ;   in Loop: Header=BB53_5 Depth=1
	v_readlane_b32 s90, v12, 2
	v_readlane_b32 s91, v12, 3
	s_or_b64 exec, exec, s[90:91]
.LBB53_155:                             ;   in Loop: Header=BB53_5 Depth=1
	v_readlane_b32 s90, v12, 0
	v_readlane_b32 s91, v12, 1
	s_or_b64 exec, exec, s[90:91]
.LBB53_156:                             ;   in Loop: Header=BB53_5 Depth=1
	v_readlane_b32 s90, v13, 62
	v_readlane_b32 s91, v13, 63
	s_or_b64 exec, exec, s[90:91]
.LBB53_157:                             ;   in Loop: Header=BB53_5 Depth=1
	v_readlane_b32 s90, v13, 60
	v_readlane_b32 s91, v13, 61
	s_or_b64 exec, exec, s[90:91]
.LBB53_158:                             ;   in Loop: Header=BB53_5 Depth=1
	v_readlane_b32 s90, v13, 58
	v_readlane_b32 s91, v13, 59
	s_or_b64 exec, exec, s[90:91]
.LBB53_159:                             ;   in Loop: Header=BB53_5 Depth=1
	v_readlane_b32 s90, v13, 56
	v_readlane_b32 s91, v13, 57
	s_or_b64 exec, exec, s[90:91]
.LBB53_160:                             ;   in Loop: Header=BB53_5 Depth=1
	v_readlane_b32 s90, v13, 54
	v_readlane_b32 s91, v13, 55
	s_or_b64 exec, exec, s[90:91]
.LBB53_161:                             ;   in Loop: Header=BB53_5 Depth=1
	v_readlane_b32 s90, v13, 52
	v_readlane_b32 s91, v13, 53
	s_or_b64 exec, exec, s[90:91]
.LBB53_162:                             ;   in Loop: Header=BB53_5 Depth=1
	v_readlane_b32 s90, v13, 50
	v_readlane_b32 s91, v13, 51
	s_or_b64 exec, exec, s[90:91]
.LBB53_163:                             ;   in Loop: Header=BB53_5 Depth=1
	v_readlane_b32 s90, v13, 48
	v_readlane_b32 s91, v13, 49
	s_or_b64 exec, exec, s[90:91]
.LBB53_164:                             ;   in Loop: Header=BB53_5 Depth=1
	v_readlane_b32 s90, v13, 46
	v_readlane_b32 s91, v13, 47
	s_or_b64 exec, exec, s[90:91]
.LBB53_165:                             ;   in Loop: Header=BB53_5 Depth=1
	v_readlane_b32 s90, v13, 44
	v_readlane_b32 s91, v13, 45
	s_or_b64 exec, exec, s[90:91]
.LBB53_166:                             ;   in Loop: Header=BB53_5 Depth=1
	v_readlane_b32 s90, v13, 42
	v_readlane_b32 s91, v13, 43
	s_or_b64 exec, exec, s[90:91]
.LBB53_167:                             ;   in Loop: Header=BB53_5 Depth=1
	v_readlane_b32 s90, v13, 40
	v_readlane_b32 s91, v13, 41
	s_or_b64 exec, exec, s[90:91]
.LBB53_168:                             ;   in Loop: Header=BB53_5 Depth=1
	v_readlane_b32 s90, v13, 38
	v_readlane_b32 s91, v13, 39
	s_or_b64 exec, exec, s[90:91]
.LBB53_169:                             ;   in Loop: Header=BB53_5 Depth=1
	v_readlane_b32 s90, v13, 36
	v_readlane_b32 s91, v13, 37
	s_or_b64 exec, exec, s[90:91]
.LBB53_170:                             ;   in Loop: Header=BB53_5 Depth=1
	v_readlane_b32 s90, v13, 34
	v_readlane_b32 s91, v13, 35
	s_or_b64 exec, exec, s[90:91]
.LBB53_171:                             ;   in Loop: Header=BB53_5 Depth=1
	v_readlane_b32 s90, v13, 32
	v_readlane_b32 s91, v13, 33
	s_or_b64 exec, exec, s[90:91]
.LBB53_172:                             ;   in Loop: Header=BB53_5 Depth=1
	v_readlane_b32 s90, v13, 30
	v_readlane_b32 s91, v13, 31
	s_or_b64 exec, exec, s[90:91]
.LBB53_173:                             ;   in Loop: Header=BB53_5 Depth=1
	v_readlane_b32 s90, v13, 28
	v_readlane_b32 s91, v13, 29
	s_or_b64 exec, exec, s[90:91]
.LBB53_174:                             ;   in Loop: Header=BB53_5 Depth=1
	v_readlane_b32 s90, v13, 26
	v_readlane_b32 s91, v13, 27
	s_or_b64 exec, exec, s[90:91]
.LBB53_175:                             ;   in Loop: Header=BB53_5 Depth=1
	v_readlane_b32 s90, v13, 24
	v_readlane_b32 s91, v13, 25
	s_or_b64 exec, exec, s[90:91]
.LBB53_176:                             ;   in Loop: Header=BB53_5 Depth=1
	v_readlane_b32 s90, v13, 22
	v_readlane_b32 s91, v13, 23
	s_or_b64 exec, exec, s[90:91]
.LBB53_177:                             ;   in Loop: Header=BB53_5 Depth=1
	v_readlane_b32 s90, v13, 20
	v_readlane_b32 s91, v13, 21
	s_or_b64 exec, exec, s[90:91]
.LBB53_178:                             ;   in Loop: Header=BB53_5 Depth=1
	v_readlane_b32 s90, v13, 18
	v_readlane_b32 s91, v13, 19
	s_or_b64 exec, exec, s[90:91]
.LBB53_179:                             ;   in Loop: Header=BB53_5 Depth=1
	v_readlane_b32 s90, v13, 16
	v_readlane_b32 s91, v13, 17
	s_or_b64 exec, exec, s[90:91]
.LBB53_180:                             ;   in Loop: Header=BB53_5 Depth=1
	v_readlane_b32 s90, v13, 14
	v_readlane_b32 s91, v13, 15
	s_or_b64 exec, exec, s[90:91]
.LBB53_181:                             ;   in Loop: Header=BB53_5 Depth=1
	v_readlane_b32 s90, v13, 12
	v_readlane_b32 s91, v13, 13
	s_or_b64 exec, exec, s[90:91]
.LBB53_182:                             ;   in Loop: Header=BB53_5 Depth=1
	v_readlane_b32 s90, v13, 10
	v_readlane_b32 s91, v13, 11
	s_or_b64 exec, exec, s[90:91]
.LBB53_183:                             ;   in Loop: Header=BB53_5 Depth=1
	v_readlane_b32 s90, v13, 8
	v_readlane_b32 s91, v13, 9
	s_or_b64 exec, exec, s[90:91]
.LBB53_184:                             ;   in Loop: Header=BB53_5 Depth=1
	v_readlane_b32 s90, v13, 6
	v_readlane_b32 s91, v13, 7
	s_or_b64 exec, exec, s[90:91]
.LBB53_185:                             ;   in Loop: Header=BB53_5 Depth=1
	v_readlane_b32 s90, v13, 4
	v_readlane_b32 s91, v13, 5
	s_or_b64 exec, exec, s[90:91]
.LBB53_186:                             ;   in Loop: Header=BB53_5 Depth=1
	v_readlane_b32 s90, v13, 2
	v_readlane_b32 s91, v13, 3
	s_or_b64 exec, exec, s[90:91]
.LBB53_187:                             ;   in Loop: Header=BB53_5 Depth=1
	v_readlane_b32 s90, v13, 0
	v_readlane_b32 s91, v13, 1
	s_or_b64 exec, exec, s[90:91]
.LBB53_188:                             ;   in Loop: Header=BB53_5 Depth=1
	v_readlane_b32 s90, v14, 62
	v_readlane_b32 s91, v14, 63
	s_or_b64 exec, exec, s[90:91]
.LBB53_189:                             ;   in Loop: Header=BB53_5 Depth=1
	v_readlane_b32 s90, v14, 60
	v_readlane_b32 s91, v14, 61
	s_or_b64 exec, exec, s[90:91]
.LBB53_190:                             ;   in Loop: Header=BB53_5 Depth=1
	v_readlane_b32 s90, v14, 58
	v_readlane_b32 s91, v14, 59
	s_or_b64 exec, exec, s[90:91]
.LBB53_191:                             ;   in Loop: Header=BB53_5 Depth=1
	v_readlane_b32 s90, v14, 56
	v_readlane_b32 s91, v14, 57
	s_or_b64 exec, exec, s[90:91]
.LBB53_192:                             ;   in Loop: Header=BB53_5 Depth=1
	v_readlane_b32 s90, v14, 54
	v_readlane_b32 s91, v14, 55
	s_or_b64 exec, exec, s[90:91]
.LBB53_193:                             ;   in Loop: Header=BB53_5 Depth=1
	v_readlane_b32 s90, v14, 52
	v_readlane_b32 s91, v14, 53
	s_or_b64 exec, exec, s[90:91]
.LBB53_194:                             ;   in Loop: Header=BB53_5 Depth=1
	v_readlane_b32 s90, v14, 50
	v_readlane_b32 s91, v14, 51
	s_or_b64 exec, exec, s[90:91]
.LBB53_195:                             ;   in Loop: Header=BB53_5 Depth=1
	v_readlane_b32 s90, v14, 48
	v_readlane_b32 s91, v14, 49
	s_or_b64 exec, exec, s[90:91]
.LBB53_196:                             ;   in Loop: Header=BB53_5 Depth=1
	v_readlane_b32 s90, v14, 46
	v_readlane_b32 s91, v14, 47
	s_or_b64 exec, exec, s[90:91]
.LBB53_197:                             ;   in Loop: Header=BB53_5 Depth=1
	v_readlane_b32 s90, v14, 44
	v_readlane_b32 s91, v14, 45
	s_or_b64 exec, exec, s[90:91]
.LBB53_198:                             ;   in Loop: Header=BB53_5 Depth=1
	v_readlane_b32 s90, v14, 42
	v_readlane_b32 s91, v14, 43
	s_or_b64 exec, exec, s[90:91]
.LBB53_199:                             ;   in Loop: Header=BB53_5 Depth=1
	v_readlane_b32 s90, v14, 40
	v_readlane_b32 s91, v14, 41
	s_or_b64 exec, exec, s[90:91]
.LBB53_200:                             ;   in Loop: Header=BB53_5 Depth=1
	v_readlane_b32 s90, v14, 38
	v_readlane_b32 s91, v14, 39
	s_or_b64 exec, exec, s[90:91]
.LBB53_201:                             ;   in Loop: Header=BB53_5 Depth=1
	v_readlane_b32 s90, v14, 36
	v_readlane_b32 s91, v14, 37
	s_or_b64 exec, exec, s[90:91]
.LBB53_202:                             ;   in Loop: Header=BB53_5 Depth=1
	v_readlane_b32 s90, v14, 34
	v_readlane_b32 s91, v14, 35
	s_or_b64 exec, exec, s[90:91]
.LBB53_203:                             ;   in Loop: Header=BB53_5 Depth=1
	v_readlane_b32 s90, v14, 32
	v_readlane_b32 s91, v14, 33
	s_or_b64 exec, exec, s[90:91]
.LBB53_204:                             ;   in Loop: Header=BB53_5 Depth=1
	v_readlane_b32 s90, v14, 30
	v_readlane_b32 s91, v14, 31
	s_or_b64 exec, exec, s[90:91]
.LBB53_205:                             ;   in Loop: Header=BB53_5 Depth=1
	v_readlane_b32 s90, v14, 28
	v_readlane_b32 s91, v14, 29
	s_or_b64 exec, exec, s[90:91]
.LBB53_206:                             ;   in Loop: Header=BB53_5 Depth=1
	v_readlane_b32 s90, v14, 26
	v_readlane_b32 s91, v14, 27
	s_or_b64 exec, exec, s[90:91]
.LBB53_207:                             ;   in Loop: Header=BB53_5 Depth=1
	v_readlane_b32 s90, v14, 24
	v_readlane_b32 s91, v14, 25
	s_or_b64 exec, exec, s[90:91]
.LBB53_208:                             ;   in Loop: Header=BB53_5 Depth=1
	v_readlane_b32 s90, v14, 22
	v_readlane_b32 s91, v14, 23
	s_or_b64 exec, exec, s[90:91]
.LBB53_209:                             ;   in Loop: Header=BB53_5 Depth=1
	v_readlane_b32 s90, v14, 20
	v_readlane_b32 s91, v14, 21
	s_or_b64 exec, exec, s[90:91]
.LBB53_210:                             ;   in Loop: Header=BB53_5 Depth=1
	v_readlane_b32 s90, v14, 18
	v_readlane_b32 s91, v14, 19
	s_or_b64 exec, exec, s[90:91]
.LBB53_211:                             ;   in Loop: Header=BB53_5 Depth=1
	v_readlane_b32 s90, v14, 16
	v_readlane_b32 s91, v14, 17
	s_or_b64 exec, exec, s[90:91]
.LBB53_212:                             ;   in Loop: Header=BB53_5 Depth=1
	v_readlane_b32 s90, v14, 14
	v_readlane_b32 s91, v14, 15
	s_or_b64 exec, exec, s[90:91]
.LBB53_213:                             ;   in Loop: Header=BB53_5 Depth=1
	v_readlane_b32 s90, v14, 12
	v_readlane_b32 s91, v14, 13
	s_or_b64 exec, exec, s[90:91]
.LBB53_214:                             ;   in Loop: Header=BB53_5 Depth=1
	v_readlane_b32 s90, v14, 10
	v_readlane_b32 s91, v14, 11
	s_or_b64 exec, exec, s[90:91]
.LBB53_215:                             ;   in Loop: Header=BB53_5 Depth=1
	v_readlane_b32 s90, v14, 8
	v_readlane_b32 s91, v14, 9
	s_or_b64 exec, exec, s[90:91]
.LBB53_216:                             ;   in Loop: Header=BB53_5 Depth=1
	v_readlane_b32 s90, v14, 6
	v_readlane_b32 s91, v14, 7
	s_or_b64 exec, exec, s[90:91]
.LBB53_217:                             ;   in Loop: Header=BB53_5 Depth=1
	v_readlane_b32 s90, v14, 4
	v_readlane_b32 s91, v14, 5
	s_or_b64 exec, exec, s[90:91]
.LBB53_218:                             ;   in Loop: Header=BB53_5 Depth=1
	v_readlane_b32 s90, v14, 2
	v_readlane_b32 s91, v14, 3
	s_or_b64 exec, exec, s[90:91]
.LBB53_219:                             ;   in Loop: Header=BB53_5 Depth=1
	v_readlane_b32 s90, v14, 0
	v_readlane_b32 s91, v14, 1
	s_or_b64 exec, exec, s[90:91]
.LBB53_220:                             ;   in Loop: Header=BB53_5 Depth=1
	s_or_b64 exec, exec, s[88:89]
.LBB53_221:                             ;   in Loop: Header=BB53_5 Depth=1
	s_or_b64 exec, exec, s[86:87]
.LBB53_222:                             ;   in Loop: Header=BB53_5 Depth=1
	s_or_b64 exec, exec, s[84:85]
.LBB53_223:                             ;   in Loop: Header=BB53_5 Depth=1
	s_or_b64 exec, exec, s[82:83]
.LBB53_224:                             ;   in Loop: Header=BB53_5 Depth=1
	s_or_b64 exec, exec, s[80:81]
.LBB53_225:                             ;   in Loop: Header=BB53_5 Depth=1
	s_or_b64 exec, exec, s[78:79]
.LBB53_226:                             ;   in Loop: Header=BB53_5 Depth=1
	s_or_b64 exec, exec, s[76:77]
.LBB53_227:                             ;   in Loop: Header=BB53_5 Depth=1
	s_or_b64 exec, exec, s[74:75]
.LBB53_228:                             ;   in Loop: Header=BB53_5 Depth=1
	s_or_b64 exec, exec, s[72:73]
.LBB53_229:                             ;   in Loop: Header=BB53_5 Depth=1
	s_or_b64 exec, exec, s[70:71]
.LBB53_230:                             ;   in Loop: Header=BB53_5 Depth=1
	s_or_b64 exec, exec, s[68:69]
.LBB53_231:                             ;   in Loop: Header=BB53_5 Depth=1
	s_or_b64 exec, exec, s[66:67]
.LBB53_232:                             ;   in Loop: Header=BB53_5 Depth=1
	s_or_b64 exec, exec, s[64:65]
.LBB53_233:                             ;   in Loop: Header=BB53_5 Depth=1
	s_or_b64 exec, exec, s[62:63]
.LBB53_234:                             ;   in Loop: Header=BB53_5 Depth=1
	s_or_b64 exec, exec, s[60:61]
.LBB53_235:                             ;   in Loop: Header=BB53_5 Depth=1
	s_or_b64 exec, exec, s[58:59]
.LBB53_236:                             ;   in Loop: Header=BB53_5 Depth=1
	s_or_b64 exec, exec, s[56:57]
.LBB53_237:                             ;   in Loop: Header=BB53_5 Depth=1
	s_or_b64 exec, exec, s[54:55]
.LBB53_238:                             ;   in Loop: Header=BB53_5 Depth=1
	s_or_b64 exec, exec, s[52:53]
.LBB53_239:                             ;   in Loop: Header=BB53_5 Depth=1
	s_or_b64 exec, exec, s[50:51]
.LBB53_240:                             ;   in Loop: Header=BB53_5 Depth=1
	s_or_b64 exec, exec, s[48:49]
.LBB53_241:                             ;   in Loop: Header=BB53_5 Depth=1
	s_or_b64 exec, exec, s[46:47]
.LBB53_242:                             ;   in Loop: Header=BB53_5 Depth=1
	s_or_b64 exec, exec, s[44:45]
.LBB53_243:                             ;   in Loop: Header=BB53_5 Depth=1
	s_or_b64 exec, exec, s[42:43]
.LBB53_244:                             ;   in Loop: Header=BB53_5 Depth=1
	s_or_b64 exec, exec, s[40:41]
.LBB53_245:                             ;   in Loop: Header=BB53_5 Depth=1
	s_or_b64 exec, exec, s[38:39]
.LBB53_246:                             ;   in Loop: Header=BB53_5 Depth=1
	s_or_b64 exec, exec, s[36:37]
.LBB53_247:                             ;   in Loop: Header=BB53_5 Depth=1
	s_or_b64 exec, exec, s[34:35]
.LBB53_248:                             ;   in Loop: Header=BB53_5 Depth=1
	s_or_b64 exec, exec, s[30:31]
.LBB53_249:                             ;   in Loop: Header=BB53_5 Depth=1
	s_or_b64 exec, exec, s[28:29]
.LBB53_250:                             ;   in Loop: Header=BB53_5 Depth=1
	s_or_b64 exec, exec, s[26:27]
.LBB53_251:                             ;   in Loop: Header=BB53_5 Depth=1
	s_or_b64 exec, exec, s[24:25]
.LBB53_252:                             ;   in Loop: Header=BB53_5 Depth=1
	s_or_b64 exec, exec, s[22:23]
.LBB53_253:                             ;   in Loop: Header=BB53_5 Depth=1
	s_or_b64 exec, exec, s[20:21]
.LBB53_254:                             ;   in Loop: Header=BB53_5 Depth=1
	s_or_b64 exec, exec, s[18:19]
.LBB53_255:                             ;   in Loop: Header=BB53_5 Depth=1
	s_or_b64 exec, exec, s[16:17]
.LBB53_256:                             ;   in Loop: Header=BB53_5 Depth=1
	s_or_b64 exec, exec, s[14:15]
.LBB53_257:                             ;   in Loop: Header=BB53_5 Depth=1
	s_or_b64 exec, exec, s[8:9]
.LBB53_258:                             ;   in Loop: Header=BB53_5 Depth=1
	s_or_b64 exec, exec, s[2:3]
	v_and_b32_e32 v1, 0x60, v7
	v_add_u32_e32 v9, 32, v1
	v_xor_b32_e32 v1, 16, v7
	v_cmp_lt_i32_e32 vcc, v1, v9
	v_cndmask_b32_e32 v1, v7, v1, vcc
	v_lshlrev_b32_e32 v1, 2, v1
	ds_bpermute_b32 v3, v1, v4
	v_cmp_ne_u32_e32 vcc, 0, v4
	v_xor_b32_e32 v11, 1, v7
	s_waitcnt lgkmcnt(0)
	v_cmp_ne_u32_e64 s[2:3], 0, v3
	v_xor_b32_e32 v3, 8, v7
	s_and_b64 s[2:3], vcc, s[2:3]
	v_cmp_lt_i32_e32 vcc, v3, v9
	v_cndmask_b32_e32 v3, v7, v3, vcc
	v_cndmask_b32_e64 v4, 0, 1, s[2:3]
	v_lshlrev_b32_e32 v3, 2, v3
	ds_bpermute_b32 v4, v3, v4
	s_waitcnt lgkmcnt(0)
	v_cmp_ne_u32_e32 vcc, 0, v4
	v_xor_b32_e32 v4, 4, v7
	s_and_b64 s[2:3], vcc, s[2:3]
	v_cmp_lt_i32_e32 vcc, v4, v9
	v_cndmask_b32_e32 v4, v7, v4, vcc
	v_cndmask_b32_e64 v8, 0, 1, s[2:3]
	v_lshlrev_b32_e32 v4, 2, v4
	ds_bpermute_b32 v8, v4, v8
	s_waitcnt lgkmcnt(0)
	v_cmp_ne_u32_e32 vcc, 0, v8
	;; [unrolled: 9-line block ×3, first 2 shown]
	s_and_b64 s[2:3], vcc, s[2:3]
	v_cmp_lt_i32_e32 vcc, v11, v9
	v_cndmask_b32_e32 v9, v7, v11, vcc
	v_cndmask_b32_e64 v10, 0, 1, s[2:3]
	v_lshlrev_b32_e32 v9, 2, v9
	ds_bpermute_b32 v10, v9, v10
	s_and_saveexec_b64 s[8:9], s[0:1]
	s_cbranch_execz .LBB53_3
; %bb.259:                              ;   in Loop: Header=BB53_5 Depth=1
	s_waitcnt lgkmcnt(0)
	v_cmp_ne_u32_e32 vcc, 0, v10
	s_and_b64 s[2:3], vcc, s[2:3]
	v_cndmask_b32_e64 v10, 0, 1, s[2:3]
	ds_write_b32 v5, v10
	s_branch .LBB53_3
.LBB53_260:
	s_or_b64 exec, exec, s[4:5]
	v_cmp_eq_u32_e32 vcc, 0, v0
	s_and_saveexec_b64 s[0:1], vcc
	s_cbranch_execz .LBB53_262
; %bb.261:
	s_mul_i32 s0, s33, s7
	s_add_i32 s0, s0, s6
	s_ashr_i32 s1, s0, 31
	s_lshl_b64 s[0:1], s[0:1], 2
	s_add_u32 s0, s10, s0
	s_addc_u32 s1, s11, s1
	v_mov_b32_e32 v0, 0
	global_store_dword v0, v1, s[0:1]
.LBB53_262:
	s_endpgm
	.section	.rodata,"a",@progbits
	.p2align	6, 0x0
	.amdhsa_kernel _ZL25flash_attn_mask_to_KV_maxILi64EEvPK7__half2Piiii
		.amdhsa_group_segment_fixed_size 128
		.amdhsa_private_segment_fixed_size 0
		.amdhsa_kernarg_size 288
		.amdhsa_user_sgpr_count 6
		.amdhsa_user_sgpr_private_segment_buffer 1
		.amdhsa_user_sgpr_dispatch_ptr 0
		.amdhsa_user_sgpr_queue_ptr 0
		.amdhsa_user_sgpr_kernarg_segment_ptr 1
		.amdhsa_user_sgpr_dispatch_id 0
		.amdhsa_user_sgpr_flat_scratch_init 0
		.amdhsa_user_sgpr_private_segment_size 0
		.amdhsa_uses_dynamic_stack 0
		.amdhsa_system_sgpr_private_segment_wavefront_offset 0
		.amdhsa_system_sgpr_workgroup_id_x 1
		.amdhsa_system_sgpr_workgroup_id_y 1
		.amdhsa_system_sgpr_workgroup_id_z 0
		.amdhsa_system_sgpr_workgroup_info 0
		.amdhsa_system_vgpr_workitem_id 0
		.amdhsa_next_free_vgpr 15
		.amdhsa_next_free_sgpr 96
		.amdhsa_reserve_vcc 1
		.amdhsa_reserve_flat_scratch 0
		.amdhsa_float_round_mode_32 0
		.amdhsa_float_round_mode_16_64 0
		.amdhsa_float_denorm_mode_32 3
		.amdhsa_float_denorm_mode_16_64 3
		.amdhsa_dx10_clamp 1
		.amdhsa_ieee_mode 1
		.amdhsa_fp16_overflow 0
		.amdhsa_exception_fp_ieee_invalid_op 0
		.amdhsa_exception_fp_denorm_src 0
		.amdhsa_exception_fp_ieee_div_zero 0
		.amdhsa_exception_fp_ieee_overflow 0
		.amdhsa_exception_fp_ieee_underflow 0
		.amdhsa_exception_fp_ieee_inexact 0
		.amdhsa_exception_int_div_zero 0
	.end_amdhsa_kernel
	.section	.text._ZL25flash_attn_mask_to_KV_maxILi64EEvPK7__half2Piiii,"axG",@progbits,_ZL25flash_attn_mask_to_KV_maxILi64EEvPK7__half2Piiii,comdat
.Lfunc_end53:
	.size	_ZL25flash_attn_mask_to_KV_maxILi64EEvPK7__half2Piiii, .Lfunc_end53-_ZL25flash_attn_mask_to_KV_maxILi64EEvPK7__half2Piiii
                                        ; -- End function
	.set _ZL25flash_attn_mask_to_KV_maxILi64EEvPK7__half2Piiii.num_vgpr, 15
	.set _ZL25flash_attn_mask_to_KV_maxILi64EEvPK7__half2Piiii.num_agpr, 0
	.set _ZL25flash_attn_mask_to_KV_maxILi64EEvPK7__half2Piiii.numbered_sgpr, 96
	.set _ZL25flash_attn_mask_to_KV_maxILi64EEvPK7__half2Piiii.num_named_barrier, 0
	.set _ZL25flash_attn_mask_to_KV_maxILi64EEvPK7__half2Piiii.private_seg_size, 0
	.set _ZL25flash_attn_mask_to_KV_maxILi64EEvPK7__half2Piiii.uses_vcc, 1
	.set _ZL25flash_attn_mask_to_KV_maxILi64EEvPK7__half2Piiii.uses_flat_scratch, 0
	.set _ZL25flash_attn_mask_to_KV_maxILi64EEvPK7__half2Piiii.has_dyn_sized_stack, 0
	.set _ZL25flash_attn_mask_to_KV_maxILi64EEvPK7__half2Piiii.has_recursion, 0
	.set _ZL25flash_attn_mask_to_KV_maxILi64EEvPK7__half2Piiii.has_indirect_call, 0
	.section	.AMDGPU.csdata,"",@progbits
; Kernel info:
; codeLenInByte = 9768
; TotalNumSgprs: 100
; NumVgprs: 15
; ScratchSize: 0
; MemoryBound: 0
; FloatMode: 240
; IeeeMode: 1
; LDSByteSize: 128 bytes/workgroup (compile time only)
; SGPRBlocks: 12
; VGPRBlocks: 3
; NumSGPRsForWavesPerEU: 100
; NumVGPRsForWavesPerEU: 15
; Occupancy: 8
; WaveLimiterHint : 0
; COMPUTE_PGM_RSRC2:SCRATCH_EN: 0
; COMPUTE_PGM_RSRC2:USER_SGPR: 6
; COMPUTE_PGM_RSRC2:TRAP_HANDLER: 0
; COMPUTE_PGM_RSRC2:TGID_X_EN: 1
; COMPUTE_PGM_RSRC2:TGID_Y_EN: 1
; COMPUTE_PGM_RSRC2:TGID_Z_EN: 0
; COMPUTE_PGM_RSRC2:TIDIG_COMP_CNT: 0
	.section	.text._ZL33flash_attn_stream_k_fixup_uniformILi128ELi64ELi1EEvPfPK15HIP_vector_typeIfLj2EEiiiiiiS1_IjLj3EES5_S5_,"axG",@progbits,_ZL33flash_attn_stream_k_fixup_uniformILi128ELi64ELi1EEvPfPK15HIP_vector_typeIfLj2EEiiiiiiS1_IjLj3EES5_S5_,comdat
	.globl	_ZL33flash_attn_stream_k_fixup_uniformILi128ELi64ELi1EEvPfPK15HIP_vector_typeIfLj2EEiiiiiiS1_IjLj3EES5_S5_ ; -- Begin function _ZL33flash_attn_stream_k_fixup_uniformILi128ELi64ELi1EEvPfPK15HIP_vector_typeIfLj2EEiiiiiiS1_IjLj3EES5_S5_
	.p2align	8
	.type	_ZL33flash_attn_stream_k_fixup_uniformILi128ELi64ELi1EEvPfPK15HIP_vector_typeIfLj2EEiiiiiiS1_IjLj3EES5_S5_,@function
_ZL33flash_attn_stream_k_fixup_uniformILi128ELi64ELi1EEvPfPK15HIP_vector_typeIfLj2EEiiiiiiS1_IjLj3EES5_S5_: ; @_ZL33flash_attn_stream_k_fixup_uniformILi128ELi64ELi1EEvPfPK15HIP_vector_typeIfLj2EEiiiiiiS1_IjLj3EES5_S5_
; %bb.0:
	s_load_dwordx8 s[12:19], s[4:5], 0x1c
	s_load_dwordx2 s[10:11], s[4:5], 0x10
	s_load_dwordx4 s[0:3], s[4:5], 0x3c
	s_waitcnt lgkmcnt(0)
	s_mul_hi_u32 s9, s15, s6
	s_add_i32 s9, s6, s9
	s_lshr_b32 s9, s9, s16
	s_mul_i32 s15, s9, s17
	s_sub_i32 s15, s6, s15
	s_mul_hi_u32 s16, s15, s18
	s_add_i32 s16, s15, s16
	s_lshr_b32 s16, s16, s19
	s_mul_i32 s0, s16, s0
	s_sub_i32 s0, s15, s0
	s_mul_hi_u32 s1, s0, s1
	s_add_i32 s1, s0, s1
	s_lshr_b32 s15, s1, s2
	s_mul_i32 s1, s15, s3
	s_sub_i32 s17, s0, s1
	s_lshl_b32 s0, s17, 6
	s_add_i32 s0, s0, s7
	s_cmp_lt_i32 s0, s10
	s_cselect_b64 s[0:1], -1, 0
	s_add_i32 s2, s15, s8
	s_cmp_lt_i32 s2, s13
	s_cselect_b64 s[2:3], -1, 0
	s_and_b64 s[0:1], s[0:1], s[2:3]
	s_andn2_b64 vcc, exec, s[0:1]
	s_cbranch_vccnz .LBB54_6
; %bb.1:
	s_load_dwordx4 s[0:3], s[4:5], 0x0
	s_mul_i32 s4, s9, s10
	s_add_i32 s4, s4, s7
	s_mul_i32 s4, s4, s11
	s_mul_i32 s16, s16, s13
	s_add_i32 s4, s4, s8
	s_add_i32 s4, s4, s16
	s_mul_i32 s5, s11, s17
	s_add_i32 s4, s4, s15
	s_lshl_b32 s5, s5, 13
	s_lshl_b32 s4, s4, 7
	s_add_i32 s5, s5, s4
	v_or_b32_e32 v1, s5, v0
	v_ashrrev_i32_e32 v2, 31, v1
	v_lshlrev_b64 v[1:2], 2, v[1:2]
	s_waitcnt lgkmcnt(0)
	v_mov_b32_e32 v3, s1
	v_add_co_u32_e32 v1, vcc, s0, v1
	v_addc_co_u32_e32 v2, vcc, v3, v2, vcc
	global_load_dword v8, v[1:2], off
	s_add_i32 s4, s7, s8
	s_mul_i32 s7, s14, s6
	s_add_i32 s5, s7, s14
	s_lshl_b32 s0, s5, 6
	s_add_i32 s0, s4, s0
	s_sub_i32 s0, s0, 64
	s_ashr_i32 s1, s0, 31
	s_lshl_b64 s[0:1], s[0:1], 3
	s_add_u32 s0, s2, s0
	s_addc_u32 s1, s3, s1
	s_load_dword s10, s[0:1], 0x4
	s_add_i32 s8, s5, -2
	s_cmp_lt_i32 s8, s7
	s_cbranch_scc1 .LBB54_4
; %bb.2:
	s_lshl_b32 s8, s12, 8
	s_ashr_i32 s9, s8, 31
	s_lshl_b64 s[8:9], s[8:9], 2
	s_add_u32 s8, s2, s8
	s_addc_u32 s11, s3, s9
	s_add_i32 s6, s6, 1
	s_add_i32 s9, s5, -1
	s_mul_i32 s5, s14, s6
	s_load_dword s0, s[0:1], 0x0
	s_lshl_b32 s1, s4, 7
	s_lshl_b32 s6, s5, 13
	s_add_i32 s1, s1, s6
	v_or_b32_e32 v0, s1, v0
	s_lshl_b32 s1, s5, 6
	s_add_i32 s1, s4, s1
	s_lshl_b32 s4, s12, 6
	s_add_i32 s1, s1, s4
	v_add_u32_e32 v3, 0xffffc000, v0
	s_add_i32 s4, s1, 0xffffff80
	s_waitcnt lgkmcnt(0)
	v_mov_b32_e32 v7, s10
	v_mov_b32_e32 v6, s0
	;; [unrolled: 1-line block ×3, first 2 shown]
	s_mov_b32 s6, 0x3fb8aa3b
	s_mov_b32 s10, 0xc2ce8ed0
	;; [unrolled: 1-line block ×3, first 2 shown]
	v_mov_b32_e32 v5, 0x7f800000
	s_mov_b32 s12, 0xc1a00000
.LBB54_3:                               ; =>This Inner Loop Header: Depth=1
	v_ashrrev_i32_e32 v4, 31, v3
	v_lshlrev_b64 v[9:10], 2, v[3:4]
	s_ashr_i32 s5, s4, 31
	v_add_co_u32_e32 v9, vcc, s8, v9
	v_addc_co_u32_e32 v10, vcc, v0, v10, vcc
	global_load_dword v4, v[9:10], off
	s_lshl_b64 s[0:1], s[4:5], 3
	s_add_u32 s0, s2, s0
	s_addc_u32 s1, s3, s1
	s_load_dwordx2 s[14:15], s[0:1], 0x0
	s_waitcnt vmcnt(1)
	v_mov_b32_e32 v9, v8
	v_max_f32_e32 v8, v6, v6
	v_mov_b32_e32 v10, v7
	s_add_i32 s9, s9, -1
	s_waitcnt lgkmcnt(0)
	v_max_f32_e64 v7, s14, s14
	v_max_f32_e32 v7, v8, v7
	v_sub_f32_e32 v11, s14, v7
	v_sub_f32_e32 v8, v6, v7
	v_mul_f32_e32 v12, 0x3fb8aa3b, v11
	v_mov_b32_e32 v6, v7
	v_mul_f32_e32 v7, 0x3fb8aa3b, v8
	v_fma_f32 v15, v11, s6, -v12
	v_rndne_f32_e32 v16, v12
	v_fma_f32 v13, v8, s6, -v7
	v_rndne_f32_e32 v14, v7
	v_fmac_f32_e32 v15, 0x32a5705f, v11
	v_sub_f32_e32 v12, v12, v16
	v_fmac_f32_e32 v13, 0x32a5705f, v8
	v_sub_f32_e32 v7, v7, v14
	v_add_f32_e32 v12, v12, v15
	v_cvt_i32_f32_e32 v16, v16
	v_add_f32_e32 v7, v7, v13
	v_exp_f32_e32 v12, v12
	v_cvt_i32_f32_e32 v14, v14
	v_exp_f32_e32 v7, v7
	v_cmp_ngt_f32_e32 vcc, s10, v11
	v_ldexp_f32 v12, v12, v16
	v_cmp_ngt_f32_e64 s[0:1], s10, v8
	v_ldexp_f32 v7, v7, v14
	v_cndmask_b32_e32 v12, 0, v12, vcc
	v_cmp_nlt_f32_e32 vcc, s11, v11
	v_cndmask_b32_e64 v7, 0, v7, s[0:1]
	v_cmp_nlt_f32_e64 s[0:1], s11, v8
	v_cndmask_b32_e32 v12, v5, v12, vcc
	v_cmp_le_f32_e32 vcc, s12, v11
	v_cndmask_b32_e64 v7, v5, v7, s[0:1]
	v_cmp_le_f32_e64 s[0:1], s12, v8
	v_cndmask_b32_e32 v8, 0, v12, vcc
	s_sub_i32 s4, s4, 64
	v_cndmask_b32_e64 v11, 0, v7, s[0:1]
	v_mul_f32_e32 v7, s15, v8
	v_add_u32_e32 v3, 0xffffe000, v3
	s_cmp_le_i32 s9, s7
	v_fmac_f32_e32 v7, v10, v11
	s_waitcnt vmcnt(0)
	v_mul_f32_e32 v8, v4, v8
	v_fmac_f32_e32 v8, v9, v11
	s_cbranch_scc0 .LBB54_3
	s_branch .LBB54_5
.LBB54_4:
	s_waitcnt lgkmcnt(0)
	v_mov_b32_e32 v7, s10
.LBB54_5:
	s_waitcnt vmcnt(0)
	v_div_scale_f32 v0, s[0:1], v7, v7, v8
	v_div_scale_f32 v3, vcc, v8, v7, v8
	v_rcp_f32_e32 v4, v0
	v_fma_f32 v5, -v0, v4, 1.0
	v_fmac_f32_e32 v4, v5, v4
	v_mul_f32_e32 v5, v3, v4
	v_fma_f32 v6, -v0, v5, v3
	v_fmac_f32_e32 v5, v6, v4
	v_fma_f32 v0, -v0, v5, v3
	v_div_fmas_f32 v0, v0, v4, v5
	v_div_fixup_f32 v0, v0, v7, v8
	global_store_dword v[1:2], v0, off
.LBB54_6:
	s_endpgm
	.section	.rodata,"a",@progbits
	.p2align	6, 0x0
	.amdhsa_kernel _ZL33flash_attn_stream_k_fixup_uniformILi128ELi64ELi1EEvPfPK15HIP_vector_typeIfLj2EEiiiiiiS1_IjLj3EES5_S5_
		.amdhsa_group_segment_fixed_size 0
		.amdhsa_private_segment_fixed_size 0
		.amdhsa_kernarg_size 76
		.amdhsa_user_sgpr_count 6
		.amdhsa_user_sgpr_private_segment_buffer 1
		.amdhsa_user_sgpr_dispatch_ptr 0
		.amdhsa_user_sgpr_queue_ptr 0
		.amdhsa_user_sgpr_kernarg_segment_ptr 1
		.amdhsa_user_sgpr_dispatch_id 0
		.amdhsa_user_sgpr_flat_scratch_init 0
		.amdhsa_user_sgpr_private_segment_size 0
		.amdhsa_uses_dynamic_stack 0
		.amdhsa_system_sgpr_private_segment_wavefront_offset 0
		.amdhsa_system_sgpr_workgroup_id_x 1
		.amdhsa_system_sgpr_workgroup_id_y 1
		.amdhsa_system_sgpr_workgroup_id_z 1
		.amdhsa_system_sgpr_workgroup_info 0
		.amdhsa_system_vgpr_workitem_id 0
		.amdhsa_next_free_vgpr 17
		.amdhsa_next_free_sgpr 20
		.amdhsa_reserve_vcc 1
		.amdhsa_reserve_flat_scratch 0
		.amdhsa_float_round_mode_32 0
		.amdhsa_float_round_mode_16_64 0
		.amdhsa_float_denorm_mode_32 3
		.amdhsa_float_denorm_mode_16_64 3
		.amdhsa_dx10_clamp 1
		.amdhsa_ieee_mode 1
		.amdhsa_fp16_overflow 0
		.amdhsa_exception_fp_ieee_invalid_op 0
		.amdhsa_exception_fp_denorm_src 0
		.amdhsa_exception_fp_ieee_div_zero 0
		.amdhsa_exception_fp_ieee_overflow 0
		.amdhsa_exception_fp_ieee_underflow 0
		.amdhsa_exception_fp_ieee_inexact 0
		.amdhsa_exception_int_div_zero 0
	.end_amdhsa_kernel
	.section	.text._ZL33flash_attn_stream_k_fixup_uniformILi128ELi64ELi1EEvPfPK15HIP_vector_typeIfLj2EEiiiiiiS1_IjLj3EES5_S5_,"axG",@progbits,_ZL33flash_attn_stream_k_fixup_uniformILi128ELi64ELi1EEvPfPK15HIP_vector_typeIfLj2EEiiiiiiS1_IjLj3EES5_S5_,comdat
.Lfunc_end54:
	.size	_ZL33flash_attn_stream_k_fixup_uniformILi128ELi64ELi1EEvPfPK15HIP_vector_typeIfLj2EEiiiiiiS1_IjLj3EES5_S5_, .Lfunc_end54-_ZL33flash_attn_stream_k_fixup_uniformILi128ELi64ELi1EEvPfPK15HIP_vector_typeIfLj2EEiiiiiiS1_IjLj3EES5_S5_
                                        ; -- End function
	.set _ZL33flash_attn_stream_k_fixup_uniformILi128ELi64ELi1EEvPfPK15HIP_vector_typeIfLj2EEiiiiiiS1_IjLj3EES5_S5_.num_vgpr, 17
	.set _ZL33flash_attn_stream_k_fixup_uniformILi128ELi64ELi1EEvPfPK15HIP_vector_typeIfLj2EEiiiiiiS1_IjLj3EES5_S5_.num_agpr, 0
	.set _ZL33flash_attn_stream_k_fixup_uniformILi128ELi64ELi1EEvPfPK15HIP_vector_typeIfLj2EEiiiiiiS1_IjLj3EES5_S5_.numbered_sgpr, 20
	.set _ZL33flash_attn_stream_k_fixup_uniformILi128ELi64ELi1EEvPfPK15HIP_vector_typeIfLj2EEiiiiiiS1_IjLj3EES5_S5_.num_named_barrier, 0
	.set _ZL33flash_attn_stream_k_fixup_uniformILi128ELi64ELi1EEvPfPK15HIP_vector_typeIfLj2EEiiiiiiS1_IjLj3EES5_S5_.private_seg_size, 0
	.set _ZL33flash_attn_stream_k_fixup_uniformILi128ELi64ELi1EEvPfPK15HIP_vector_typeIfLj2EEiiiiiiS1_IjLj3EES5_S5_.uses_vcc, 1
	.set _ZL33flash_attn_stream_k_fixup_uniformILi128ELi64ELi1EEvPfPK15HIP_vector_typeIfLj2EEiiiiiiS1_IjLj3EES5_S5_.uses_flat_scratch, 0
	.set _ZL33flash_attn_stream_k_fixup_uniformILi128ELi64ELi1EEvPfPK15HIP_vector_typeIfLj2EEiiiiiiS1_IjLj3EES5_S5_.has_dyn_sized_stack, 0
	.set _ZL33flash_attn_stream_k_fixup_uniformILi128ELi64ELi1EEvPfPK15HIP_vector_typeIfLj2EEiiiiiiS1_IjLj3EES5_S5_.has_recursion, 0
	.set _ZL33flash_attn_stream_k_fixup_uniformILi128ELi64ELi1EEvPfPK15HIP_vector_typeIfLj2EEiiiiiiS1_IjLj3EES5_S5_.has_indirect_call, 0
	.section	.AMDGPU.csdata,"",@progbits
; Kernel info:
; codeLenInByte = 840
; TotalNumSgprs: 24
; NumVgprs: 17
; ScratchSize: 0
; MemoryBound: 0
; FloatMode: 240
; IeeeMode: 1
; LDSByteSize: 0 bytes/workgroup (compile time only)
; SGPRBlocks: 2
; VGPRBlocks: 4
; NumSGPRsForWavesPerEU: 24
; NumVGPRsForWavesPerEU: 17
; Occupancy: 10
; WaveLimiterHint : 0
; COMPUTE_PGM_RSRC2:SCRATCH_EN: 0
; COMPUTE_PGM_RSRC2:USER_SGPR: 6
; COMPUTE_PGM_RSRC2:TRAP_HANDLER: 0
; COMPUTE_PGM_RSRC2:TGID_X_EN: 1
; COMPUTE_PGM_RSRC2:TGID_Y_EN: 1
; COMPUTE_PGM_RSRC2:TGID_Z_EN: 1
; COMPUTE_PGM_RSRC2:TIDIG_COMP_CNT: 0
	.section	.text._ZL33flash_attn_stream_k_fixup_generalILi128ELi64ELi1EEvPfPK15HIP_vector_typeIfLj2EEiiiiS1_IjLj3EES5_S5_S5_,"axG",@progbits,_ZL33flash_attn_stream_k_fixup_generalILi128ELi64ELi1EEvPfPK15HIP_vector_typeIfLj2EEiiiiS1_IjLj3EES5_S5_S5_,comdat
	.globl	_ZL33flash_attn_stream_k_fixup_generalILi128ELi64ELi1EEvPfPK15HIP_vector_typeIfLj2EEiiiiS1_IjLj3EES5_S5_S5_ ; -- Begin function _ZL33flash_attn_stream_k_fixup_generalILi128ELi64ELi1EEvPfPK15HIP_vector_typeIfLj2EEiiiiS1_IjLj3EES5_S5_S5_
	.p2align	8
	.type	_ZL33flash_attn_stream_k_fixup_generalILi128ELi64ELi1EEvPfPK15HIP_vector_typeIfLj2EEiiiiS1_IjLj3EES5_S5_S5_,@function
_ZL33flash_attn_stream_k_fixup_generalILi128ELi64ELi1EEvPfPK15HIP_vector_typeIfLj2EEiiiiS1_IjLj3EES5_S5_S5_: ; @_ZL33flash_attn_stream_k_fixup_generalILi128ELi64ELi1EEvPfPK15HIP_vector_typeIfLj2EEiiiiS1_IjLj3EES5_S5_S5_
; %bb.0:
	s_load_dwordx4 s[0:3], s[4:5], 0x10
	s_load_dword s22, s[4:5], 0x50
	s_mov_b32 s12, 0
	s_waitcnt lgkmcnt(0)
	s_mul_hi_i32 s13, s3, s6
	s_cmp_lg_u64 s[12:13], 0
	s_mul_i32 s9, s3, s6
	s_cbranch_scc0 .LBB55_20
; %bb.1:
	s_add_u32 s10, s22, 0
	s_addc_u32 s11, 0, 0
	s_xor_b64 s[10:11], s[10:11], 0
	v_cvt_f32_u32_e32 v1, s10
	v_cvt_f32_u32_e32 v2, s11
	s_sub_u32 s12, 0, s10
	s_subb_u32 s18, 0, s11
	v_madmk_f32 v1, v2, 0x4f800000, v1
	v_rcp_f32_e32 v1, v1
	v_mul_f32_e32 v1, 0x5f7ffffc, v1
	v_mul_f32_e32 v2, 0x2f800000, v1
	v_trunc_f32_e32 v2, v2
	v_madmk_f32 v1, v2, 0xcf800000, v1
	v_cvt_u32_f32_e32 v2, v2
	v_cvt_u32_f32_e32 v1, v1
	v_readfirstlane_b32 s19, v2
	v_readfirstlane_b32 s14, v1
	s_mul_i32 s15, s12, s19
	s_mul_hi_u32 s21, s12, s14
	s_mul_i32 s20, s18, s14
	s_add_i32 s15, s21, s15
	s_add_i32 s15, s15, s20
	s_mul_i32 s23, s12, s14
	s_mul_i32 s21, s14, s15
	s_mul_hi_u32 s24, s14, s23
	s_mul_hi_u32 s20, s14, s15
	s_add_u32 s21, s24, s21
	s_addc_u32 s20, 0, s20
	s_mul_hi_u32 s25, s19, s23
	s_mul_i32 s23, s19, s23
	s_add_u32 s21, s21, s23
	s_mul_hi_u32 s24, s19, s15
	s_addc_u32 s20, s20, s25
	s_addc_u32 s21, s24, 0
	s_mul_i32 s15, s19, s15
	s_add_u32 s15, s20, s15
	s_addc_u32 s20, 0, s21
	s_add_u32 s21, s14, s15
	s_cselect_b64 s[14:15], -1, 0
	s_cmp_lg_u64 s[14:15], 0
	s_addc_u32 s19, s19, s20
	s_mul_i32 s14, s12, s19
	s_mul_hi_u32 s15, s12, s21
	s_add_i32 s14, s15, s14
	s_mul_i32 s18, s18, s21
	s_add_i32 s14, s14, s18
	s_mul_i32 s12, s12, s21
	s_mul_hi_u32 s18, s19, s12
	s_mul_i32 s20, s19, s12
	s_mul_i32 s24, s21, s14
	s_mul_hi_u32 s12, s21, s12
	s_mul_hi_u32 s23, s21, s14
	s_add_u32 s12, s12, s24
	s_addc_u32 s23, 0, s23
	s_add_u32 s12, s12, s20
	s_mul_hi_u32 s15, s19, s14
	s_addc_u32 s12, s23, s18
	s_addc_u32 s15, s15, 0
	s_mul_i32 s14, s19, s14
	s_add_u32 s12, s12, s14
	s_addc_u32 s18, 0, s15
	s_add_u32 s20, s21, s12
	s_cselect_b64 s[14:15], -1, 0
	s_cmp_lg_u64 s[14:15], 0
	s_addc_u32 s18, s19, s18
	s_ashr_i32 s14, s13, 31
	s_add_u32 s12, s9, s14
	s_mov_b32 s15, s14
	s_addc_u32 s13, s13, s14
	s_xor_b64 s[12:13], s[12:13], s[14:15]
	s_mul_i32 s21, s12, s18
	s_mul_hi_u32 s23, s12, s20
	s_mul_hi_u32 s19, s12, s18
	s_add_u32 s21, s23, s21
	s_addc_u32 s19, 0, s19
	s_mul_hi_u32 s24, s13, s20
	s_mul_i32 s20, s13, s20
	s_add_u32 s20, s21, s20
	s_mul_hi_u32 s23, s13, s18
	s_addc_u32 s19, s19, s24
	s_addc_u32 s20, s23, 0
	s_mul_i32 s18, s13, s18
	s_add_u32 s23, s19, s18
	s_addc_u32 s24, 0, s20
	s_mul_i32 s18, s10, s24
	s_mul_hi_u32 s19, s10, s23
	s_add_i32 s18, s19, s18
	s_mul_i32 s19, s11, s23
	s_add_i32 s25, s18, s19
	s_sub_i32 s20, s13, s25
	s_mul_i32 s18, s10, s23
	s_sub_u32 s12, s12, s18
	s_cselect_b64 s[18:19], -1, 0
	s_cmp_lg_u64 s[18:19], 0
	s_subb_u32 s26, s20, s11
	s_sub_u32 s27, s12, s10
	s_cselect_b64 s[20:21], -1, 0
	s_cmp_lg_u64 s[20:21], 0
	s_subb_u32 s20, s26, 0
	s_cmp_ge_u32 s20, s11
	s_cselect_b32 s21, -1, 0
	s_cmp_ge_u32 s27, s10
	s_cselect_b32 s26, -1, 0
	s_cmp_eq_u32 s20, s11
	s_cselect_b32 s20, s26, s21
	s_add_u32 s21, s23, 1
	s_addc_u32 s26, s24, 0
	s_add_u32 s27, s23, 2
	s_addc_u32 s28, s24, 0
	s_cmp_lg_u32 s20, 0
	s_cselect_b32 s20, s27, s21
	s_cselect_b32 s21, s28, s26
	s_cmp_lg_u64 s[18:19], 0
	s_subb_u32 s13, s13, s25
	s_cmp_ge_u32 s13, s11
	s_cselect_b32 s18, -1, 0
	s_cmp_ge_u32 s12, s10
	s_cselect_b32 s10, -1, 0
	s_cmp_eq_u32 s13, s11
	s_cselect_b32 s10, s10, s18
	s_cmp_lg_u32 s10, 0
	s_cselect_b32 s11, s21, s24
	s_cselect_b32 s10, s20, s23
	s_xor_b64 s[12:13], s[14:15], 0
	s_xor_b64 s[10:11], s[10:11], s[12:13]
	s_sub_u32 s10, s10, s12
	s_load_dwordx4 s[12:15], s[4:5], 0x44
	s_cbranch_execnz .LBB55_3
.LBB55_2:
	v_cvt_f32_u32_e32 v1, s22
	s_sub_i32 s10, 0, s22
	v_rcp_iflag_f32_e32 v1, v1
	v_mul_f32_e32 v1, 0x4f7ffffe, v1
	v_cvt_u32_f32_e32 v1, v1
	v_readfirstlane_b32 s11, v1
	s_mul_i32 s10, s10, s11
	s_mul_hi_u32 s10, s11, s10
	s_add_i32 s11, s11, s10
	s_mul_hi_u32 s10, s9, s11
	s_waitcnt lgkmcnt(0)
	s_mul_i32 s15, s10, s22
	s_sub_i32 s9, s9, s15
	s_add_i32 s11, s10, 1
	s_sub_i32 s15, s9, s22
	s_cmp_ge_u32 s9, s22
	s_cselect_b32 s10, s11, s10
	s_cselect_b32 s9, s15, s9
	s_add_i32 s11, s10, 1
	s_cmp_ge_u32 s9, s22
	s_cselect_b32 s10, s11, s10
.LBB55_3:
	s_add_i32 s9, s6, 1
	s_mul_hi_i32 s21, s3, s9
	s_mov_b32 s20, 0
	s_cmp_lg_u64 s[20:21], 0
	s_mul_i32 s9, s3, s9
	s_cbranch_scc0 .LBB55_21
; %bb.4:
	s_add_u32 s16, s22, 0
	s_addc_u32 s17, 0, 0
	s_xor_b64 s[18:19], s[16:17], 0
	v_cvt_f32_u32_e32 v1, s18
	v_cvt_f32_u32_e32 v2, s19
	s_sub_u32 s11, 0, s18
	s_waitcnt lgkmcnt(0)
	s_subb_u32 s15, 0, s19
	v_madmk_f32 v1, v2, 0x4f800000, v1
	v_rcp_f32_e32 v1, v1
	v_mul_f32_e32 v1, 0x5f7ffffc, v1
	v_mul_f32_e32 v2, 0x2f800000, v1
	v_trunc_f32_e32 v2, v2
	v_madmk_f32 v1, v2, 0xcf800000, v1
	v_cvt_u32_f32_e32 v2, v2
	v_cvt_u32_f32_e32 v1, v1
	v_readfirstlane_b32 s20, v2
	v_readfirstlane_b32 s23, v1
	s_mul_i32 s24, s11, s20
	s_mul_hi_u32 s26, s11, s23
	s_mul_i32 s25, s15, s23
	s_add_i32 s24, s26, s24
	s_add_i32 s24, s24, s25
	s_mul_i32 s27, s11, s23
	s_mul_i32 s26, s23, s24
	s_mul_hi_u32 s28, s23, s27
	s_mul_hi_u32 s25, s23, s24
	s_add_u32 s26, s28, s26
	s_addc_u32 s25, 0, s25
	s_mul_hi_u32 s29, s20, s27
	s_mul_i32 s27, s20, s27
	s_add_u32 s26, s26, s27
	s_mul_hi_u32 s28, s20, s24
	s_addc_u32 s25, s25, s29
	s_addc_u32 s26, s28, 0
	s_mul_i32 s24, s20, s24
	s_add_u32 s24, s25, s24
	s_addc_u32 s26, 0, s26
	s_add_u32 s23, s23, s24
	s_cselect_b64 s[24:25], -1, 0
	s_cmp_lg_u64 s[24:25], 0
	s_addc_u32 s20, s20, s26
	s_mul_i32 s24, s11, s20
	s_mul_hi_u32 s25, s11, s23
	s_add_i32 s24, s25, s24
	s_mul_i32 s15, s15, s23
	s_add_i32 s24, s24, s15
	s_mul_i32 s11, s11, s23
	s_mul_hi_u32 s25, s20, s11
	s_mul_i32 s26, s20, s11
	s_mul_i32 s28, s23, s24
	s_mul_hi_u32 s11, s23, s11
	s_mul_hi_u32 s27, s23, s24
	s_add_u32 s11, s11, s28
	s_addc_u32 s27, 0, s27
	s_add_u32 s11, s11, s26
	s_mul_hi_u32 s15, s20, s24
	s_addc_u32 s11, s27, s25
	s_addc_u32 s15, s15, 0
	s_mul_i32 s24, s20, s24
	s_add_u32 s11, s11, s24
	s_addc_u32 s15, 0, s15
	s_add_u32 s11, s23, s11
	s_cselect_b64 s[24:25], -1, 0
	s_cmp_lg_u64 s[24:25], 0
	s_addc_u32 s15, s20, s15
	s_ashr_i32 s24, s21, 31
	s_add_u32 s20, s9, s24
	s_mov_b32 s25, s24
	s_addc_u32 s21, s21, s24
	s_xor_b64 s[20:21], s[20:21], s[24:25]
	s_mul_i32 s26, s20, s15
	s_mul_hi_u32 s27, s20, s11
	s_mul_hi_u32 s23, s20, s15
	s_add_u32 s26, s27, s26
	s_addc_u32 s23, 0, s23
	s_mul_hi_u32 s28, s21, s11
	s_mul_i32 s11, s21, s11
	s_add_u32 s11, s26, s11
	s_mul_hi_u32 s27, s21, s15
	s_addc_u32 s11, s23, s28
	s_addc_u32 s23, s27, 0
	s_mul_i32 s15, s21, s15
	s_add_u32 s11, s11, s15
	s_addc_u32 s15, 0, s23
	s_mul_i32 s23, s18, s15
	s_mul_hi_u32 s26, s18, s11
	s_add_i32 s23, s26, s23
	s_mul_i32 s26, s19, s11
	s_add_i32 s23, s23, s26
	s_sub_i32 s28, s21, s23
	s_mul_i32 s26, s18, s11
	s_sub_u32 s20, s20, s26
	s_cselect_b64 s[26:27], -1, 0
	s_cmp_lg_u64 s[26:27], 0
	s_subb_u32 s30, s28, s19
	s_sub_u32 s31, s20, s18
	s_cselect_b64 s[28:29], -1, 0
	s_cmp_lg_u64 s[28:29], 0
	s_subb_u32 s28, s30, 0
	s_cmp_ge_u32 s28, s19
	s_cselect_b32 s29, -1, 0
	s_cmp_ge_u32 s31, s18
	s_cselect_b32 s30, -1, 0
	s_cmp_eq_u32 s28, s19
	s_cselect_b32 s28, s30, s29
	s_add_u32 s29, s11, 1
	s_addc_u32 s30, s15, 0
	s_add_u32 s31, s11, 2
	s_addc_u32 s33, s15, 0
	s_cmp_lg_u32 s28, 0
	s_cselect_b32 s28, s31, s29
	s_cselect_b32 s29, s33, s30
	s_cmp_lg_u64 s[26:27], 0
	s_subb_u32 s21, s21, s23
	s_cmp_ge_u32 s21, s19
	s_cselect_b32 s23, -1, 0
	s_cmp_ge_u32 s20, s18
	s_cselect_b32 s18, -1, 0
	s_cmp_eq_u32 s21, s19
	s_cselect_b32 s18, s18, s23
	s_cmp_lg_u32 s18, 0
	s_cselect_b32 s19, s29, s15
	s_cselect_b32 s18, s28, s11
	s_xor_b64 s[20:21], s[24:25], 0
	s_xor_b64 s[18:19], s[18:19], s[20:21]
	s_sub_u32 s18, s18, s20
	s_cbranch_execnz .LBB55_6
.LBB55_5:
	v_cvt_f32_u32_e32 v1, s22
	s_sub_i32 s11, 0, s22
	v_rcp_iflag_f32_e32 v1, v1
	v_mul_f32_e32 v1, 0x4f7ffffe, v1
	v_cvt_u32_f32_e32 v1, v1
	s_waitcnt lgkmcnt(0)
	v_readfirstlane_b32 s15, v1
	s_mul_i32 s11, s11, s15
	s_mul_hi_u32 s11, s15, s11
	s_add_i32 s15, s15, s11
	s_mul_hi_u32 s11, s9, s15
	s_mul_i32 s16, s11, s22
	s_sub_i32 s9, s9, s16
	s_add_i32 s15, s11, 1
	s_sub_i32 s16, s9, s22
	s_cmp_ge_u32 s9, s22
	s_cselect_b32 s11, s15, s11
	s_cselect_b32 s9, s16, s9
	s_add_i32 s15, s11, 1
	s_cmp_ge_u32 s9, s22
	s_cselect_b32 s18, s15, s11
.LBB55_6:
	s_cmp_eq_u32 s10, s18
	s_waitcnt lgkmcnt(0)
	s_mul_hi_u32 s9, s10, s12
	s_cselect_b64 s[16:17], -1, 0
	s_add_i32 s9, s9, s10
	s_lshr_b32 s11, s9, s13
	s_mul_i32 s9, s11, s14
	s_cmp_eq_u32 s9, s10
	s_mul_hi_u32 s9, s18, s12
	s_cselect_b64 s[20:21], -1, 0
	s_add_i32 s9, s9, s18
	s_lshr_b32 s9, s9, s13
	s_cmp_eq_u32 s11, s9
	s_mul_i32 s9, s9, s14
	s_cselect_b64 s[24:25], -1, 0
	s_cmp_lg_u32 s9, s18
	s_cselect_b64 s[18:19], -1, 0
	s_and_b64 s[18:19], s[24:25], s[18:19]
	s_or_b64 s[16:17], s[16:17], s[20:21]
	s_or_b64 s[16:17], s[16:17], s[18:19]
	s_and_b64 vcc, exec, s[16:17]
	s_cbranch_vccnz .LBB55_23
; %bb.7:
	s_load_dwordx8 s[24:31], s[4:5], 0x20
	s_load_dword s15, s[4:5], 0x40
	s_waitcnt lgkmcnt(0)
	s_mul_hi_u32 s9, s10, s24
	s_add_i32 s9, s9, s10
	s_lshr_b32 s9, s9, s25
	s_mul_i32 s16, s9, s26
	s_sub_i32 s16, s10, s16
	s_mul_hi_u32 s17, s16, s27
	s_add_i32 s17, s16, s17
	s_lshr_b32 s24, s17, s28
	s_mul_i32 s17, s24, s29
	s_sub_i32 s16, s16, s17
	;; [unrolled: 5-line block ×3, first 2 shown]
	s_mul_hi_u32 s16, s15, s12
	s_add_i32 s15, s15, s16
	s_lshr_b32 s25, s15, s13
	s_lshl_b32 s15, s25, 6
	s_add_i32 s15, s15, s7
	s_cmp_lt_i32 s15, s0
	s_cselect_b64 s[16:17], -1, 0
	s_add_i32 s15, s23, s8
	s_cmp_lt_i32 s15, s2
	s_cselect_b64 s[18:19], -1, 0
	s_and_b64 s[16:17], s[16:17], s[18:19]
	s_andn2_b64 vcc, exec, s[16:17]
	s_cbranch_vccnz .LBB55_23
; %bb.8:
	s_load_dwordx4 s[16:19], s[4:5], 0x0
	s_mov_b32 s4, 0
	s_lshl_b32 s20, s22, 8
	s_mov_b32 s21, s4
	s_add_i32 s15, s7, s8
	s_lshl_b64 s[20:21], s[20:21], 2
	s_waitcnt lgkmcnt(0)
	s_add_u32 s20, s18, s20
	s_mul_i32 s0, s9, s0
	s_addc_u32 s21, s19, s21
	s_add_i32 s0, s0, s7
	s_mul_i32 s0, s0, s1
	s_mul_i32 s24, s24, s2
	s_add_i32 s0, s0, s8
	s_add_i32 s0, s0, s24
	s_mul_i32 s2, s1, s25
	s_add_i32 s0, s0, s23
	s_lshl_b32 s2, s2, 13
	s_lshl_b32 s0, s0, 7
	s_add_i32 s2, s2, s0
	v_or_b32_e32 v1, s2, v0
	v_ashrrev_i32_e32 v2, 31, v1
	v_lshlrev_b64 v[1:2], 2, v[1:2]
	v_mov_b32_e32 v3, s17
	v_add_co_u32_e32 v1, vcc, s16, v1
	v_addc_co_u32_e32 v2, vcc, v3, v2, vcc
	global_load_dword v3, v[1:2], off
	v_cvt_f32_u32_e32 v4, s22
	s_lshl_b32 s0, s6, 6
	s_add_i32 s0, s0, s15
	s_ashr_i32 s1, s0, 31
	s_lshl_b64 s[0:1], s[0:1], 3
	v_rcp_iflag_f32_e32 v4, v4
	s_add_u32 s0, s18, s0
	s_addc_u32 s1, s19, s1
	s_load_dwordx2 s[0:1], s[0:1], 0x0
	v_mul_f32_e32 v4, 0x4f7ffffe, v4
	v_cvt_u32_f32_e32 v4, v4
	s_add_i32 s24, s6, -1
	v_lshl_or_b32 v0, s15, 7, v0
	s_waitcnt lgkmcnt(0)
	v_mov_b32_e32 v6, s1
	v_mov_b32_e32 v7, s0
	s_mov_b32 s2, 0x3fb8aa3b
	s_mov_b32 s16, 0xc2ce8ed0
	;; [unrolled: 1-line block ×4, first 2 shown]
	v_mov_b32_e32 v5, 0x7f800000
	s_mul_hi_i32 s5, s24, s3
	s_cmp_lg_u64 s[4:5], 0
	s_mul_i32 s8, s24, s3
	s_cbranch_scc0 .LBB55_19
.LBB55_9:
	s_add_u32 s0, s22, 0
	s_addc_u32 s1, 0, 0
	s_xor_b64 s[0:1], s[0:1], 0
	v_cvt_f32_u32_e32 v8, s0
	v_cvt_f32_u32_e32 v9, s1
	s_sub_u32 s9, 0, s0
	s_subb_u32 s25, 0, s1
	v_mac_f32_e32 v8, 0x4f800000, v9
	v_rcp_f32_e32 v8, v8
	v_mul_f32_e32 v8, 0x5f7ffffc, v8
	v_mul_f32_e32 v9, 0x2f800000, v8
	v_trunc_f32_e32 v9, v9
	v_mac_f32_e32 v8, 0xcf800000, v9
	v_cvt_u32_f32_e32 v9, v9
	v_cvt_u32_f32_e32 v8, v8
	v_readfirstlane_b32 s26, v9
	v_readfirstlane_b32 s6, v8
	s_mul_i32 s7, s9, s26
	s_mul_hi_u32 s28, s9, s6
	s_mul_i32 s27, s25, s6
	s_add_i32 s7, s28, s7
	s_mul_i32 s29, s9, s6
	s_add_i32 s7, s7, s27
	s_mul_i32 s28, s6, s7
	s_mul_hi_u32 s30, s6, s29
	s_mul_hi_u32 s27, s6, s7
	s_add_u32 s28, s30, s28
	s_addc_u32 s27, 0, s27
	s_mul_hi_u32 s31, s26, s29
	s_mul_i32 s29, s26, s29
	s_add_u32 s28, s28, s29
	s_mul_hi_u32 s30, s26, s7
	s_addc_u32 s27, s27, s31
	s_addc_u32 s28, s30, 0
	s_mul_i32 s7, s26, s7
	s_add_u32 s7, s27, s7
	s_addc_u32 s27, 0, s28
	s_add_u32 s28, s6, s7
	s_cselect_b64 s[6:7], -1, 0
	s_cmp_lg_u64 s[6:7], 0
	s_addc_u32 s26, s26, s27
	s_mul_i32 s6, s9, s26
	s_mul_hi_u32 s7, s9, s28
	s_add_i32 s6, s7, s6
	s_mul_i32 s25, s25, s28
	s_add_i32 s6, s6, s25
	s_mul_i32 s9, s9, s28
	s_mul_hi_u32 s25, s26, s9
	s_mul_i32 s27, s26, s9
	s_mul_i32 s30, s28, s6
	s_mul_hi_u32 s9, s28, s9
	s_mul_hi_u32 s29, s28, s6
	s_add_u32 s9, s9, s30
	s_addc_u32 s29, 0, s29
	s_add_u32 s9, s9, s27
	s_mul_hi_u32 s7, s26, s6
	s_addc_u32 s9, s29, s25
	s_addc_u32 s7, s7, 0
	s_mul_i32 s6, s26, s6
	s_add_u32 s6, s9, s6
	s_addc_u32 s9, 0, s7
	s_add_u32 s25, s28, s6
	s_cselect_b64 s[6:7], -1, 0
	s_cmp_lg_u64 s[6:7], 0
	s_addc_u32 s9, s26, s9
	s_ashr_i32 s6, s5, 31
	s_add_u32 s26, s8, s6
	s_mov_b32 s7, s6
	s_addc_u32 s27, s5, s6
	s_xor_b64 s[26:27], s[26:27], s[6:7]
	s_mul_i32 s28, s26, s9
	s_mul_hi_u32 s29, s26, s25
	s_mul_hi_u32 s5, s26, s9
	s_add_u32 s28, s29, s28
	s_addc_u32 s5, 0, s5
	s_mul_hi_u32 s30, s27, s25
	s_mul_i32 s25, s27, s25
	s_add_u32 s25, s28, s25
	s_mul_hi_u32 s29, s27, s9
	s_addc_u32 s5, s5, s30
	s_addc_u32 s25, s29, 0
	s_mul_i32 s9, s27, s9
	s_add_u32 s5, s5, s9
	s_addc_u32 s9, 0, s25
	s_mul_i32 s25, s0, s9
	s_mul_hi_u32 s28, s0, s5
	s_add_i32 s25, s28, s25
	s_mul_i32 s28, s1, s5
	s_add_i32 s25, s25, s28
	s_sub_i32 s30, s27, s25
	s_mul_i32 s28, s0, s5
	s_sub_u32 s26, s26, s28
	s_cselect_b64 s[28:29], -1, 0
	s_cmp_lg_u64 s[28:29], 0
	s_subb_u32 s33, s30, s1
	s_sub_u32 s34, s26, s0
	s_cselect_b64 s[30:31], -1, 0
	s_cmp_lg_u64 s[30:31], 0
	s_subb_u32 s30, s33, 0
	s_cmp_ge_u32 s30, s1
	s_cselect_b32 s31, -1, 0
	s_cmp_ge_u32 s34, s0
	s_cselect_b32 s33, -1, 0
	s_cmp_eq_u32 s30, s1
	s_cselect_b32 s30, s33, s31
	s_add_u32 s31, s5, 1
	s_addc_u32 s33, s9, 0
	s_add_u32 s34, s5, 2
	s_addc_u32 s35, s9, 0
	s_cmp_lg_u32 s30, 0
	s_cselect_b32 s30, s34, s31
	s_cselect_b32 s31, s35, s33
	s_cmp_lg_u64 s[28:29], 0
	s_subb_u32 s25, s27, s25
	s_cmp_ge_u32 s25, s1
	s_cselect_b32 s27, -1, 0
	s_cmp_ge_u32 s26, s0
	s_cselect_b32 s0, -1, 0
	s_cmp_eq_u32 s25, s1
	s_cselect_b32 s0, s0, s27
	s_cmp_lg_u32 s0, 0
	s_cselect_b32 s1, s31, s9
	s_cselect_b32 s0, s30, s5
	s_xor_b64 s[6:7], s[6:7], 0
	s_xor_b64 s[0:1], s[0:1], s[6:7]
	s_sub_u32 s6, s0, s6
	s_cbranch_execnz .LBB55_11
.LBB55_10:
	s_sub_i32 s0, 0, s22
	v_readfirstlane_b32 s1, v4
	s_mul_i32 s0, s0, s1
	s_mul_hi_u32 s0, s1, s0
	s_add_i32 s1, s1, s0
	s_mul_hi_u32 s0, s8, s1
	s_mul_i32 s5, s0, s22
	s_sub_i32 s5, s8, s5
	s_add_i32 s1, s0, 1
	s_sub_i32 s6, s5, s22
	s_cmp_ge_u32 s5, s22
	s_cselect_b32 s0, s1, s0
	s_cselect_b32 s5, s6, s5
	s_add_i32 s1, s0, 1
	s_cmp_ge_u32 s5, s22
	s_cselect_b32 s6, s1, s0
.LBB55_11:
	s_cmp_lg_u32 s10, s6
	s_mov_b64 s[8:9], -1
                                        ; implicit-def: $sgpr0_sgpr1
                                        ; implicit-def: $vgpr10
                                        ; implicit-def: $vgpr8
                                        ; implicit-def: $vgpr9
                                        ; implicit-def: $sgpr5
                                        ; implicit-def: $sgpr7
	s_cbranch_scc1 .LBB55_14
; %bb.12:
	s_andn2_b64 vcc, exec, s[8:9]
	s_cbranch_vccz .LBB55_17
.LBB55_13:
	s_andn2_b64 vcc, exec, s[0:1]
	s_cbranch_vccnz .LBB55_18
	s_branch .LBB55_22
.LBB55_14:
	s_add_i32 s0, s24, s22
	s_lshl_b32 s0, s0, 6
	s_add_i32 s0, s0, s15
	s_mov_b32 s1, s4
	s_lshl_b64 s[0:1], s[0:1], 3
	s_add_u32 s8, s18, s0
	s_mul_hi_u32 s0, s6, s12
	s_addc_u32 s9, s19, s1
	s_add_i32 s0, s0, s6
	s_lshr_b32 s5, s0, s13
	s_mul_i32 s0, s5, s14
	s_cmp_eq_u32 s0, s6
	s_cselect_b64 s[0:1], -1, 0
	s_cmp_lt_u32 s5, s11
	s_cselect_b64 s[26:27], -1, 0
	s_or_b64 s[26:27], s[26:27], s[0:1]
	s_mov_b64 s[0:1], -1
	s_and_b64 vcc, exec, s[26:27]
	s_mov_b32 s5, s24
	s_mov_b32 s7, s10
	s_cbranch_vccnz .LBB55_16
; %bb.15:
	s_add_i32 s5, s24, -1
	s_mov_b64 s[0:1], 0
	s_mov_b32 s7, s6
.LBB55_16:
	v_lshl_add_u32 v8, s24, 13, v0
	v_ashrrev_i32_e32 v9, 31, v8
	v_lshlrev_b64 v[8:9], 2, v[8:9]
	v_mov_b32_e32 v10, s21
	v_add_co_u32_e32 v8, vcc, s20, v8
	v_addc_co_u32_e32 v9, vcc, v10, v9, vcc
	global_load_dword v10, v[8:9], off
	s_load_dwordx2 s[8:9], s[8:9], 0x0
	v_max_f32_e32 v8, v7, v7
	s_waitcnt lgkmcnt(0)
	v_max_f32_e64 v9, s8, s8
	v_max_f32_e32 v8, v8, v9
	v_sub_f32_e32 v9, v7, v8
	v_sub_f32_e32 v11, s8, v8
	v_mul_f32_e32 v12, 0x3fb8aa3b, v9
	v_mul_f32_e32 v13, 0x3fb8aa3b, v11
	v_fma_f32 v14, v9, s2, -v12
	v_rndne_f32_e32 v15, v12
	v_fma_f32 v16, v11, s2, -v13
	v_rndne_f32_e32 v17, v13
	v_fmac_f32_e32 v14, 0x32a5705f, v9
	v_sub_f32_e32 v12, v12, v15
	v_fmac_f32_e32 v16, 0x32a5705f, v11
	v_sub_f32_e32 v13, v13, v17
	v_add_f32_e32 v12, v12, v14
	v_cvt_i32_f32_e32 v15, v15
	v_add_f32_e32 v13, v13, v16
	v_exp_f32_e32 v12, v12
	v_cvt_i32_f32_e32 v17, v17
	v_exp_f32_e32 v13, v13
	v_cmp_ngt_f32_e32 vcc, s16, v9
	v_ldexp_f32 v12, v12, v15
	v_cndmask_b32_e32 v12, 0, v12, vcc
	v_ldexp_f32 v13, v13, v17
	v_cmp_ngt_f32_e32 vcc, s16, v11
	v_cndmask_b32_e32 v13, 0, v13, vcc
	v_cmp_nlt_f32_e32 vcc, s17, v9
	v_cndmask_b32_e32 v12, v5, v12, vcc
	v_cmp_nlt_f32_e32 vcc, s17, v11
	v_cndmask_b32_e32 v13, v5, v13, vcc
	v_cmp_le_f32_e32 vcc, s23, v9
	v_cndmask_b32_e32 v12, 0, v12, vcc
	v_cmp_le_f32_e32 vcc, s23, v11
	v_cndmask_b32_e32 v11, 0, v13, vcc
	v_mul_f32_e32 v9, s9, v11
	v_fmac_f32_e32 v9, v6, v12
	s_waitcnt vmcnt(0)
	v_mul_f32_e32 v10, v10, v11
	v_fmac_f32_e32 v10, v3, v12
	s_cbranch_execnz .LBB55_13
.LBB55_17:
	s_add_i32 s5, s24, -1
	s_mov_b32 s7, s10
	v_mov_b32_e32 v9, v6
	v_mov_b32_e32 v8, v7
	s_waitcnt vmcnt(0)
	v_mov_b32_e32 v10, v3
	s_cbranch_execz .LBB55_22
.LBB55_18:
	s_mov_b32 s10, s7
	s_mov_b32 s24, s5
	v_mov_b32_e32 v6, v9
	v_mov_b32_e32 v7, v8
	s_waitcnt vmcnt(0)
	v_mov_b32_e32 v3, v10
	s_mul_hi_i32 s5, s24, s3
	s_cmp_lg_u64 s[4:5], 0
	s_mul_i32 s8, s24, s3
	s_cbranch_scc1 .LBB55_9
.LBB55_19:
                                        ; implicit-def: $sgpr6_sgpr7
	s_branch .LBB55_10
.LBB55_20:
                                        ; implicit-def: $sgpr10_sgpr11
	s_load_dwordx4 s[12:15], s[4:5], 0x44
	s_branch .LBB55_2
.LBB55_21:
                                        ; implicit-def: $sgpr18_sgpr19
	s_branch .LBB55_5
.LBB55_22:
	v_div_scale_f32 v0, s[0:1], v9, v9, v10
	s_waitcnt vmcnt(0)
	v_div_scale_f32 v3, vcc, v10, v9, v10
	v_rcp_f32_e32 v4, v0
	v_fma_f32 v5, -v0, v4, 1.0
	v_fmac_f32_e32 v4, v5, v4
	v_mul_f32_e32 v5, v3, v4
	v_fma_f32 v6, -v0, v5, v3
	v_fmac_f32_e32 v5, v6, v4
	v_fma_f32 v0, -v0, v5, v3
	v_div_fmas_f32 v0, v0, v4, v5
	v_div_fixup_f32 v0, v0, v9, v10
	global_store_dword v[1:2], v0, off
.LBB55_23:
	s_endpgm
	.section	.rodata,"a",@progbits
	.p2align	6, 0x0
	.amdhsa_kernel _ZL33flash_attn_stream_k_fixup_generalILi128ELi64ELi1EEvPfPK15HIP_vector_typeIfLj2EEiiiiS1_IjLj3EES5_S5_S5_
		.amdhsa_group_segment_fixed_size 0
		.amdhsa_private_segment_fixed_size 0
		.amdhsa_kernarg_size 336
		.amdhsa_user_sgpr_count 6
		.amdhsa_user_sgpr_private_segment_buffer 1
		.amdhsa_user_sgpr_dispatch_ptr 0
		.amdhsa_user_sgpr_queue_ptr 0
		.amdhsa_user_sgpr_kernarg_segment_ptr 1
		.amdhsa_user_sgpr_dispatch_id 0
		.amdhsa_user_sgpr_flat_scratch_init 0
		.amdhsa_user_sgpr_private_segment_size 0
		.amdhsa_uses_dynamic_stack 0
		.amdhsa_system_sgpr_private_segment_wavefront_offset 0
		.amdhsa_system_sgpr_workgroup_id_x 1
		.amdhsa_system_sgpr_workgroup_id_y 1
		.amdhsa_system_sgpr_workgroup_id_z 1
		.amdhsa_system_sgpr_workgroup_info 0
		.amdhsa_system_vgpr_workitem_id 0
		.amdhsa_next_free_vgpr 18
		.amdhsa_next_free_sgpr 36
		.amdhsa_reserve_vcc 1
		.amdhsa_reserve_flat_scratch 0
		.amdhsa_float_round_mode_32 0
		.amdhsa_float_round_mode_16_64 0
		.amdhsa_float_denorm_mode_32 3
		.amdhsa_float_denorm_mode_16_64 3
		.amdhsa_dx10_clamp 1
		.amdhsa_ieee_mode 1
		.amdhsa_fp16_overflow 0
		.amdhsa_exception_fp_ieee_invalid_op 0
		.amdhsa_exception_fp_denorm_src 0
		.amdhsa_exception_fp_ieee_div_zero 0
		.amdhsa_exception_fp_ieee_overflow 0
		.amdhsa_exception_fp_ieee_underflow 0
		.amdhsa_exception_fp_ieee_inexact 0
		.amdhsa_exception_int_div_zero 0
	.end_amdhsa_kernel
	.section	.text._ZL33flash_attn_stream_k_fixup_generalILi128ELi64ELi1EEvPfPK15HIP_vector_typeIfLj2EEiiiiS1_IjLj3EES5_S5_S5_,"axG",@progbits,_ZL33flash_attn_stream_k_fixup_generalILi128ELi64ELi1EEvPfPK15HIP_vector_typeIfLj2EEiiiiS1_IjLj3EES5_S5_S5_,comdat
.Lfunc_end55:
	.size	_ZL33flash_attn_stream_k_fixup_generalILi128ELi64ELi1EEvPfPK15HIP_vector_typeIfLj2EEiiiiS1_IjLj3EES5_S5_S5_, .Lfunc_end55-_ZL33flash_attn_stream_k_fixup_generalILi128ELi64ELi1EEvPfPK15HIP_vector_typeIfLj2EEiiiiS1_IjLj3EES5_S5_S5_
                                        ; -- End function
	.set _ZL33flash_attn_stream_k_fixup_generalILi128ELi64ELi1EEvPfPK15HIP_vector_typeIfLj2EEiiiiS1_IjLj3EES5_S5_S5_.num_vgpr, 18
	.set _ZL33flash_attn_stream_k_fixup_generalILi128ELi64ELi1EEvPfPK15HIP_vector_typeIfLj2EEiiiiS1_IjLj3EES5_S5_S5_.num_agpr, 0
	.set _ZL33flash_attn_stream_k_fixup_generalILi128ELi64ELi1EEvPfPK15HIP_vector_typeIfLj2EEiiiiS1_IjLj3EES5_S5_S5_.numbered_sgpr, 36
	.set _ZL33flash_attn_stream_k_fixup_generalILi128ELi64ELi1EEvPfPK15HIP_vector_typeIfLj2EEiiiiS1_IjLj3EES5_S5_S5_.num_named_barrier, 0
	.set _ZL33flash_attn_stream_k_fixup_generalILi128ELi64ELi1EEvPfPK15HIP_vector_typeIfLj2EEiiiiS1_IjLj3EES5_S5_S5_.private_seg_size, 0
	.set _ZL33flash_attn_stream_k_fixup_generalILi128ELi64ELi1EEvPfPK15HIP_vector_typeIfLj2EEiiiiS1_IjLj3EES5_S5_S5_.uses_vcc, 1
	.set _ZL33flash_attn_stream_k_fixup_generalILi128ELi64ELi1EEvPfPK15HIP_vector_typeIfLj2EEiiiiS1_IjLj3EES5_S5_S5_.uses_flat_scratch, 0
	.set _ZL33flash_attn_stream_k_fixup_generalILi128ELi64ELi1EEvPfPK15HIP_vector_typeIfLj2EEiiiiS1_IjLj3EES5_S5_S5_.has_dyn_sized_stack, 0
	.set _ZL33flash_attn_stream_k_fixup_generalILi128ELi64ELi1EEvPfPK15HIP_vector_typeIfLj2EEiiiiS1_IjLj3EES5_S5_S5_.has_recursion, 0
	.set _ZL33flash_attn_stream_k_fixup_generalILi128ELi64ELi1EEvPfPK15HIP_vector_typeIfLj2EEiiiiS1_IjLj3EES5_S5_S5_.has_indirect_call, 0
	.section	.AMDGPU.csdata,"",@progbits
; Kernel info:
; codeLenInByte = 2932
; TotalNumSgprs: 40
; NumVgprs: 18
; ScratchSize: 0
; MemoryBound: 0
; FloatMode: 240
; IeeeMode: 1
; LDSByteSize: 0 bytes/workgroup (compile time only)
; SGPRBlocks: 4
; VGPRBlocks: 4
; NumSGPRsForWavesPerEU: 40
; NumVGPRsForWavesPerEU: 18
; Occupancy: 10
; WaveLimiterHint : 0
; COMPUTE_PGM_RSRC2:SCRATCH_EN: 0
; COMPUTE_PGM_RSRC2:USER_SGPR: 6
; COMPUTE_PGM_RSRC2:TRAP_HANDLER: 0
; COMPUTE_PGM_RSRC2:TGID_X_EN: 1
; COMPUTE_PGM_RSRC2:TGID_Y_EN: 1
; COMPUTE_PGM_RSRC2:TGID_Z_EN: 1
; COMPUTE_PGM_RSRC2:TIDIG_COMP_CNT: 0
	.section	.text._ZL15flash_attn_tileILi128ELi128ELi32ELi1ELb0EEvPKcS1_S1_S1_S1_PKiPfP15HIP_vector_typeIfLj2EEffffjfiS5_IjLj3EEiiiiiiiiiiiliiliiiiil,"axG",@progbits,_ZL15flash_attn_tileILi128ELi128ELi32ELi1ELb0EEvPKcS1_S1_S1_S1_PKiPfP15HIP_vector_typeIfLj2EEffffjfiS5_IjLj3EEiiiiiiiiiiiliiliiiiil,comdat
	.globl	_ZL15flash_attn_tileILi128ELi128ELi32ELi1ELb0EEvPKcS1_S1_S1_S1_PKiPfP15HIP_vector_typeIfLj2EEffffjfiS5_IjLj3EEiiiiiiiiiiiliiliiiiil ; -- Begin function _ZL15flash_attn_tileILi128ELi128ELi32ELi1ELb0EEvPKcS1_S1_S1_S1_PKiPfP15HIP_vector_typeIfLj2EEffffjfiS5_IjLj3EEiiiiiiiiiiiliiliiiiil
	.p2align	8
	.type	_ZL15flash_attn_tileILi128ELi128ELi32ELi1ELb0EEvPKcS1_S1_S1_S1_PKiPfP15HIP_vector_typeIfLj2EEffffjfiS5_IjLj3EEiiiiiiiiiiiliiliiiiil,@function
_ZL15flash_attn_tileILi128ELi128ELi32ELi1ELb0EEvPKcS1_S1_S1_S1_PKiPfP15HIP_vector_typeIfLj2EEffffjfiS5_IjLj3EEiiiiiiiiiiiliiliiiiil: ; @_ZL15flash_attn_tileILi128ELi128ELi32ELi1ELb0EEvPKcS1_S1_S1_S1_PKiPfP15HIP_vector_typeIfLj2EEffffjfiS5_IjLj3EEiiiiiiiiiiiliiliiiiil
; %bb.0:
	s_load_dwordx4 s[28:31], s[4:5], 0x5c
	s_load_dwordx2 s[46:47], s[4:5], 0x80
	s_add_u32 flat_scratch_lo, s6, s11
	s_addc_u32 flat_scratch_hi, s7, 0
	s_add_u32 s0, s0, s11
	s_waitcnt lgkmcnt(0)
	v_cvt_f32_u32_e32 v2, s31
	s_addc_u32 s1, s1, 0
	s_sub_i32 s6, 0, s31
	s_load_dwordx2 s[48:49], s[4:5], 0xb8
	v_rcp_iflag_f32_e32 v2, v2
	s_mov_b64 s[44:45], 0
	v_mul_f32_e32 v2, 0x4f7ffffe, v2
	v_cvt_u32_f32_e32 v2, v2
	v_readfirstlane_b32 s7, v2
	s_mul_i32 s6, s6, s7
	s_mul_hi_u32 s6, s7, s6
	s_add_i32 s7, s7, s6
	s_mul_hi_u32 s6, s10, s7
	s_mul_i32 s7, s6, s31
	s_sub_i32 s7, s10, s7
	s_add_i32 s11, s6, 1
	s_sub_i32 s12, s7, s31
	s_cmp_ge_u32 s7, s31
	s_cselect_b32 s6, s11, s6
	s_cselect_b32 s7, s12, s7
	s_add_i32 s11, s6, 1
	s_cmp_ge_u32 s7, s31
	s_cselect_b32 s33, s11, s6
	s_abs_i32 s6, s47
	v_cvt_f32_u32_e32 v2, s6
	s_mul_i32 s12, s33, s31
	s_sub_i32 s13, 0, s6
	s_sub_i32 s34, s10, s12
	v_rcp_iflag_f32_e32 v2, v2
	s_abs_i32 s11, s31
	s_xor_b32 s7, s31, s47
	s_ashr_i32 s7, s7, 31
	v_mul_f32_e32 v2, 0x4f7ffffe, v2
	v_cvt_u32_f32_e32 v2, v2
	v_readfirstlane_b32 s10, v2
	s_mul_i32 s13, s13, s10
	s_mul_hi_u32 s12, s10, s13
	s_add_i32 s10, s10, s12
	s_mul_hi_u32 s10, s11, s10
	s_mul_i32 s12, s10, s6
	s_sub_i32 s11, s11, s12
	s_add_i32 s13, s10, 1
	s_sub_i32 s12, s11, s6
	s_cmp_ge_u32 s11, s6
	s_cselect_b32 s10, s13, s10
	s_cselect_b32 s11, s12, s11
	s_add_i32 s12, s10, 1
	s_cmp_ge_u32 s11, s6
	s_cselect_b32 s6, s12, s10
	s_xor_b32 s6, s6, s7
	s_sub_i32 s51, s6, s7
	s_abs_i32 s47, s51
	v_cvt_f32_u32_e32 v2, s47
	s_load_dwordx16 s[12:27], s[4:5], 0x0
	s_sub_i32 s6, 0, s47
	s_abs_i32 s50, s34
	v_rcp_iflag_f32_e32 v2, v2
	v_mul_f32_e32 v2, 0x4f7ffffe, v2
	v_cvt_u32_f32_e32 v2, v2
	v_readfirstlane_b32 s7, v2
	s_mul_i32 s6, s6, s7
	s_mul_hi_u32 s6, s7, s6
	s_add_i32 s6, s7, s6
	s_waitcnt lgkmcnt(0)
	s_cmp_eq_u64 s[18:19], 0
	s_cbranch_scc1 .LBB56_2
; %bb.1:
	s_abs_i32 s7, s48
	v_cvt_f32_u32_e32 v2, s7
	s_sub_i32 s37, 0, s7
	s_abs_i32 s36, s33
	s_ashr_i32 s35, s33, 31
	v_rcp_iflag_f32_e32 v2, v2
	s_load_dwordx2 s[10:11], s[4:5], 0xc8
	v_mul_f32_e32 v2, 0x4f7ffffe, v2
	v_cvt_u32_f32_e32 v2, v2
	v_readfirstlane_b32 s38, v2
	s_mul_i32 s37, s37, s38
	s_mul_hi_u32 s37, s38, s37
	s_add_i32 s38, s38, s37
	s_mul_hi_u32 s37, s36, s38
	s_mul_i32 s37, s37, s7
	s_sub_i32 s36, s36, s37
	s_sub_i32 s37, s36, s7
	s_cmp_ge_u32 s36, s7
	s_cselect_b32 s36, s37, s36
	s_sub_i32 s37, s36, s7
	s_cmp_ge_u32 s36, s7
	s_cselect_b32 s7, s37, s36
	s_xor_b32 s7, s7, s35
	s_sub_i32 s7, s7, s35
	s_ashr_i32 s35, s7, 31
	s_waitcnt lgkmcnt(0)
	s_mul_hi_u32 s36, s10, s7
	s_mul_i32 s35, s10, s35
	s_mul_i32 s11, s11, s7
	s_add_i32 s35, s36, s35
	s_add_i32 s35, s35, s11
	s_mul_i32 s7, s10, s7
	s_add_u32 s44, s18, s7
	s_addc_u32 s45, s19, s35
.LBB56_2:
	s_load_dwordx4 s[36:39], s[4:5], 0x40
	s_mul_hi_u32 s19, s50, s6
	s_load_dword s6, s[4:5], 0x50
	v_mov_b32_e32 v26, 1.0
	s_waitcnt lgkmcnt(0)
	v_cmp_le_f32_e64 s[10:11], s37, 0
	s_and_b64 vcc, exec, s[10:11]
	s_cbranch_vccnz .LBB56_4
; %bb.3:
	v_mov_b32_e32 v2, s6
	v_sub_co_u32_e32 v2, vcc, s34, v2
	v_mov_b32_e32 v3, s39
	v_mov_b32_e32 v4, s38
	s_add_i32 s6, s34, 1
	v_lshlrev_b32_e32 v2, 1, v2
	v_cndmask_b32_e32 v3, v3, v4, vcc
	v_or_b32_e32 v2, 1, v2
	v_mov_b32_e32 v4, s6
	v_cndmask_b32_e32 v2, v2, v4, vcc
	v_cvt_f32_i32_e32 v2, v2
	v_cmp_neq_f32_e32 vcc, 1.0, v3
	s_mov_b32 s6, 0x3f2aaaab
	s_movk_i32 s10, 0x204
	v_cndmask_b32_e32 v4, 1.0, v2, vcc
	v_cmp_neq_f32_e32 vcc, 0, v4
	v_cndmask_b32_e32 v5, 1.0, v3, vcc
	v_frexp_mant_f32_e64 v2, |v5|
	v_cmp_gt_f32_e32 vcc, s6, v2
	v_cndmask_b32_e64 v3, 1.0, 2.0, vcc
	v_mul_f32_e32 v2, v2, v3
	v_add_f32_e32 v3, 1.0, v2
	v_rcp_f32_e32 v6, v3
	v_add_f32_e32 v7, -1.0, v2
	v_add_f32_e32 v8, -1.0, v3
	v_sub_f32_e32 v2, v2, v8
	v_mul_f32_e32 v8, v7, v6
	v_mul_f32_e32 v9, v3, v8
	v_fma_f32 v3, v8, v3, -v9
	v_fmac_f32_e32 v3, v8, v2
	v_add_f32_e32 v2, v9, v3
	v_sub_f32_e32 v10, v7, v2
	v_sub_f32_e32 v9, v2, v9
	;; [unrolled: 1-line block ×5, first 2 shown]
	v_add_f32_e32 v2, v3, v2
	v_add_f32_e32 v2, v10, v2
	v_mul_f32_e32 v2, v6, v2
	v_add_f32_e32 v6, v8, v2
	v_sub_f32_e32 v3, v6, v8
	v_sub_f32_e32 v7, v2, v3
	v_mul_f32_e32 v2, v6, v6
	v_fma_f32 v3, v6, v6, -v2
	v_add_f32_e32 v8, v7, v7
	v_fmac_f32_e32 v3, v6, v8
	v_add_f32_e32 v8, v2, v3
	v_mov_b32_e32 v9, 0x3e91f4c4
	v_sub_f32_e32 v2, v8, v2
	v_fmac_f32_e32 v9, 0x3e76c4e1, v8
	v_mov_b32_e32 v10, 0x3ecccdef
	v_sub_f32_e32 v2, v3, v2
	v_mul_f32_e32 v3, v6, v8
	v_fmac_f32_e32 v10, v8, v9
	v_fma_f32 v9, v8, v6, -v3
	v_fmac_f32_e32 v9, v8, v7
	v_fmac_f32_e32 v9, v2, v6
	v_add_f32_e32 v11, v3, v9
	v_sub_f32_e32 v3, v11, v3
	v_sub_f32_e32 v9, v9, v3
	v_mul_f32_e32 v3, v8, v10
	v_fma_f32 v8, v8, v10, -v3
	v_fmac_f32_e32 v8, v2, v10
	v_add_f32_e32 v10, v3, v8
	v_sub_f32_e32 v2, v10, v3
	v_sub_f32_e32 v8, v8, v2
	v_cvt_f64_f32_e64 v[2:3], |v5|
	v_add_f32_e32 v12, 0x3f2aaaaa, v10
	v_add_f32_e32 v13, 0xbf2aaaaa, v12
	;; [unrolled: 1-line block ×3, first 2 shown]
	v_frexp_exp_i32_f64_e32 v2, v[2:3]
	v_sub_f32_e32 v10, v10, v13
	v_add_f32_e32 v3, v8, v10
	v_add_f32_e32 v8, v12, v3
	v_sub_f32_e32 v10, v12, v8
	v_add_f32_e32 v3, v3, v10
	v_mul_f32_e32 v10, v11, v8
	v_fma_f32 v12, v11, v8, -v10
	v_subbrev_co_u32_e32 v2, vcc, 0, v2, vcc
	v_cvt_f32_i32_e32 v2, v2
	v_fmac_f32_e32 v12, v11, v3
	s_mov_b32 s6, 0x3f317218
	v_fmac_f32_e32 v12, v9, v8
	v_mul_f32_e32 v3, 0x3f317218, v2
	v_fma_f32 v8, v2, s6, -v3
	v_fmac_f32_e32 v8, 0xb102e308, v2
	v_ldexp_f32 v2, v7, 1
	v_add_f32_e32 v7, v3, v8
	v_sub_f32_e32 v3, v7, v3
	v_ldexp_f32 v6, v6, 1
	v_sub_f32_e32 v3, v8, v3
	v_add_f32_e32 v8, v10, v12
	v_sub_f32_e32 v9, v8, v10
	v_add_f32_e32 v10, v6, v8
	v_sub_f32_e32 v9, v12, v9
	v_sub_f32_e32 v6, v10, v6
	;; [unrolled: 1-line block ×3, first 2 shown]
	v_add_f32_e32 v2, v2, v9
	v_add_f32_e32 v2, v2, v6
	;; [unrolled: 1-line block ×3, first 2 shown]
	v_sub_f32_e32 v8, v6, v10
	v_sub_f32_e32 v2, v2, v8
	v_add_f32_e32 v8, v7, v6
	v_sub_f32_e32 v9, v8, v7
	v_sub_f32_e32 v10, v8, v9
	;; [unrolled: 1-line block ×4, first 2 shown]
	v_add_f32_e32 v6, v6, v7
	v_add_f32_e32 v7, v3, v2
	v_sub_f32_e32 v9, v7, v3
	v_sub_f32_e32 v10, v7, v9
	;; [unrolled: 1-line block ×4, first 2 shown]
	v_add_f32_e32 v2, v2, v3
	v_add_f32_e32 v3, v7, v6
	;; [unrolled: 1-line block ×3, first 2 shown]
	v_sub_f32_e32 v7, v6, v8
	v_sub_f32_e32 v3, v3, v7
	v_add_f32_e32 v2, v2, v3
	v_add_f32_e32 v3, v6, v2
	v_sub_f32_e32 v6, v3, v6
	v_sub_f32_e32 v2, v2, v6
	v_mul_f32_e32 v6, v4, v3
	v_fma_f32 v3, v4, v3, -v6
	v_fmac_f32_e32 v3, v4, v2
	v_add_f32_e32 v2, v6, v3
	v_cmp_class_f32_e64 vcc, v6, s10
	v_sub_f32_e32 v7, v2, v6
	v_cndmask_b32_e32 v2, v2, v6, vcc
	s_mov_b32 s7, 0x42b17218
	v_mov_b32_e32 v6, 0x37000000
	v_cmp_eq_f32_e32 vcc, s7, v2
	v_cndmask_b32_e32 v6, 0, v6, vcc
	v_sub_f32_e32 v3, v3, v7
	v_sub_f32_e32 v7, v2, v6
	s_mov_b32 s11, 0x3fb8aa3b
	v_mul_f32_e32 v8, 0x3fb8aa3b, v7
	v_fma_f32 v9, v7, s11, -v8
	v_rndne_f32_e32 v10, v8
	v_fmac_f32_e32 v9, 0x32a5705f, v7
	v_sub_f32_e32 v8, v8, v10
	v_add_f32_e32 v8, v8, v9
	v_exp_f32_e32 v8, v8
	v_cvt_i32_f32_e32 v9, v10
	s_mov_b32 s6, 0x7f800000
	v_cmp_neq_f32_e64 vcc, |v2|, s6
	s_mov_b32 s6, 0xc2ce8ed0
	v_cndmask_b32_e32 v2, 0, v3, vcc
	v_ldexp_f32 v3, v8, v9
	v_cmp_ngt_f32_e32 vcc, s6, v7
	v_add_f32_e32 v2, v6, v2
	v_cndmask_b32_e32 v3, 0, v3, vcc
	v_mov_b32_e32 v6, 0x7f800000
	v_cmp_nlt_f32_e32 vcc, s7, v7
	v_cndmask_b32_e32 v3, v6, v3, vcc
	v_fma_f32 v2, v3, v2, v3
	v_cmp_class_f32_e64 vcc, v3, s10
	v_cndmask_b32_e32 v2, v2, v3, vcc
	v_trunc_f32_e32 v3, v4
	v_cmp_eq_f32_e32 vcc, v3, v4
	v_mul_f32_e32 v3, 0.5, v4
	v_trunc_f32_e32 v8, v3
	v_cmp_neq_f32_e64 s[6:7], v8, v3
	s_and_b64 s[6:7], vcc, s[6:7]
	v_cndmask_b32_e64 v3, 1.0, v5, s[6:7]
	s_brev_b32 s18, -2
	v_mov_b32_e32 v7, 0x7fc00000
	v_bfi_b32 v2, s18, v2, v3
	v_cndmask_b32_e32 v3, v7, v2, vcc
	v_cmp_gt_f32_e32 vcc, 0, v5
	v_cndmask_b32_e32 v2, v2, v3, vcc
	v_cmp_class_f32_e64 s[38:39], v5, s10
	v_cmp_eq_f32_e32 vcc, 0, v5
	v_cmp_gt_f32_e64 s[10:11], 0, v4
	s_xor_b64 s[10:11], s[10:11], vcc
	v_cndmask_b32_e64 v3, v6, 0, s[10:11]
	v_cndmask_b32_e64 v4, 0, v5, s[6:7]
	v_bfi_b32 v3, s18, v3, v4
	s_or_b64 vcc, vcc, s[38:39]
	v_cndmask_b32_e32 v2, v2, v3, vcc
	v_cmp_o_f32_e32 vcc, v5, v5
	v_cndmask_b32_e32 v26, v7, v2, vcc
.LBB56_4:
	s_lshl_b32 s18, s8, 5
	v_lshlrev_b32_e32 v20, 2, v1
	s_load_dwordx4 s[40:43], s[4:5], 0x70
	v_add_u32_e32 v22, s18, v20
	v_mul_hi_u32 v2, v22, s28
	s_ashr_i32 s35, s34, 31
	s_ashr_i32 s10, s51, 31
	s_waitcnt lgkmcnt(0)
	s_mul_i32 s6, s33, s42
	v_add_u32_e32 v2, v22, v2
	s_ashr_i32 s7, s6, 31
	v_lshrrev_b32_e32 v2, s29, v2
	s_add_u32 s6, s12, s6
	s_mul_i32 s11, s34, s41
	v_mul_lo_u32 v2, v2, s30
	s_addc_u32 s7, s13, s7
	s_ashr_i32 s12, s11, 31
	s_add_u32 s11, s6, s11
	s_addc_u32 s37, s7, s12
	s_ashr_i32 s41, s40, 31
	s_lshr_b64 s[6:7], s[40:41], 2
	v_sub_u32_e32 v2, v22, v2
	v_or_b32_e32 v19, 1, v20
	v_mad_u64_u32 v[3:4], s[12:13], s6, v2, 0
	v_add_u32_e32 v21, s18, v19
	v_mul_hi_u32 v8, v21, s28
	v_mov_b32_e32 v7, s37
	s_lshr_b32 s37, s41, 2
	v_mad_u64_u32 v[4:5], s[12:13], s37, v2, v[4:5]
	v_add_u32_e32 v5, v21, v8
	v_lshrrev_b32_e32 v5, s29, v5
	v_mul_lo_u32 v5, v5, s30
	v_lshlrev_b32_e32 v6, 4, v0
	v_add_co_u32_e32 v18, vcc, s11, v6
	v_sub_u32_e32 v6, v21, v5
	v_addc_co_u32_e32 v25, vcc, 0, v7, vcc
	v_mad_u64_u32 v[7:8], s[12:13], s6, v6, 0
	v_or_b32_e32 v16, 2, v20
	v_add_u32_e32 v17, s18, v16
	v_mov_b32_e32 v5, v8
	v_mad_u64_u32 v[8:9], s[12:13], s37, v6, v[5:6]
	v_mul_hi_u32 v9, v17, s28
	v_or_b32_e32 v14, 3, v20
	v_add_u32_e32 v15, s18, v14
	v_mul_hi_u32 v23, v15, s28
	v_add_u32_e32 v9, v17, v9
	v_lshrrev_b32_e32 v9, s29, v9
	v_mul_lo_u32 v11, v9, s30
	v_lshlrev_b64 v[3:4], 2, v[3:4]
	v_lshlrev_b64 v[7:8], 2, v[7:8]
	v_add_co_u32_e32 v3, vcc, v18, v3
	v_sub_u32_e32 v13, v17, v11
	v_mad_u64_u32 v[11:12], s[12:13], s6, v13, 0
	v_addc_co_u32_e32 v4, vcc, v25, v4, vcc
	v_mad_u64_u32 v[12:13], s[12:13], s37, v13, v[12:13]
	v_add_u32_e32 v13, v15, v23
	v_lshrrev_b32_e32 v13, s29, v13
	v_mul_lo_u32 v13, v13, s30
	global_load_dwordx4 v[3:6], v[3:4], off
	v_add_co_u32_e32 v7, vcc, v18, v7
	v_sub_u32_e32 v13, v15, v13
	v_lshlrev_b64 v[11:12], 2, v[11:12]
	v_mad_u64_u32 v[23:24], s[6:7], s6, v13, 0
	v_addc_co_u32_e32 v8, vcc, v25, v8, vcc
	v_add_co_u32_e32 v11, vcc, v18, v11
	v_addc_co_u32_e32 v12, vcc, v25, v12, vcc
	global_load_dwordx4 v[7:10], v[7:8], off
	v_lshlrev_b32_e32 v36, 10, v1
	global_load_dwordx4 v[27:30], v[11:12], off
	v_mov_b32_e32 v11, v24
	v_mad_u64_u32 v[11:12], s[6:7], s37, v13, v[11:12]
	v_mov_b32_e32 v43, 0
	s_cmp_eq_u64 s[22:23], 0
	v_mov_b32_e32 v24, v11
	v_lshlrev_b64 v[11:12], 2, v[23:24]
	v_lshlrev_b32_e32 v23, 3, v0
	v_add_co_u32_e32 v11, vcc, v18, v11
	v_addc_co_u32_e32 v12, vcc, v25, v12, vcc
	global_load_dwordx4 v[31:34], v[11:12], off
	v_add_u32_e32 v11, 0x2400, v23
	v_add_u32_e32 v12, v11, v36
	s_waitcnt vmcnt(3)
	v_fma_mixlo_f16 v3, s36, v3, 0
	v_fma_mixlo_f16 v4, s36, v4, 0
	;; [unrolled: 1-line block ×4, first 2 shown]
	v_lshlrev_b32_e32 v4, 16, v4
	v_and_b32_e32 v3, 0xffff, v3
	v_or_b32_e32 v3, v4, v3
	v_lshlrev_b32_e32 v4, 16, v6
	v_and_b32_e32 v5, 0xffff, v5
	v_or3_b32 v4, v4, v5, 0
	v_or3_b32 v3, 0, 0, v3
	ds_write_b64 v12, v[3:4]
	v_lshl_add_u32 v6, v19, 8, v11
	s_waitcnt vmcnt(2)
	v_fma_mixlo_f16 v3, s36, v7, 0
	v_fma_mixlo_f16 v4, s36, v8, 0
	v_lshlrev_b32_e32 v4, 16, v4
	v_and_b32_e32 v3, 0xffff, v3
	v_or_b32_e32 v3, v4, v3
	v_fma_mixlo_f16 v4, s36, v9, 0
	v_fma_mixlo_f16 v5, s36, v10, 0
	v_lshlrev_b32_e32 v5, 16, v5
	v_and_b32_e32 v4, 0xffff, v4
	v_or3_b32 v4, v5, v4, 0
	v_or3_b32 v3, 0, 0, v3
	ds_write_b64 v6, v[3:4]
	s_waitcnt vmcnt(1)
	v_fma_mixlo_f16 v3, s36, v27, 0
	v_fma_mixlo_f16 v4, s36, v28, 0
	v_lshlrev_b32_e32 v4, 16, v4
	v_and_b32_e32 v3, 0xffff, v3
	v_or_b32_e32 v3, v4, v3
	v_fma_mixlo_f16 v4, s36, v29, 0
	v_fma_mixlo_f16 v5, s36, v30, 0
	v_lshlrev_b32_e32 v5, 16, v5
	v_and_b32_e32 v4, 0xffff, v4
	v_lshl_add_u32 v6, v16, 8, v11
	v_or3_b32 v4, v5, v4, 0
	v_or3_b32 v3, 0, 0, v3
	ds_write_b64 v6, v[3:4]
	s_waitcnt vmcnt(0)
	v_fma_mixlo_f16 v3, s36, v31, 0
	v_fma_mixlo_f16 v4, s36, v32, 0
	v_lshlrev_b32_e32 v4, 16, v4
	v_and_b32_e32 v3, 0xffff, v3
	v_or_b32_e32 v3, v4, v3
	v_fma_mixlo_f16 v4, s36, v33, 0
	v_fma_mixlo_f16 v5, s36, v34, 0
	v_lshlrev_b32_e32 v5, 16, v5
	v_and_b32_e32 v4, 0xffff, v4
	v_lshl_add_u32 v6, v14, 8, v11
	v_or3_b32 v4, v5, v4, 0
	v_or3_b32 v3, 0, 0, v3
	ds_write_b64 v6, v[3:4]
	s_waitcnt lgkmcnt(0)
	s_barrier
	s_cbranch_scc1 .LBB56_6
; %bb.5:
	s_load_dword s6, s[4:5], 0xd0
	s_mov_b32 s7, 0
	s_waitcnt lgkmcnt(0)
	s_mul_i32 s6, s6, s33
	s_add_i32 s6, s6, s8
	s_lshl_b64 s[6:7], s[6:7], 2
	s_add_u32 s6, s22, s6
	s_addc_u32 s7, s23, s7
	s_load_dword s46, s[6:7], 0x0
.LBB56_6:
	s_nop 0
	s_load_dwordx2 s[6:7], s[4:5], 0x8c
	s_load_dwordx4 s[36:39], s[4:5], 0x98
	s_ashr_i32 s22, s49, 1
	s_load_dwordx2 s[40:41], s[4:5], 0xa8
	v_mul_lo_u32 v40, v2, s22
	s_waitcnt lgkmcnt(0)
	s_ashr_i32 s12, s6, 2
	s_ashr_i32 s6, s33, 31
	s_mul_hi_u32 s11, s36, s33
	s_mul_i32 s13, s36, s6
	s_add_i32 s11, s11, s13
	s_mul_i32 s13, s37, s33
	s_ashr_i32 s8, s38, 2
	s_add_i32 s11, s11, s13
	s_mul_i32 s13, s36, s33
	s_add_u32 s13, s14, s13
	s_mul_i32 s14, s19, s47
	s_addc_u32 s11, s15, s11
	s_sub_i32 s14, s50, s14
	s_xor_b32 s10, s35, s10
	s_add_i32 s15, s19, 1
	s_sub_i32 s23, s14, s47
	s_cmp_ge_u32 s14, s47
	s_cselect_b32 s15, s15, s19
	s_cselect_b32 s14, s23, s14
	s_add_i32 s19, s15, 1
	s_cmp_ge_u32 s14, s47
	s_cselect_b32 s14, s19, s15
	s_xor_b32 s14, s14, s10
	s_sub_i32 s10, s14, s10
	s_mul_i32 s7, s10, s7
	s_ashr_i32 s14, s7, 31
	s_add_u32 s13, s13, s7
	s_mul_hi_u32 s7, s40, s33
	s_mul_i32 s6, s40, s6
	s_addc_u32 s14, s11, s14
	s_add_i32 s6, s7, s6
	s_mul_i32 s7, s41, s33
	s_add_i32 s6, s6, s7
	s_mul_i32 s7, s40, s33
	s_add_u32 s7, s16, s7
	s_mul_i32 s10, s10, s39
	s_addc_u32 s6, s17, s6
	s_ashr_i32 s11, s10, 31
	s_add_u32 s16, s7, s10
	v_lshlrev_b32_e32 v18, 2, v0
	s_addc_u32 s17, s6, s11
	s_lshl_b32 s19, s9, 6
	s_sub_i32 s15, s46, 64
	s_cmp_ge_i32 s19, s15
	v_lshrrev_b32_e32 v46, 3, v0
	v_and_b32_e32 v45, 28, v18
	v_or_b32_e32 v34, 1, v22
	v_or_b32_e32 v31, 2, v22
	;; [unrolled: 1-line block ×3, first 2 shown]
	v_lshrrev_b32_e32 v25, 4, v0
	v_and_b32_e32 v24, 60, v18
	v_mbcnt_lo_u32_b32 v37, -1, 0
	s_cbranch_scc1 .LBB56_27
; %bb.7:
	v_mul_hi_u32 v6, s28, v34
	v_mul_hi_u32 v7, s28, v31
	;; [unrolled: 1-line block ×3, first 2 shown]
	v_add_u32_e32 v3, v46, v20
	v_add_u32_e32 v6, v34, v6
	v_lshrrev_b32_e32 v6, s29, v6
	v_add_u32_e32 v7, v31, v7
	v_mul_lo_u32 v6, v6, s30
	v_lshrrev_b32_e32 v7, s29, v7
	v_mul_lo_u32 v7, v7, s30
	v_add_u32_e32 v8, v28, v8
	v_sub_u32_e32 v6, v34, v6
	v_lshrrev_b32_e32 v8, s29, v8
	v_mul_lo_u32 v8, v8, s30
	v_mul_lo_u32 v51, v6, s22
	v_sub_u32_e32 v6, v31, v7
	v_lshl_add_u32 v7, v1, 1, v25
	v_mul_lo_u32 v2, s12, v3
	v_mul_lo_u32 v10, s8, v7
	v_lshlrev_b32_e32 v4, 2, v45
	s_movk_i32 s6, 0x90
	v_mul_lo_u32 v52, v6, s22
	v_sub_u32_e32 v6, v28, v8
	v_mad_u32_u24 v47, v3, s6, v4
	v_lshl_add_u32 v4, s12, 5, v2
	s_cmp_lg_u64 s[44:45], 0
	v_mul_lo_u32 v53, v6, s22
	v_mov_b32_e32 v6, 0x4400
	v_lshl_add_u32 v12, s8, 4, v10
	v_ashrrev_i32_e32 v3, 31, v2
	v_ashrrev_i32_e32 v5, 31, v4
	s_cselect_b64 s[6:7], -1, 0
	v_lshl_add_u32 v54, v1, 9, v6
	v_lshlrev_b32_e32 v6, 2, v24
	v_ashrrev_i32_e32 v11, 31, v10
	v_ashrrev_i32_e32 v13, 31, v12
	v_lshl_or_b32 v55, v7, 8, v6
	s_add_u32 s10, s4, 0xd0
	v_lshlrev_b64 v[6:7], 2, v[2:3]
	v_lshlrev_b64 v[8:9], 2, v[4:5]
	v_cndmask_b32_e64 v2, 0, 1, s[6:7]
	v_lshlrev_b64 v[10:11], 2, v[10:11]
	v_lshlrev_b64 v[12:13], 2, v[12:13]
	v_mov_b32_e32 v27, 0
	v_add_u32_e32 v48, 0x1200, v47
	v_add_u32_e32 v49, 0x2400, v36
	v_mul_u32_u24_e32 v50, 0x90, v0
	v_add_u32_e32 v56, 0x1000, v55
	s_addc_u32 s11, s5, 0
	v_mov_b32_e32 v68, 0xfeffffff
	v_lshlrev_b32_e32 v57, 2, v45
	s_mov_b32 s23, 0x3fb8aa3b
	s_mov_b32 s36, 0xc2ce8ed0
	;; [unrolled: 1-line block ×4, first 2 shown]
	v_lshlrev_b32_e32 v58, 2, v24
	v_cmp_ne_u32_e64 s[6:7], 1, v2
	v_mbcnt_hi_u32_b32 v59, -1, v37
	v_mov_b32_e32 v60, 0x7f800000
	v_mov_b32_e32 v29, 0
	;; [unrolled: 1-line block ×15, first 2 shown]
.LBB56_8:                               ; =>This Inner Loop Header: Depth=1
	s_mul_hi_i32 s41, s19, s12
	s_mul_i32 s40, s19, s12
	s_lshl_b64 s[40:41], s[40:41], 2
	s_add_u32 s39, s13, s40
	s_addc_u32 s40, s14, s41
	v_mov_b32_e32 v2, s40
	v_add_co_u32_e32 v3, vcc, s39, v6
	v_addc_co_u32_e32 v4, vcc, v2, v7, vcc
	v_add_co_u32_e32 v2, vcc, v3, v57
	v_addc_co_u32_e32 v3, vcc, 0, v4, vcc
	v_mov_b32_e32 v4, s40
	v_add_co_u32_e32 v5, vcc, s39, v8
	v_addc_co_u32_e32 v41, vcc, v4, v9, vcc
	v_add_co_u32_e32 v4, vcc, v5, v57
	v_addc_co_u32_e32 v5, vcc, 0, v41, vcc
	global_load_dwordx4 v[73:76], v[2:3], off
	global_load_dwordx4 v[77:80], v[4:5], off
	v_mov_b32_e32 v71, 0
	v_mov_b32_e32 v44, 0
	;; [unrolled: 1-line block ×8, first 2 shown]
	s_and_b64 vcc, exec, s[6:7]
	s_waitcnt vmcnt(1)
	ds_write_b128 v47, v[73:76]
	s_waitcnt vmcnt(0)
	ds_write_b128 v48, v[77:80]
	s_waitcnt lgkmcnt(0)
	s_barrier
	ds_read_b128 v[73:76], v49
	ds_read_b128 v[77:80], v50
	ds_read_b128 v[81:84], v50 offset:4608
	ds_read_b128 v[85:88], v49 offset:256
	;; [unrolled: 1-line block ×4, first 2 shown]
	s_waitcnt lgkmcnt(4)
	;;#ASMSTART
	v_dot2_f32_f16 v71, v77, v73, v71
	;;#ASMEND
	;;#ASMSTART
	v_dot2_f32_f16 v71, v78, v74, v71
	;;#ASMEND
	;;#ASMSTART
	v_dot2_f32_f16 v71, v79, v75, v71
	;;#ASMEND
	;;#ASMSTART
	v_dot2_f32_f16 v71, v80, v76, v71
	;;#ASMEND
	s_waitcnt lgkmcnt(2)
	;;#ASMSTART
	v_dot2_f32_f16 v44, v77, v85, v44
	;;#ASMEND
	;;#ASMSTART
	v_dot2_f32_f16 v44, v78, v86, v44
	;;#ASMEND
	;;#ASMSTART
	v_dot2_f32_f16 v44, v79, v87, v44
	;;#ASMEND
	;;#ASMSTART
	v_dot2_f32_f16 v44, v80, v88, v44
	;;#ASMEND
	;; [unrolled: 13-line block ×4, first 2 shown]
	;;#ASMSTART
	v_dot2_f32_f16 v72, v81, v73, v72
	;;#ASMEND
	;;#ASMSTART
	v_dot2_f32_f16 v72, v82, v74, v72
	;;#ASMEND
	;; [unrolled: 3-line block ×16, first 2 shown]
	ds_read_b128 v[73:76], v49 offset:16
	ds_read_b128 v[77:80], v50 offset:16
	;; [unrolled: 1-line block ×6, first 2 shown]
	s_waitcnt lgkmcnt(4)
	;;#ASMSTART
	v_dot2_f32_f16 v71, v77, v73, v71
	;;#ASMEND
	;;#ASMSTART
	v_dot2_f32_f16 v71, v78, v74, v71
	;;#ASMEND
	;;#ASMSTART
	v_dot2_f32_f16 v71, v79, v75, v71
	;;#ASMEND
	;;#ASMSTART
	v_dot2_f32_f16 v71, v80, v76, v71
	;;#ASMEND
	s_waitcnt lgkmcnt(2)
	;;#ASMSTART
	v_dot2_f32_f16 v44, v77, v85, v44
	;;#ASMEND
	;;#ASMSTART
	v_dot2_f32_f16 v44, v78, v86, v44
	;;#ASMEND
	;;#ASMSTART
	v_dot2_f32_f16 v44, v79, v87, v44
	;;#ASMEND
	;;#ASMSTART
	v_dot2_f32_f16 v44, v80, v88, v44
	;;#ASMEND
	;; [unrolled: 13-line block ×4, first 2 shown]
	;;#ASMSTART
	v_dot2_f32_f16 v72, v81, v73, v72
	;;#ASMEND
	;;#ASMSTART
	v_dot2_f32_f16 v72, v82, v74, v72
	;;#ASMEND
	;; [unrolled: 3-line block ×16, first 2 shown]
	ds_read_b128 v[73:76], v49 offset:32
	ds_read_b128 v[77:80], v50 offset:32
	;; [unrolled: 1-line block ×6, first 2 shown]
	s_waitcnt lgkmcnt(4)
	;;#ASMSTART
	v_dot2_f32_f16 v71, v77, v73, v71
	;;#ASMEND
	;;#ASMSTART
	v_dot2_f32_f16 v71, v78, v74, v71
	;;#ASMEND
	;;#ASMSTART
	v_dot2_f32_f16 v71, v79, v75, v71
	;;#ASMEND
	;;#ASMSTART
	v_dot2_f32_f16 v71, v80, v76, v71
	;;#ASMEND
	s_waitcnt lgkmcnt(2)
	;;#ASMSTART
	v_dot2_f32_f16 v44, v77, v85, v44
	;;#ASMEND
	;;#ASMSTART
	v_dot2_f32_f16 v44, v78, v86, v44
	;;#ASMEND
	;;#ASMSTART
	v_dot2_f32_f16 v44, v79, v87, v44
	;;#ASMEND
	;;#ASMSTART
	v_dot2_f32_f16 v44, v80, v88, v44
	;;#ASMEND
	;; [unrolled: 13-line block ×4, first 2 shown]
	;;#ASMSTART
	v_dot2_f32_f16 v72, v81, v73, v72
	;;#ASMEND
	;;#ASMSTART
	v_dot2_f32_f16 v72, v82, v74, v72
	;;#ASMEND
	;; [unrolled: 3-line block ×16, first 2 shown]
	ds_read_b128 v[73:76], v49 offset:48
	ds_read_b128 v[77:80], v50 offset:48
	;; [unrolled: 1-line block ×6, first 2 shown]
	s_waitcnt lgkmcnt(4)
	;;#ASMSTART
	v_dot2_f32_f16 v71, v77, v73, v71
	;;#ASMEND
	;;#ASMSTART
	v_dot2_f32_f16 v71, v78, v74, v71
	;;#ASMEND
	;;#ASMSTART
	v_dot2_f32_f16 v71, v79, v75, v71
	;;#ASMEND
	;;#ASMSTART
	v_dot2_f32_f16 v71, v80, v76, v71
	;;#ASMEND
	s_waitcnt lgkmcnt(2)
	;;#ASMSTART
	v_dot2_f32_f16 v44, v77, v85, v44
	;;#ASMEND
	;;#ASMSTART
	v_dot2_f32_f16 v44, v78, v86, v44
	;;#ASMEND
	;;#ASMSTART
	v_dot2_f32_f16 v44, v79, v87, v44
	;;#ASMEND
	;;#ASMSTART
	v_dot2_f32_f16 v44, v80, v88, v44
	;;#ASMEND
	s_waitcnt lgkmcnt(1)
	;;#ASMSTART
	v_dot2_f32_f16 v43, v77, v89, v43
	;;#ASMEND
	;;#ASMSTART
	v_dot2_f32_f16 v43, v78, v90, v43
	;;#ASMEND
	;;#ASMSTART
	v_dot2_f32_f16 v43, v79, v91, v43
	;;#ASMEND
	;;#ASMSTART
	v_dot2_f32_f16 v43, v80, v92, v43
	;;#ASMEND
	s_waitcnt lgkmcnt(0)
	;;#ASMSTART
	v_dot2_f32_f16 v41, v77, v93, v41
	;;#ASMEND
	;;#ASMSTART
	v_dot2_f32_f16 v41, v78, v94, v41
	;;#ASMEND
	;;#ASMSTART
	v_dot2_f32_f16 v41, v79, v95, v41
	;;#ASMEND
	;;#ASMSTART
	v_dot2_f32_f16 v41, v80, v96, v41
	;;#ASMEND
	;;#ASMSTART
	v_dot2_f32_f16 v72, v81, v73, v72
	;;#ASMEND
	;;#ASMSTART
	v_dot2_f32_f16 v72, v82, v74, v72
	;;#ASMEND
	;;#ASMSTART
	v_dot2_f32_f16 v72, v83, v75, v72
	;;#ASMEND
	;;#ASMSTART
	v_dot2_f32_f16 v72, v84, v76, v72
	;;#ASMEND
	;;#ASMSTART
	v_dot2_f32_f16 v70, v81, v85, v70
	;;#ASMEND
	;;#ASMSTART
	v_dot2_f32_f16 v70, v82, v86, v70
	;;#ASMEND
	;;#ASMSTART
	v_dot2_f32_f16 v70, v83, v87, v70
	;;#ASMEND
	;;#ASMSTART
	v_dot2_f32_f16 v70, v84, v88, v70
	;;#ASMEND
	;;#ASMSTART
	v_dot2_f32_f16 v69, v81, v89, v69
	;;#ASMEND
	;;#ASMSTART
	v_dot2_f32_f16 v69, v82, v90, v69
	;;#ASMEND
	;;#ASMSTART
	v_dot2_f32_f16 v69, v83, v91, v69
	;;#ASMEND
	;;#ASMSTART
	v_dot2_f32_f16 v69, v84, v92, v69
	;;#ASMEND
	;;#ASMSTART
	v_dot2_f32_f16 v42, v81, v93, v42
	;;#ASMEND
	;;#ASMSTART
	v_dot2_f32_f16 v42, v82, v94, v42
	;;#ASMEND
	;;#ASMSTART
	v_dot2_f32_f16 v42, v83, v95, v42
	;;#ASMEND
	;;#ASMSTART
	v_dot2_f32_f16 v42, v84, v96, v42
	;;#ASMEND
	ds_read_b128 v[73:76], v49 offset:64
	ds_read_b128 v[77:80], v50 offset:64
	;; [unrolled: 1-line block ×6, first 2 shown]
	s_waitcnt lgkmcnt(4)
	;;#ASMSTART
	v_dot2_f32_f16 v71, v77, v73, v71
	;;#ASMEND
	;;#ASMSTART
	v_dot2_f32_f16 v71, v78, v74, v71
	;;#ASMEND
	;;#ASMSTART
	v_dot2_f32_f16 v71, v79, v75, v71
	;;#ASMEND
	;;#ASMSTART
	v_dot2_f32_f16 v71, v80, v76, v71
	;;#ASMEND
	s_waitcnt lgkmcnt(2)
	;;#ASMSTART
	v_dot2_f32_f16 v44, v77, v85, v44
	;;#ASMEND
	;;#ASMSTART
	v_dot2_f32_f16 v44, v78, v86, v44
	;;#ASMEND
	;;#ASMSTART
	v_dot2_f32_f16 v44, v79, v87, v44
	;;#ASMEND
	;;#ASMSTART
	v_dot2_f32_f16 v44, v80, v88, v44
	;;#ASMEND
	;; [unrolled: 13-line block ×4, first 2 shown]
	;;#ASMSTART
	v_dot2_f32_f16 v72, v81, v73, v72
	;;#ASMEND
	;;#ASMSTART
	v_dot2_f32_f16 v72, v82, v74, v72
	;;#ASMEND
	;; [unrolled: 3-line block ×16, first 2 shown]
	ds_read_b128 v[73:76], v49 offset:80
	ds_read_b128 v[77:80], v50 offset:80
	;; [unrolled: 1-line block ×6, first 2 shown]
	s_waitcnt lgkmcnt(4)
	;;#ASMSTART
	v_dot2_f32_f16 v71, v77, v73, v71
	;;#ASMEND
	;;#ASMSTART
	v_dot2_f32_f16 v71, v78, v74, v71
	;;#ASMEND
	;;#ASMSTART
	v_dot2_f32_f16 v71, v79, v75, v71
	;;#ASMEND
	;;#ASMSTART
	v_dot2_f32_f16 v71, v80, v76, v71
	;;#ASMEND
	s_waitcnt lgkmcnt(2)
	;;#ASMSTART
	v_dot2_f32_f16 v44, v77, v85, v44
	;;#ASMEND
	;;#ASMSTART
	v_dot2_f32_f16 v44, v78, v86, v44
	;;#ASMEND
	;;#ASMSTART
	v_dot2_f32_f16 v44, v79, v87, v44
	;;#ASMEND
	;;#ASMSTART
	v_dot2_f32_f16 v44, v80, v88, v44
	;;#ASMEND
	;; [unrolled: 13-line block ×4, first 2 shown]
	;;#ASMSTART
	v_dot2_f32_f16 v72, v81, v73, v72
	;;#ASMEND
	;;#ASMSTART
	v_dot2_f32_f16 v72, v82, v74, v72
	;;#ASMEND
	;;#ASMSTART
	v_dot2_f32_f16 v72, v83, v75, v72
	;;#ASMEND
	;;#ASMSTART
	v_dot2_f32_f16 v72, v84, v76, v72
	;;#ASMEND
	;;#ASMSTART
	v_dot2_f32_f16 v70, v81, v85, v70
	;;#ASMEND
	;;#ASMSTART
	v_dot2_f32_f16 v70, v82, v86, v70
	;;#ASMEND
	;;#ASMSTART
	v_dot2_f32_f16 v70, v83, v87, v70
	;;#ASMEND
	;;#ASMSTART
	v_dot2_f32_f16 v70, v84, v88, v70
	;;#ASMEND
	;;#ASMSTART
	v_dot2_f32_f16 v69, v81, v89, v69
	;;#ASMEND
	;;#ASMSTART
	v_dot2_f32_f16 v69, v82, v90, v69
	;;#ASMEND
	;;#ASMSTART
	v_dot2_f32_f16 v69, v83, v91, v69
	;;#ASMEND
	;;#ASMSTART
	v_dot2_f32_f16 v69, v84, v92, v69
	;;#ASMEND
	;;#ASMSTART
	v_dot2_f32_f16 v42, v81, v93, v42
	;;#ASMEND
	;;#ASMSTART
	v_dot2_f32_f16 v42, v82, v94, v42
	;;#ASMEND
	;;#ASMSTART
	v_dot2_f32_f16 v42, v83, v95, v42
	;;#ASMEND
	;;#ASMSTART
	v_dot2_f32_f16 v42, v84, v96, v42
	;;#ASMEND
	ds_read_b128 v[73:76], v49 offset:96
	ds_read_b128 v[77:80], v50 offset:96
	ds_read_b128 v[81:84], v50 offset:4704
	ds_read_b128 v[85:88], v49 offset:352
	ds_read_b128 v[89:92], v49 offset:608
	ds_read_b128 v[93:96], v49 offset:864
	s_waitcnt lgkmcnt(4)
	;;#ASMSTART
	v_dot2_f32_f16 v71, v77, v73, v71
	;;#ASMEND
	;;#ASMSTART
	v_dot2_f32_f16 v71, v78, v74, v71
	;;#ASMEND
	;;#ASMSTART
	v_dot2_f32_f16 v71, v79, v75, v71
	;;#ASMEND
	;;#ASMSTART
	v_dot2_f32_f16 v71, v80, v76, v71
	;;#ASMEND
	s_waitcnt lgkmcnt(2)
	;;#ASMSTART
	v_dot2_f32_f16 v44, v77, v85, v44
	;;#ASMEND
	;;#ASMSTART
	v_dot2_f32_f16 v44, v78, v86, v44
	;;#ASMEND
	;;#ASMSTART
	v_dot2_f32_f16 v44, v79, v87, v44
	;;#ASMEND
	;;#ASMSTART
	v_dot2_f32_f16 v44, v80, v88, v44
	;;#ASMEND
	;; [unrolled: 13-line block ×4, first 2 shown]
	;;#ASMSTART
	v_dot2_f32_f16 v72, v81, v73, v72
	;;#ASMEND
	;;#ASMSTART
	v_dot2_f32_f16 v72, v82, v74, v72
	;;#ASMEND
	;; [unrolled: 3-line block ×16, first 2 shown]
	ds_read_b128 v[73:76], v49 offset:112
	ds_read_b128 v[77:80], v50 offset:112
	;; [unrolled: 1-line block ×6, first 2 shown]
	s_waitcnt lgkmcnt(4)
	;;#ASMSTART
	v_dot2_f32_f16 v71, v77, v73, v71
	;;#ASMEND
	;;#ASMSTART
	v_dot2_f32_f16 v71, v78, v74, v71
	;;#ASMEND
	;;#ASMSTART
	v_dot2_f32_f16 v71, v79, v75, v71
	;;#ASMEND
	;;#ASMSTART
	v_dot2_f32_f16 v71, v80, v76, v71
	;;#ASMEND
	s_waitcnt lgkmcnt(2)
	;;#ASMSTART
	v_dot2_f32_f16 v44, v77, v85, v44
	;;#ASMEND
	;;#ASMSTART
	v_dot2_f32_f16 v44, v78, v86, v44
	;;#ASMEND
	;;#ASMSTART
	v_dot2_f32_f16 v44, v79, v87, v44
	;;#ASMEND
	;;#ASMSTART
	v_dot2_f32_f16 v44, v80, v88, v44
	;;#ASMEND
	;; [unrolled: 13-line block ×4, first 2 shown]
	;;#ASMSTART
	v_dot2_f32_f16 v72, v81, v73, v72
	;;#ASMEND
	;;#ASMSTART
	v_dot2_f32_f16 v72, v82, v74, v72
	;;#ASMEND
	;; [unrolled: 3-line block ×16, first 2 shown]
	s_barrier
	global_load_dwordx4 v[73:76], v[2:3], off offset:128
	s_nop 0
	global_load_dwordx4 v[2:5], v[4:5], off offset:128
	s_waitcnt vmcnt(1)
	ds_write_b128 v47, v[73:76]
	s_waitcnt vmcnt(0)
	ds_write_b128 v48, v[2:5]
	s_waitcnt lgkmcnt(0)
	s_barrier
	ds_read_b128 v[2:5], v49 offset:128
	ds_read_b128 v[73:76], v50
	ds_read_b128 v[77:80], v50 offset:4608
	ds_read_b128 v[81:84], v49 offset:384
	;; [unrolled: 1-line block ×4, first 2 shown]
	s_waitcnt lgkmcnt(4)
	;;#ASMSTART
	v_dot2_f32_f16 v71, v73, v2, v71
	;;#ASMEND
	;;#ASMSTART
	v_dot2_f32_f16 v71, v74, v3, v71
	;;#ASMEND
	;;#ASMSTART
	v_dot2_f32_f16 v71, v75, v4, v71
	;;#ASMEND
	;;#ASMSTART
	v_dot2_f32_f16 v71, v76, v5, v71
	;;#ASMEND
	s_waitcnt lgkmcnt(2)
	;;#ASMSTART
	v_dot2_f32_f16 v44, v73, v81, v44
	;;#ASMEND
	;;#ASMSTART
	v_dot2_f32_f16 v44, v74, v82, v44
	;;#ASMEND
	;;#ASMSTART
	v_dot2_f32_f16 v44, v75, v83, v44
	;;#ASMEND
	;;#ASMSTART
	v_dot2_f32_f16 v44, v76, v84, v44
	;;#ASMEND
	s_waitcnt lgkmcnt(1)
	;;#ASMSTART
	v_dot2_f32_f16 v43, v73, v85, v43
	;;#ASMEND
	;;#ASMSTART
	v_dot2_f32_f16 v43, v74, v86, v43
	;;#ASMEND
	;;#ASMSTART
	v_dot2_f32_f16 v43, v75, v87, v43
	;;#ASMEND
	;;#ASMSTART
	v_dot2_f32_f16 v43, v76, v88, v43
	;;#ASMEND
	s_waitcnt lgkmcnt(0)
	;;#ASMSTART
	v_dot2_f32_f16 v41, v73, v89, v41
	;;#ASMEND
	;;#ASMSTART
	v_dot2_f32_f16 v41, v74, v90, v41
	;;#ASMEND
	;;#ASMSTART
	v_dot2_f32_f16 v41, v75, v91, v41
	;;#ASMEND
	;;#ASMSTART
	v_dot2_f32_f16 v41, v76, v92, v41
	;;#ASMEND
	;;#ASMSTART
	v_dot2_f32_f16 v72, v77, v2, v72
	;;#ASMEND
	;;#ASMSTART
	v_dot2_f32_f16 v72, v78, v3, v72
	;;#ASMEND
	;; [unrolled: 3-line block ×16, first 2 shown]
	ds_read_b128 v[2:5], v49 offset:144
	ds_read_b128 v[73:76], v50 offset:16
	;; [unrolled: 1-line block ×6, first 2 shown]
	s_waitcnt lgkmcnt(4)
	;;#ASMSTART
	v_dot2_f32_f16 v71, v73, v2, v71
	;;#ASMEND
	;;#ASMSTART
	v_dot2_f32_f16 v71, v74, v3, v71
	;;#ASMEND
	;;#ASMSTART
	v_dot2_f32_f16 v71, v75, v4, v71
	;;#ASMEND
	;;#ASMSTART
	v_dot2_f32_f16 v71, v76, v5, v71
	;;#ASMEND
	s_waitcnt lgkmcnt(2)
	;;#ASMSTART
	v_dot2_f32_f16 v44, v73, v81, v44
	;;#ASMEND
	;;#ASMSTART
	v_dot2_f32_f16 v44, v74, v82, v44
	;;#ASMEND
	;;#ASMSTART
	v_dot2_f32_f16 v44, v75, v83, v44
	;;#ASMEND
	;;#ASMSTART
	v_dot2_f32_f16 v44, v76, v84, v44
	;;#ASMEND
	;; [unrolled: 13-line block ×4, first 2 shown]
	;;#ASMSTART
	v_dot2_f32_f16 v72, v77, v2, v72
	;;#ASMEND
	;;#ASMSTART
	v_dot2_f32_f16 v72, v78, v3, v72
	;;#ASMEND
	;; [unrolled: 3-line block ×16, first 2 shown]
	ds_read_b128 v[2:5], v49 offset:160
	ds_read_b128 v[73:76], v50 offset:32
	;; [unrolled: 1-line block ×6, first 2 shown]
	s_waitcnt lgkmcnt(4)
	;;#ASMSTART
	v_dot2_f32_f16 v71, v73, v2, v71
	;;#ASMEND
	;;#ASMSTART
	v_dot2_f32_f16 v71, v74, v3, v71
	;;#ASMEND
	;;#ASMSTART
	v_dot2_f32_f16 v71, v75, v4, v71
	;;#ASMEND
	;;#ASMSTART
	v_dot2_f32_f16 v71, v76, v5, v71
	;;#ASMEND
	s_waitcnt lgkmcnt(2)
	;;#ASMSTART
	v_dot2_f32_f16 v44, v73, v81, v44
	;;#ASMEND
	;;#ASMSTART
	v_dot2_f32_f16 v44, v74, v82, v44
	;;#ASMEND
	;;#ASMSTART
	v_dot2_f32_f16 v44, v75, v83, v44
	;;#ASMEND
	;;#ASMSTART
	v_dot2_f32_f16 v44, v76, v84, v44
	;;#ASMEND
	s_waitcnt lgkmcnt(1)
	;;#ASMSTART
	v_dot2_f32_f16 v43, v73, v85, v43
	;;#ASMEND
	;;#ASMSTART
	v_dot2_f32_f16 v43, v74, v86, v43
	;;#ASMEND
	;;#ASMSTART
	v_dot2_f32_f16 v43, v75, v87, v43
	;;#ASMEND
	;;#ASMSTART
	v_dot2_f32_f16 v43, v76, v88, v43
	;;#ASMEND
	s_waitcnt lgkmcnt(0)
	;;#ASMSTART
	v_dot2_f32_f16 v41, v73, v89, v41
	;;#ASMEND
	;;#ASMSTART
	v_dot2_f32_f16 v41, v74, v90, v41
	;;#ASMEND
	;;#ASMSTART
	v_dot2_f32_f16 v41, v75, v91, v41
	;;#ASMEND
	;;#ASMSTART
	v_dot2_f32_f16 v41, v76, v92, v41
	;;#ASMEND
	;;#ASMSTART
	v_dot2_f32_f16 v72, v77, v2, v72
	;;#ASMEND
	;;#ASMSTART
	v_dot2_f32_f16 v72, v78, v3, v72
	;;#ASMEND
	;; [unrolled: 3-line block ×16, first 2 shown]
	ds_read_b128 v[2:5], v49 offset:176
	ds_read_b128 v[73:76], v50 offset:48
	;; [unrolled: 1-line block ×6, first 2 shown]
	s_waitcnt lgkmcnt(4)
	;;#ASMSTART
	v_dot2_f32_f16 v71, v73, v2, v71
	;;#ASMEND
	;;#ASMSTART
	v_dot2_f32_f16 v71, v74, v3, v71
	;;#ASMEND
	;;#ASMSTART
	v_dot2_f32_f16 v71, v75, v4, v71
	;;#ASMEND
	;;#ASMSTART
	v_dot2_f32_f16 v71, v76, v5, v71
	;;#ASMEND
	s_waitcnt lgkmcnt(2)
	;;#ASMSTART
	v_dot2_f32_f16 v44, v73, v81, v44
	;;#ASMEND
	;;#ASMSTART
	v_dot2_f32_f16 v44, v74, v82, v44
	;;#ASMEND
	;;#ASMSTART
	v_dot2_f32_f16 v44, v75, v83, v44
	;;#ASMEND
	;;#ASMSTART
	v_dot2_f32_f16 v44, v76, v84, v44
	;;#ASMEND
	;; [unrolled: 13-line block ×4, first 2 shown]
	;;#ASMSTART
	v_dot2_f32_f16 v72, v77, v2, v72
	;;#ASMEND
	;;#ASMSTART
	v_dot2_f32_f16 v72, v78, v3, v72
	;;#ASMEND
	;; [unrolled: 3-line block ×16, first 2 shown]
	ds_read_b128 v[2:5], v49 offset:192
	ds_read_b128 v[73:76], v50 offset:64
	;; [unrolled: 1-line block ×6, first 2 shown]
	s_waitcnt lgkmcnt(4)
	;;#ASMSTART
	v_dot2_f32_f16 v71, v73, v2, v71
	;;#ASMEND
	;;#ASMSTART
	v_dot2_f32_f16 v71, v74, v3, v71
	;;#ASMEND
	;;#ASMSTART
	v_dot2_f32_f16 v71, v75, v4, v71
	;;#ASMEND
	;;#ASMSTART
	v_dot2_f32_f16 v71, v76, v5, v71
	;;#ASMEND
	s_waitcnt lgkmcnt(2)
	;;#ASMSTART
	v_dot2_f32_f16 v44, v73, v81, v44
	;;#ASMEND
	;;#ASMSTART
	v_dot2_f32_f16 v44, v74, v82, v44
	;;#ASMEND
	;;#ASMSTART
	v_dot2_f32_f16 v44, v75, v83, v44
	;;#ASMEND
	;;#ASMSTART
	v_dot2_f32_f16 v44, v76, v84, v44
	;;#ASMEND
	;; [unrolled: 13-line block ×4, first 2 shown]
	;;#ASMSTART
	v_dot2_f32_f16 v72, v77, v2, v72
	;;#ASMEND
	;;#ASMSTART
	v_dot2_f32_f16 v72, v78, v3, v72
	;;#ASMEND
	;; [unrolled: 3-line block ×16, first 2 shown]
	ds_read_b128 v[2:5], v49 offset:208
	ds_read_b128 v[73:76], v50 offset:80
	;; [unrolled: 1-line block ×6, first 2 shown]
	s_waitcnt lgkmcnt(4)
	;;#ASMSTART
	v_dot2_f32_f16 v71, v73, v2, v71
	;;#ASMEND
	;;#ASMSTART
	v_dot2_f32_f16 v71, v74, v3, v71
	;;#ASMEND
	;;#ASMSTART
	v_dot2_f32_f16 v71, v75, v4, v71
	;;#ASMEND
	;;#ASMSTART
	v_dot2_f32_f16 v71, v76, v5, v71
	;;#ASMEND
	s_waitcnt lgkmcnt(2)
	;;#ASMSTART
	v_dot2_f32_f16 v44, v73, v81, v44
	;;#ASMEND
	;;#ASMSTART
	v_dot2_f32_f16 v44, v74, v82, v44
	;;#ASMEND
	;;#ASMSTART
	v_dot2_f32_f16 v44, v75, v83, v44
	;;#ASMEND
	;;#ASMSTART
	v_dot2_f32_f16 v44, v76, v84, v44
	;;#ASMEND
	;; [unrolled: 13-line block ×4, first 2 shown]
	;;#ASMSTART
	v_dot2_f32_f16 v72, v77, v2, v72
	;;#ASMEND
	;;#ASMSTART
	v_dot2_f32_f16 v72, v78, v3, v72
	;;#ASMEND
	;; [unrolled: 3-line block ×16, first 2 shown]
	ds_read_b128 v[2:5], v49 offset:224
	ds_read_b128 v[73:76], v50 offset:96
	;; [unrolled: 1-line block ×6, first 2 shown]
	s_waitcnt lgkmcnt(4)
	;;#ASMSTART
	v_dot2_f32_f16 v71, v73, v2, v71
	;;#ASMEND
	;;#ASMSTART
	v_dot2_f32_f16 v71, v74, v3, v71
	;;#ASMEND
	;;#ASMSTART
	v_dot2_f32_f16 v71, v75, v4, v71
	;;#ASMEND
	;;#ASMSTART
	v_dot2_f32_f16 v71, v76, v5, v71
	;;#ASMEND
	s_waitcnt lgkmcnt(2)
	;;#ASMSTART
	v_dot2_f32_f16 v44, v73, v81, v44
	;;#ASMEND
	;;#ASMSTART
	v_dot2_f32_f16 v44, v74, v82, v44
	;;#ASMEND
	;;#ASMSTART
	v_dot2_f32_f16 v44, v75, v83, v44
	;;#ASMEND
	;;#ASMSTART
	v_dot2_f32_f16 v44, v76, v84, v44
	;;#ASMEND
	;; [unrolled: 13-line block ×4, first 2 shown]
	;;#ASMSTART
	v_dot2_f32_f16 v72, v77, v2, v72
	;;#ASMEND
	;;#ASMSTART
	v_dot2_f32_f16 v72, v78, v3, v72
	;;#ASMEND
	;; [unrolled: 3-line block ×16, first 2 shown]
	ds_read_b128 v[2:5], v49 offset:240
	ds_read_b128 v[73:76], v50 offset:112
	;; [unrolled: 1-line block ×6, first 2 shown]
	s_waitcnt lgkmcnt(4)
	;;#ASMSTART
	v_dot2_f32_f16 v71, v73, v2, v71
	;;#ASMEND
	;;#ASMSTART
	v_dot2_f32_f16 v71, v74, v3, v71
	;;#ASMEND
	;;#ASMSTART
	v_dot2_f32_f16 v71, v75, v4, v71
	;;#ASMEND
	;;#ASMSTART
	v_dot2_f32_f16 v71, v76, v5, v71
	;;#ASMEND
	s_waitcnt lgkmcnt(2)
	;;#ASMSTART
	v_dot2_f32_f16 v44, v73, v81, v44
	;;#ASMEND
	;;#ASMSTART
	v_dot2_f32_f16 v44, v74, v82, v44
	;;#ASMEND
	;;#ASMSTART
	v_dot2_f32_f16 v44, v75, v83, v44
	;;#ASMEND
	;;#ASMSTART
	v_dot2_f32_f16 v44, v76, v84, v44
	;;#ASMEND
	;; [unrolled: 13-line block ×4, first 2 shown]
	;;#ASMSTART
	v_dot2_f32_f16 v72, v77, v2, v72
	;;#ASMEND
	;;#ASMSTART
	v_dot2_f32_f16 v72, v78, v3, v72
	;;#ASMEND
	;; [unrolled: 3-line block ×13, first 2 shown]
	v_add_u32_e32 v76, s19, v0
	;;#ASMSTART
	v_dot2_f32_f16 v42, v78, v90, v42
	;;#ASMEND
	v_add_u32_e32 v2, v76, v40
	;;#ASMSTART
	v_dot2_f32_f16 v42, v79, v91, v42
	;;#ASMEND
	v_ashrrev_i32_e32 v3, 31, v2
	v_mov_b32_e32 v4, 0
	;;#ASMSTART
	v_dot2_f32_f16 v42, v80, v92, v42
	;;#ASMEND
	s_cbranch_vccnz .LBB56_10
; %bb.9:                                ;   in Loop: Header=BB56_8 Depth=1
	v_lshlrev_b64 v[4:5], 1, v[2:3]
	v_mov_b32_e32 v73, s45
	v_add_co_u32_e32 v4, vcc, s44, v4
	v_addc_co_u32_e32 v5, vcc, v73, v5, vcc
	global_load_ushort v4, v[4:5], off
	s_waitcnt vmcnt(0)
	v_cvt_f32_f16_e32 v4, v4
	v_mul_f32_e32 v4, v26, v4
.LBB56_10:                              ;   in Loop: Header=BB56_8 Depth=1
	v_mov_b32_e32 v73, 0
	s_and_b64 vcc, exec, s[6:7]
	v_mov_b32_e32 v74, 0
	s_cbranch_vccnz .LBB56_12
; %bb.11:                               ;   in Loop: Header=BB56_8 Depth=1
	v_lshlrev_b64 v[2:3], 1, v[2:3]
	v_mov_b32_e32 v5, s45
	v_add_co_u32_e32 v2, vcc, s44, v2
	v_addc_co_u32_e32 v3, vcc, v5, v3, vcc
	global_load_ushort v2, v[2:3], off offset:64
	s_waitcnt vmcnt(0)
	v_cvt_f32_f16_e32 v2, v2
	v_mul_f32_e32 v74, v26, v2
.LBB56_12:                              ;   in Loop: Header=BB56_8 Depth=1
	v_and_b32_e32 v3, 0x60, v59
	v_add_f32_e32 v5, v71, v4
	v_add_u32_e32 v3, 32, v3
	v_xor_b32_e32 v4, 16, v59
	v_cmp_lt_i32_e32 vcc, v4, v3
	v_add_f32_e32 v71, v72, v74
	v_add_f32_e32 v2, 0x40051340, v5
	v_cndmask_b32_e32 v4, v59, v4, vcc
	v_add_f32_e32 v72, 0x40051340, v71
	v_lshlrev_b32_e32 v4, 2, v4
	v_max3_f32 v2, v68, v2, v72
	ds_bpermute_b32 v72, v4, v2
	v_xor_b32_e32 v74, 8, v59
	v_cmp_lt_i32_e32 vcc, v74, v3
	v_cndmask_b32_e32 v74, v59, v74, vcc
	v_lshlrev_b32_e32 v78, 2, v74
	s_waitcnt lgkmcnt(0)
	v_max_f32_e32 v72, v72, v72
	v_max_f32_e32 v2, v2, v72
	ds_bpermute_b32 v72, v78, v2
	v_xor_b32_e32 v74, 4, v59
	v_cmp_lt_i32_e32 vcc, v74, v3
	v_cndmask_b32_e32 v74, v59, v74, vcc
	v_lshlrev_b32_e32 v79, 2, v74
	s_waitcnt lgkmcnt(0)
	v_max_f32_e32 v72, v72, v72
	v_max_f32_e32 v2, v2, v72
	;; [unrolled: 8-line block ×4, first 2 shown]
	ds_bpermute_b32 v81, v75, v80
	v_add_u32_e32 v2, v76, v51
	s_and_b64 vcc, exec, s[6:7]
	v_ashrrev_i32_e32 v3, 31, v2
	s_cbranch_vccnz .LBB56_14
; %bb.13:                               ;   in Loop: Header=BB56_8 Depth=1
	v_lshlrev_b64 v[72:73], 1, v[2:3]
	v_mov_b32_e32 v74, s45
	v_add_co_u32_e32 v72, vcc, s44, v72
	v_addc_co_u32_e32 v73, vcc, v74, v73, vcc
	global_load_ushort v72, v[72:73], off
	s_waitcnt vmcnt(0)
	v_cvt_f32_f16_e32 v72, v72
	v_mul_f32_e32 v73, v26, v72
.LBB56_14:                              ;   in Loop: Header=BB56_8 Depth=1
	v_mov_b32_e32 v84, 0
	s_and_b64 vcc, exec, s[6:7]
	v_mov_b32_e32 v72, 0
	s_cbranch_vccnz .LBB56_16
; %bb.15:                               ;   in Loop: Header=BB56_8 Depth=1
	v_lshlrev_b64 v[2:3], 1, v[2:3]
	v_mov_b32_e32 v72, s45
	v_add_co_u32_e32 v2, vcc, s44, v2
	v_addc_co_u32_e32 v3, vcc, v72, v3, vcc
	global_load_ushort v2, v[2:3], off offset:64
	s_waitcnt vmcnt(0)
	v_cvt_f32_f16_e32 v2, v2
	v_mul_f32_e32 v72, v26, v2
.LBB56_16:                              ;   in Loop: Header=BB56_8 Depth=1
	v_add_f32_e32 v74, v44, v73
	v_add_f32_e32 v72, v70, v72
	;; [unrolled: 1-line block ×4, first 2 shown]
	v_max3_f32 v2, v66, v2, v3
	ds_bpermute_b32 v3, v4, v2
	s_and_b64 vcc, exec, s[6:7]
	s_waitcnt lgkmcnt(0)
	v_max_f32_e32 v3, v3, v3
	v_max_f32_e32 v2, v2, v3
	ds_bpermute_b32 v3, v78, v2
	s_waitcnt lgkmcnt(0)
	v_max_f32_e32 v3, v3, v3
	v_max_f32_e32 v2, v2, v3
	ds_bpermute_b32 v3, v79, v2
	;; [unrolled: 4-line block ×4, first 2 shown]
	v_add_u32_e32 v2, v76, v52
	v_ashrrev_i32_e32 v3, 31, v2
	s_cbranch_vccnz .LBB56_18
; %bb.17:                               ;   in Loop: Header=BB56_8 Depth=1
	v_lshlrev_b64 v[83:84], 1, v[2:3]
	v_mov_b32_e32 v44, s45
	v_add_co_u32_e32 v83, vcc, s44, v83
	v_addc_co_u32_e32 v84, vcc, v44, v84, vcc
	global_load_ushort v44, v[83:84], off
	s_waitcnt vmcnt(0)
	v_cvt_f32_f16_e32 v44, v44
	v_mul_f32_e32 v84, v26, v44
.LBB56_18:                              ;   in Loop: Header=BB56_8 Depth=1
	v_mov_b32_e32 v83, 0
	s_and_b64 vcc, exec, s[6:7]
	v_mov_b32_e32 v44, 0
	s_cbranch_vccnz .LBB56_20
; %bb.19:                               ;   in Loop: Header=BB56_8 Depth=1
	v_lshlrev_b64 v[2:3], 1, v[2:3]
	v_mov_b32_e32 v44, s45
	v_add_co_u32_e32 v2, vcc, s44, v2
	v_addc_co_u32_e32 v3, vcc, v44, v3, vcc
	global_load_ushort v2, v[2:3], off offset:64
	s_waitcnt vmcnt(0)
	v_cvt_f32_f16_e32 v2, v2
	v_mul_f32_e32 v44, v26, v2
.LBB56_20:                              ;   in Loop: Header=BB56_8 Depth=1
	v_add_f32_e32 v73, v43, v84
	v_add_f32_e32 v44, v69, v44
	;; [unrolled: 1-line block ×4, first 2 shown]
	v_max3_f32 v2, v64, v2, v3
	ds_bpermute_b32 v3, v4, v2
	s_and_b64 vcc, exec, s[6:7]
	s_waitcnt lgkmcnt(0)
	v_max_f32_e32 v3, v3, v3
	v_max_f32_e32 v2, v2, v3
	ds_bpermute_b32 v3, v78, v2
	s_waitcnt lgkmcnt(0)
	v_max_f32_e32 v3, v3, v3
	v_max_f32_e32 v2, v2, v3
	ds_bpermute_b32 v3, v79, v2
	;; [unrolled: 4-line block ×4, first 2 shown]
	v_add_u32_e32 v2, v76, v53
	v_ashrrev_i32_e32 v3, 31, v2
	s_cbranch_vccnz .LBB56_22
; %bb.21:                               ;   in Loop: Header=BB56_8 Depth=1
	v_lshlrev_b64 v[86:87], 1, v[2:3]
	v_mov_b32_e32 v43, s45
	v_add_co_u32_e32 v86, vcc, s44, v86
	v_addc_co_u32_e32 v87, vcc, v43, v87, vcc
	global_load_ushort v43, v[86:87], off
	s_waitcnt vmcnt(0)
	v_cvt_f32_f16_e32 v43, v43
	v_mul_f32_e32 v83, v26, v43
.LBB56_22:                              ;   in Loop: Header=BB56_8 Depth=1
	s_and_b64 vcc, exec, s[6:7]
	s_cbranch_vccnz .LBB56_24
; %bb.23:                               ;   in Loop: Header=BB56_8 Depth=1
	v_lshlrev_b64 v[2:3], 1, v[2:3]
	v_mov_b32_e32 v43, s45
	v_add_co_u32_e32 v2, vcc, s44, v2
	v_addc_co_u32_e32 v3, vcc, v43, v3, vcc
	global_load_ushort v2, v[2:3], off offset:64
	s_waitcnt vmcnt(0)
	v_cvt_f32_f16_e32 v2, v2
	v_mul_f32_e32 v2, v26, v2
	s_branch .LBB56_25
.LBB56_24:                              ;   in Loop: Header=BB56_8 Depth=1
	v_mov_b32_e32 v2, 0
.LBB56_25:                              ;   in Loop: Header=BB56_8 Depth=1
	v_add_f32_e32 v69, v41, v83
	v_add_f32_e32 v43, v42, v2
	;; [unrolled: 1-line block ×4, first 2 shown]
	v_max3_f32 v2, v62, v3, v2
	ds_bpermute_b32 v3, v4, v2
	s_waitcnt lgkmcnt(1)
	v_max_f32_e32 v4, v85, v85
	v_max_f32_e32 v41, v84, v84
	;; [unrolled: 1-line block ×4, first 2 shown]
	s_waitcnt lgkmcnt(0)
	v_max_f32_e32 v3, v3, v3
	v_max_f32_e32 v2, v2, v3
	ds_bpermute_b32 v3, v78, v2
	v_max_f32_e32 v78, v80, v80
	v_max_f32_e32 v70, v70, v70
	;; [unrolled: 1-line block ×3, first 2 shown]
	v_sub_f32_e32 v44, v44, v4
	s_waitcnt lgkmcnt(0)
	v_max_f32_e32 v3, v3, v3
	v_max_f32_e32 v80, v2, v3
	ds_bpermute_b32 v79, v79, v80
	v_max_f32_e32 v3, v70, v42
	v_max_f32_e32 v2, v78, v76
	v_sub_f32_e32 v70, v5, v2
	v_mul_f32_e32 v5, 0x3fb8aa3b, v70
	s_waitcnt lgkmcnt(0)
	v_max_f32_e32 v41, v79, v79
	v_max_f32_e32 v41, v80, v41
	ds_bpermute_b32 v42, v77, v41
	v_fma_f32 v76, v70, s23, -v5
	v_rndne_f32_e32 v77, v5
	v_fmac_f32_e32 v76, 0x32a5705f, v70
	v_sub_f32_e32 v5, v5, v77
	s_waitcnt lgkmcnt(0)
	v_max_f32_e32 v42, v42, v42
	v_max_f32_e32 v41, v41, v42
	ds_bpermute_b32 v42, v75, v41
	v_add_f32_e32 v5, v5, v76
	v_exp_f32_e32 v75, v5
	v_sub_f32_e32 v76, v68, v2
	v_cmp_ngt_f32_e32 vcc, s36, v70
	s_waitcnt lgkmcnt(0)
	v_max_f32_e32 v5, v42, v42
	v_max_f32_e32 v5, v41, v5
	v_cvt_i32_f32_e32 v41, v77
	v_sub_f32_e32 v42, v71, v2
	v_mul_f32_e32 v68, 0x3fb8aa3b, v42
	v_fma_f32 v71, v42, s23, -v68
	v_ldexp_f32 v41, v75, v41
	v_rndne_f32_e32 v75, v68
	v_fmac_f32_e32 v71, 0x32a5705f, v42
	v_sub_f32_e32 v68, v68, v75
	v_add_f32_e32 v68, v68, v71
	v_exp_f32_e32 v71, v68
	v_cvt_i32_f32_e32 v75, v75
	v_cndmask_b32_e32 v41, 0, v41, vcc
	v_cmp_nlt_f32_e32 vcc, s37, v70
	v_cndmask_b32_e32 v41, v60, v41, vcc
	v_ldexp_f32 v70, v71, v75
	v_mul_f32_e32 v71, 0x3fb8aa3b, v76
	v_fma_f32 v75, v76, s23, -v71
	v_rndne_f32_e32 v77, v71
	v_fmac_f32_e32 v75, 0x32a5705f, v76
	v_sub_f32_e32 v71, v71, v77
	v_add_f32_e32 v71, v71, v75
	v_exp_f32_e32 v71, v71
	v_cvt_i32_f32_e32 v75, v77
	v_cmp_ngt_f32_e32 vcc, s36, v42
	v_cndmask_b32_e32 v70, 0, v70, vcc
	v_cmp_nlt_f32_e32 vcc, s37, v42
	v_cndmask_b32_e32 v70, v60, v70, vcc
	v_cvt_f16_f32_e32 v68, v41
	v_add_f32_e32 v42, v41, v70
	v_ldexp_f32 v41, v71, v75
	v_cmp_ngt_f32_e32 vcc, s36, v76
	v_cndmask_b32_e32 v41, 0, v41, vcc
	v_cmp_nlt_f32_e32 vcc, s37, v76
	v_cndmask_b32_e32 v41, v60, v41, vcc
	v_sub_f32_e32 v71, v74, v3
	v_fmac_f32_e32 v42, v67, v41
	v_mul_f32_e32 v67, 0x3fb8aa3b, v71
	v_fma_f32 v74, v71, s23, -v67
	v_rndne_f32_e32 v75, v67
	v_fmac_f32_e32 v74, 0x32a5705f, v71
	v_sub_f32_e32 v67, v67, v75
	v_add_f32_e32 v67, v67, v74
	v_cvt_f16_f32_e32 v41, v41
	v_exp_f32_e32 v74, v67
	v_cvt_i32_f32_e32 v75, v75
	v_sub_f32_e32 v72, v72, v3
	v_mul_u32_u24_e32 v67, 0x10001, v41
	v_sub_f32_e32 v66, v66, v3
	v_ldexp_f32 v41, v74, v75
	v_mul_f32_e32 v74, 0x3fb8aa3b, v72
	v_fma_f32 v75, v72, s23, -v74
	v_rndne_f32_e32 v76, v74
	v_fmac_f32_e32 v75, 0x32a5705f, v72
	v_sub_f32_e32 v74, v74, v76
	v_add_f32_e32 v74, v74, v75
	v_exp_f32_e32 v74, v74
	v_cvt_i32_f32_e32 v75, v76
	v_cmp_ngt_f32_e32 vcc, s36, v71
	v_cndmask_b32_e32 v41, 0, v41, vcc
	v_cmp_nlt_f32_e32 vcc, s37, v71
	v_ldexp_f32 v71, v74, v75
	v_mul_f32_e32 v74, 0x3fb8aa3b, v66
	v_fma_f32 v75, v66, s23, -v74
	v_rndne_f32_e32 v76, v74
	v_fmac_f32_e32 v75, 0x32a5705f, v66
	v_sub_f32_e32 v74, v74, v76
	v_add_f32_e32 v74, v74, v75
	v_exp_f32_e32 v74, v74
	v_cvt_i32_f32_e32 v75, v76
	v_cndmask_b32_e32 v41, v60, v41, vcc
	v_cmp_ngt_f32_e32 vcc, s36, v72
	v_cndmask_b32_e32 v71, 0, v71, vcc
	v_cmp_nlt_f32_e32 vcc, s37, v72
	v_cndmask_b32_e32 v71, v60, v71, vcc
	v_cvt_f16_f32_e32 v79, v41
	v_add_f32_e32 v41, v41, v71
	v_cvt_f16_f32_e32 v80, v71
	v_ldexp_f32 v71, v74, v75
	v_cmp_ngt_f32_e32 vcc, s36, v66
	v_cndmask_b32_e32 v71, 0, v71, vcc
	v_cmp_nlt_f32_e32 vcc, s37, v66
	v_cndmask_b32_e32 v66, v60, v71, vcc
	v_fmac_f32_e32 v41, v65, v66
	v_cvt_f16_f32_e32 v65, v66
	v_sub_f32_e32 v66, v73, v4
	v_mul_f32_e32 v71, 0x3fb8aa3b, v66
	v_fma_f32 v72, v66, s23, -v71
	v_rndne_f32_e32 v73, v71
	v_fmac_f32_e32 v72, 0x32a5705f, v66
	v_sub_f32_e32 v71, v71, v73
	v_add_f32_e32 v71, v71, v72
	v_exp_f32_e32 v71, v71
	v_cvt_i32_f32_e32 v72, v73
	v_mul_u32_u24_e32 v84, 0x10001, v65
	v_mul_f32_e32 v65, 0x3fb8aa3b, v44
	v_sub_f32_e32 v81, v64, v4
	v_ldexp_f32 v64, v71, v72
	v_fma_f32 v71, v44, s23, -v65
	v_rndne_f32_e32 v72, v65
	v_fmac_f32_e32 v71, 0x32a5705f, v44
	v_sub_f32_e32 v65, v65, v72
	v_add_f32_e32 v65, v65, v71
	v_exp_f32_e32 v65, v65
	v_cvt_i32_f32_e32 v71, v72
	s_mul_hi_i32 s41, s19, s8
	s_mul_i32 s40, s19, s8
	s_lshl_b64 s[40:41], s[40:41], 2
	v_cmp_ngt_f32_e32 vcc, s36, v66
	s_add_u32 s39, s16, s40
	v_cndmask_b32_e32 v64, 0, v64, vcc
	v_cmp_nlt_f32_e32 vcc, s37, v66
	s_addc_u32 s40, s17, s41
	v_cndmask_b32_e32 v66, v60, v64, vcc
	v_ldexp_f32 v83, v65, v71
	v_mov_b32_e32 v64, s40
	v_add_co_u32_e32 v65, vcc, s39, v10
	v_addc_co_u32_e32 v71, vcc, v64, v11, vcc
	v_add_co_u32_e32 v64, vcc, v65, v58
	v_addc_co_u32_e32 v65, vcc, 0, v71, vcc
	v_mov_b32_e32 v71, s40
	v_add_co_u32_e32 v72, vcc, s39, v12
	v_addc_co_u32_e32 v71, vcc, v71, v13, vcc
	v_add_co_u32_e32 v75, vcc, v72, v58
	v_addc_co_u32_e32 v76, vcc, 0, v71, vcc
	s_barrier
	global_load_dwordx4 v[71:74], v[64:65], off
	s_nop 0
	global_load_dwordx4 v[75:78], v[75:76], off
	v_cmp_ngt_f32_e32 vcc, s36, v44
	v_mul_f32_e32 v65, 0x3fb8aa3b, v81
	v_cndmask_b32_e32 v64, 0, v83, vcc
	v_fma_f32 v83, v81, s23, -v65
	v_rndne_f32_e32 v85, v65
	v_fmac_f32_e32 v83, 0x32a5705f, v81
	v_sub_f32_e32 v65, v65, v85
	v_add_f32_e32 v65, v65, v83
	v_exp_f32_e32 v65, v65
	v_cvt_i32_f32_e32 v83, v85
	v_cmp_nlt_f32_e32 vcc, s37, v44
	v_cndmask_b32_e32 v64, v60, v64, vcc
	v_cmp_ngt_f32_e32 vcc, s36, v81
	v_ldexp_f32 v65, v65, v83
	v_cndmask_b32_e32 v65, 0, v65, vcc
	v_cmp_nlt_f32_e32 vcc, s37, v81
	v_add_f32_e32 v44, v66, v64
	v_cndmask_b32_e32 v65, v60, v65, vcc
	v_fmac_f32_e32 v44, v63, v65
	v_cvt_f16_f32_e32 v63, v65
	v_sub_f32_e32 v65, v69, v5
	v_cvt_f16_f32_e32 v82, v66
	v_mul_f32_e32 v66, 0x3fb8aa3b, v65
	v_fma_f32 v69, v65, s23, -v66
	v_rndne_f32_e32 v81, v66
	v_fmac_f32_e32 v69, 0x32a5705f, v65
	v_sub_f32_e32 v66, v66, v81
	v_add_f32_e32 v66, v66, v69
	v_exp_f32_e32 v66, v66
	v_cvt_i32_f32_e32 v69, v81
	v_sub_f32_e32 v43, v43, v5
	v_mul_u32_u24_e32 v85, 0x10001, v63
	v_sub_f32_e32 v62, v62, v5
	v_ldexp_f32 v63, v66, v69
	v_mul_f32_e32 v66, 0x3fb8aa3b, v43
	v_fma_f32 v69, v43, s23, -v66
	v_rndne_f32_e32 v81, v66
	v_fmac_f32_e32 v69, 0x32a5705f, v43
	v_sub_f32_e32 v66, v66, v81
	v_add_f32_e32 v66, v66, v69
	v_exp_f32_e32 v66, v66
	v_cvt_i32_f32_e32 v69, v81
	v_cmp_ngt_f32_e32 vcc, s36, v65
	v_cndmask_b32_e32 v63, 0, v63, vcc
	v_cmp_nlt_f32_e32 vcc, s37, v65
	v_ldexp_f32 v66, v66, v69
	v_mul_f32_e32 v69, 0x3fb8aa3b, v62
	v_fma_f32 v81, v62, s23, -v69
	v_rndne_f32_e32 v83, v69
	v_fmac_f32_e32 v81, 0x32a5705f, v62
	v_sub_f32_e32 v69, v69, v83
	v_add_f32_e32 v69, v69, v81
	v_exp_f32_e32 v69, v69
	v_cvt_i32_f32_e32 v81, v83
	v_cndmask_b32_e32 v63, v60, v63, vcc
	v_cmp_ngt_f32_e32 vcc, s36, v43
	v_cndmask_b32_e32 v66, 0, v66, vcc
	v_cmp_nlt_f32_e32 vcc, s37, v43
	v_cndmask_b32_e32 v66, v60, v66, vcc
	v_ldexp_f32 v43, v69, v81
	v_cmp_ngt_f32_e32 vcc, s36, v62
	v_cndmask_b32_e32 v43, 0, v43, vcc
	v_cmp_nlt_f32_e32 vcc, s37, v62
	v_cndmask_b32_e32 v62, v60, v43, vcc
	v_cvt_f16_f32_e32 v69, v62
	v_cvt_f16_f32_e32 v70, v70
	;; [unrolled: 1-line block ×4, first 2 shown]
	v_add_f32_e32 v43, v63, v66
	v_cvt_f16_f32_e32 v63, v66
	v_fmac_f32_e32 v43, v61, v62
	v_mul_u32_u24_e32 v61, 0x10001, v69
	v_pk_mul_f16 v29, v29, v61
	v_pk_mul_f16 v27, v27, v61
	v_add_u32_e32 v66, v54, v23
	v_pack_b32_f16 v62, v82, v65
	v_pack_b32_f16 v61, v68, v79
	;; [unrolled: 1-line block ×4, first 2 shown]
	ds_write2_b64 v66, v[61:62], v[63:64] offset1:32
	s_waitcnt vmcnt(1)
	ds_write_b128 v55, v[71:74]
	s_waitcnt vmcnt(0)
	ds_write_b128 v56, v[75:78]
	s_waitcnt lgkmcnt(0)
	s_barrier
	ds_read_b128 v[61:64], v54
	ds_read2_b64 v[68:71], v23 offset1:32
	ds_read_b128 v[72:75], v54 offset:16
	ds_read_b128 v[76:79], v54 offset:32
	;; [unrolled: 1-line block ×3, first 2 shown]
	s_waitcnt lgkmcnt(4)
	v_mul_u32_u24_sdwa v65, v61, s38 dst_sel:DWORD dst_unused:UNUSED_PAD src0_sel:WORD_0 src1_sel:DWORD
	v_mul_u32_u24_sdwa v61, v61, s38 dst_sel:DWORD dst_unused:UNUSED_PAD src0_sel:WORD_1 src1_sel:DWORD
	s_waitcnt lgkmcnt(3)
	v_pk_mul_f16 v86, v68, v65
	v_pk_mul_f16 v39, v39, v67
	v_mul_u32_u24_sdwa v66, v62, s38 dst_sel:DWORD dst_unused:UNUSED_PAD src0_sel:WORD_0 src1_sel:DWORD
	v_pk_fma_f16 v35, v35, v67, v86
	v_pk_mul_f16 v67, v68, v61
	v_pk_mul_f16 v38, v38, v84
	;; [unrolled: 1-line block ×3, first 2 shown]
	v_mul_u32_u24_sdwa v62, v62, s38 dst_sel:DWORD dst_unused:UNUSED_PAD src0_sel:WORD_1 src1_sel:DWORD
	v_pk_fma_f16 v32, v32, v84, v67
	v_pk_mul_f16 v67, v68, v66
	v_pk_fma_f16 v30, v30, v85, v67
	v_pk_fma_f16 v29, v68, v62, v29
	;; [unrolled: 1-line block ×6, first 2 shown]
	v_mul_u32_u24_sdwa v61, v63, s38 dst_sel:DWORD dst_unused:UNUSED_PAD src0_sel:WORD_0 src1_sel:DWORD
	v_mul_u32_u24_sdwa v62, v63, s38 dst_sel:DWORD dst_unused:UNUSED_PAD src0_sel:WORD_1 src1_sel:DWORD
	v_mul_u32_u24_sdwa v63, v64, s38 dst_sel:DWORD dst_unused:UNUSED_PAD src0_sel:WORD_0 src1_sel:DWORD
	v_mul_u32_u24_sdwa v64, v64, s38 dst_sel:DWORD dst_unused:UNUSED_PAD src0_sel:WORD_1 src1_sel:DWORD
	v_pk_fma_f16 v35, v70, v61, v35
	v_pk_fma_f16 v32, v70, v62, v32
	;; [unrolled: 1-line block ×8, first 2 shown]
	ds_read2_b64 v[61:64], v23 offset0:64 offset1:96
	s_waitcnt lgkmcnt(3)
	v_mul_u32_u24_sdwa v65, v72, s38 dst_sel:DWORD dst_unused:UNUSED_PAD src0_sel:WORD_0 src1_sel:DWORD
	v_mul_u32_u24_sdwa v66, v72, s38 dst_sel:DWORD dst_unused:UNUSED_PAD src0_sel:WORD_1 src1_sel:DWORD
	v_mul_u32_u24_sdwa v67, v73, s38 dst_sel:DWORD dst_unused:UNUSED_PAD src0_sel:WORD_0 src1_sel:DWORD
	v_mul_u32_u24_sdwa v68, v73, s38 dst_sel:DWORD dst_unused:UNUSED_PAD src0_sel:WORD_1 src1_sel:DWORD
	s_waitcnt lgkmcnt(0)
	v_pk_fma_f16 v35, v61, v65, v35
	v_pk_fma_f16 v32, v61, v66, v32
	;; [unrolled: 1-line block ×8, first 2 shown]
	v_mul_u32_u24_sdwa v61, v74, s38 dst_sel:DWORD dst_unused:UNUSED_PAD src0_sel:WORD_0 src1_sel:DWORD
	v_mul_u32_u24_sdwa v62, v74, s38 dst_sel:DWORD dst_unused:UNUSED_PAD src0_sel:WORD_1 src1_sel:DWORD
	v_mul_u32_u24_sdwa v65, v75, s38 dst_sel:DWORD dst_unused:UNUSED_PAD src0_sel:WORD_0 src1_sel:DWORD
	v_mul_u32_u24_sdwa v66, v75, s38 dst_sel:DWORD dst_unused:UNUSED_PAD src0_sel:WORD_1 src1_sel:DWORD
	v_pk_fma_f16 v35, v63, v61, v35
	v_pk_fma_f16 v32, v63, v62, v32
	;; [unrolled: 1-line block ×8, first 2 shown]
	ds_read2_b64 v[61:64], v23 offset0:128 offset1:160
	v_mul_u32_u24_sdwa v65, v76, s38 dst_sel:DWORD dst_unused:UNUSED_PAD src0_sel:WORD_0 src1_sel:DWORD
	v_mul_u32_u24_sdwa v66, v76, s38 dst_sel:DWORD dst_unused:UNUSED_PAD src0_sel:WORD_1 src1_sel:DWORD
	v_mul_u32_u24_sdwa v67, v77, s38 dst_sel:DWORD dst_unused:UNUSED_PAD src0_sel:WORD_0 src1_sel:DWORD
	v_mul_u32_u24_sdwa v68, v77, s38 dst_sel:DWORD dst_unused:UNUSED_PAD src0_sel:WORD_1 src1_sel:DWORD
	s_waitcnt lgkmcnt(0)
	v_pk_fma_f16 v35, v61, v65, v35
	v_pk_fma_f16 v32, v61, v66, v32
	;; [unrolled: 1-line block ×8, first 2 shown]
	v_mul_u32_u24_sdwa v61, v78, s38 dst_sel:DWORD dst_unused:UNUSED_PAD src0_sel:WORD_0 src1_sel:DWORD
	v_mul_u32_u24_sdwa v62, v78, s38 dst_sel:DWORD dst_unused:UNUSED_PAD src0_sel:WORD_1 src1_sel:DWORD
	v_mul_u32_u24_sdwa v65, v79, s38 dst_sel:DWORD dst_unused:UNUSED_PAD src0_sel:WORD_0 src1_sel:DWORD
	v_mul_u32_u24_sdwa v66, v79, s38 dst_sel:DWORD dst_unused:UNUSED_PAD src0_sel:WORD_1 src1_sel:DWORD
	v_pk_fma_f16 v35, v63, v61, v35
	v_pk_fma_f16 v32, v63, v62, v32
	;; [unrolled: 1-line block ×8, first 2 shown]
	ds_read2_b64 v[61:64], v23 offset0:192 offset1:224
	v_mul_u32_u24_sdwa v65, v80, s38 dst_sel:DWORD dst_unused:UNUSED_PAD src0_sel:WORD_0 src1_sel:DWORD
	v_mul_u32_u24_sdwa v67, v81, s38 dst_sel:DWORD dst_unused:UNUSED_PAD src0_sel:WORD_0 src1_sel:DWORD
	v_mul_u32_u24_sdwa v66, v80, s38 dst_sel:DWORD dst_unused:UNUSED_PAD src0_sel:WORD_1 src1_sel:DWORD
	v_mul_u32_u24_sdwa v68, v81, s38 dst_sel:DWORD dst_unused:UNUSED_PAD src0_sel:WORD_1 src1_sel:DWORD
	s_waitcnt lgkmcnt(0)
	v_pk_fma_f16 v35, v61, v65, v35
	v_pk_fma_f16 v30, v61, v67, v30
	;; [unrolled: 1-line block ×4, first 2 shown]
	v_mul_u32_u24_sdwa v65, v83, s38 dst_sel:DWORD dst_unused:UNUSED_PAD src0_sel:WORD_0 src1_sel:DWORD
	v_pk_fma_f16 v32, v61, v66, v32
	v_pk_fma_f16 v29, v61, v68, v29
	;; [unrolled: 1-line block ×4, first 2 shown]
	v_mul_u32_u24_sdwa v69, v83, s38 dst_sel:DWORD dst_unused:UNUSED_PAD src0_sel:WORD_1 src1_sel:DWORD
	v_pk_fma_f16 v30, v63, v65, v30
	v_pk_fma_f16 v33, v64, v65, v33
	ds_read_b128 v[65:68], v54 offset:64
	v_mul_u32_u24_sdwa v61, v82, s38 dst_sel:DWORD dst_unused:UNUSED_PAD src0_sel:WORD_0 src1_sel:DWORD
	v_mul_u32_u24_sdwa v62, v82, s38 dst_sel:DWORD dst_unused:UNUSED_PAD src0_sel:WORD_1 src1_sel:DWORD
	v_pk_fma_f16 v73, v64, v69, v27
	v_add_u32_e32 v27, 0x800, v23
	v_pk_fma_f16 v35, v63, v61, v35
	v_pk_fma_f16 v32, v63, v62, v32
	;; [unrolled: 1-line block ×5, first 2 shown]
	ds_read2_b64 v[61:64], v27 offset1:32
	ds_read_b128 v[69:72], v54 offset:80
	s_waitcnt lgkmcnt(2)
	v_mul_u32_u24_sdwa v74, v65, s38 dst_sel:DWORD dst_unused:UNUSED_PAD src0_sel:WORD_0 src1_sel:DWORD
	v_mul_u32_u24_sdwa v65, v65, s38 dst_sel:DWORD dst_unused:UNUSED_PAD src0_sel:WORD_1 src1_sel:DWORD
	v_mul_u32_u24_sdwa v75, v66, s38 dst_sel:DWORD dst_unused:UNUSED_PAD src0_sel:WORD_0 src1_sel:DWORD
	v_mul_u32_u24_sdwa v66, v66, s38 dst_sel:DWORD dst_unused:UNUSED_PAD src0_sel:WORD_1 src1_sel:DWORD
	s_waitcnt lgkmcnt(1)
	v_pk_fma_f16 v35, v61, v74, v35
	v_pk_fma_f16 v32, v61, v65, v32
	;; [unrolled: 1-line block ×8, first 2 shown]
	v_mul_u32_u24_sdwa v62, v67, s38 dst_sel:DWORD dst_unused:UNUSED_PAD src0_sel:WORD_0 src1_sel:DWORD
	v_mul_u32_u24_sdwa v65, v67, s38 dst_sel:DWORD dst_unused:UNUSED_PAD src0_sel:WORD_1 src1_sel:DWORD
	v_mul_u32_u24_sdwa v66, v68, s38 dst_sel:DWORD dst_unused:UNUSED_PAD src0_sel:WORD_0 src1_sel:DWORD
	v_mul_u32_u24_sdwa v67, v68, s38 dst_sel:DWORD dst_unused:UNUSED_PAD src0_sel:WORD_1 src1_sel:DWORD
	v_pk_fma_f16 v35, v63, v62, v35
	v_pk_fma_f16 v32, v63, v65, v32
	;; [unrolled: 1-line block ×8, first 2 shown]
	ds_read2_b64 v[61:64], v27 offset0:64 offset1:96
	s_waitcnt lgkmcnt(1)
	v_mul_u32_u24_sdwa v66, v69, s38 dst_sel:DWORD dst_unused:UNUSED_PAD src0_sel:WORD_0 src1_sel:DWORD
	v_mul_u32_u24_sdwa v67, v69, s38 dst_sel:DWORD dst_unused:UNUSED_PAD src0_sel:WORD_1 src1_sel:DWORD
	v_mul_u32_u24_sdwa v68, v70, s38 dst_sel:DWORD dst_unused:UNUSED_PAD src0_sel:WORD_0 src1_sel:DWORD
	v_mul_u32_u24_sdwa v69, v70, s38 dst_sel:DWORD dst_unused:UNUSED_PAD src0_sel:WORD_1 src1_sel:DWORD
	s_waitcnt lgkmcnt(0)
	v_pk_fma_f16 v35, v61, v66, v35
	v_pk_fma_f16 v32, v61, v67, v32
	;; [unrolled: 1-line block ×6, first 2 shown]
	v_mul_u32_u24_sdwa v65, v71, s38 dst_sel:DWORD dst_unused:UNUSED_PAD src0_sel:WORD_1 src1_sel:DWORD
	v_pk_fma_f16 v39, v62, v66, v39
	v_pk_fma_f16 v33, v62, v68, v33
	;; [unrolled: 1-line block ×4, first 2 shown]
	ds_read_b128 v[65:68], v54 offset:96
	v_mul_u32_u24_sdwa v62, v71, s38 dst_sel:DWORD dst_unused:UNUSED_PAD src0_sel:WORD_0 src1_sel:DWORD
	v_mul_u32_u24_sdwa v69, v72, s38 dst_sel:DWORD dst_unused:UNUSED_PAD src0_sel:WORD_0 src1_sel:DWORD
	v_mul_u32_u24_sdwa v70, v72, s38 dst_sel:DWORD dst_unused:UNUSED_PAD src0_sel:WORD_1 src1_sel:DWORD
	v_pk_fma_f16 v35, v63, v62, v35
	v_pk_fma_f16 v30, v63, v69, v30
	v_pk_fma_f16 v29, v63, v70, v29
	v_pk_fma_f16 v39, v64, v62, v39
	v_pk_fma_f16 v33, v64, v69, v33
	v_pk_fma_f16 v73, v64, v70, v61
	ds_read2_b64 v[61:64], v27 offset0:128 offset1:160
	ds_read_b128 v[69:72], v54 offset:112
	s_waitcnt lgkmcnt(2)
	v_mul_u32_u24_sdwa v74, v65, s38 dst_sel:DWORD dst_unused:UNUSED_PAD src0_sel:WORD_0 src1_sel:DWORD
	v_mul_u32_u24_sdwa v65, v65, s38 dst_sel:DWORD dst_unused:UNUSED_PAD src0_sel:WORD_1 src1_sel:DWORD
	v_mul_u32_u24_sdwa v75, v66, s38 dst_sel:DWORD dst_unused:UNUSED_PAD src0_sel:WORD_0 src1_sel:DWORD
	v_mul_u32_u24_sdwa v66, v66, s38 dst_sel:DWORD dst_unused:UNUSED_PAD src0_sel:WORD_1 src1_sel:DWORD
	s_waitcnt lgkmcnt(1)
	v_pk_fma_f16 v35, v61, v74, v35
	v_pk_fma_f16 v32, v61, v65, v32
	;; [unrolled: 1-line block ×8, first 2 shown]
	v_mul_u32_u24_sdwa v62, v67, s38 dst_sel:DWORD dst_unused:UNUSED_PAD src0_sel:WORD_0 src1_sel:DWORD
	v_mul_u32_u24_sdwa v65, v67, s38 dst_sel:DWORD dst_unused:UNUSED_PAD src0_sel:WORD_1 src1_sel:DWORD
	v_mul_u32_u24_sdwa v66, v68, s38 dst_sel:DWORD dst_unused:UNUSED_PAD src0_sel:WORD_0 src1_sel:DWORD
	v_mul_u32_u24_sdwa v67, v68, s38 dst_sel:DWORD dst_unused:UNUSED_PAD src0_sel:WORD_1 src1_sel:DWORD
	v_pk_fma_f16 v35, v63, v62, v35
	v_pk_fma_f16 v32, v63, v65, v32
	;; [unrolled: 1-line block ×8, first 2 shown]
	ds_read2_b64 v[61:64], v27 offset0:192 offset1:224
	s_waitcnt lgkmcnt(1)
	v_mul_u32_u24_sdwa v66, v69, s38 dst_sel:DWORD dst_unused:UNUSED_PAD src0_sel:WORD_0 src1_sel:DWORD
	v_mul_u32_u24_sdwa v67, v69, s38 dst_sel:DWORD dst_unused:UNUSED_PAD src0_sel:WORD_1 src1_sel:DWORD
	v_mul_u32_u24_sdwa v68, v70, s38 dst_sel:DWORD dst_unused:UNUSED_PAD src0_sel:WORD_0 src1_sel:DWORD
	v_mul_u32_u24_sdwa v69, v70, s38 dst_sel:DWORD dst_unused:UNUSED_PAD src0_sel:WORD_1 src1_sel:DWORD
	s_waitcnt lgkmcnt(0)
	v_pk_fma_f16 v35, v61, v66, v35
	v_pk_fma_f16 v32, v61, v67, v32
	v_pk_fma_f16 v30, v61, v68, v30
	v_pk_fma_f16 v29, v61, v69, v29
	v_pk_fma_f16 v39, v62, v66, v39
	v_pk_fma_f16 v38, v62, v67, v38
	v_pk_fma_f16 v33, v62, v68, v33
	v_pk_fma_f16 v61, v62, v69, v65
	v_mul_u32_u24_sdwa v65, v71, s38 dst_sel:DWORD dst_unused:UNUSED_PAD src0_sel:WORD_1 src1_sel:DWORD
	v_mul_u32_u24_sdwa v66, v72, s38 dst_sel:DWORD dst_unused:UNUSED_PAD src0_sel:WORD_0 src1_sel:DWORD
	v_mul_u32_u24_sdwa v69, v72, s38 dst_sel:DWORD dst_unused:UNUSED_PAD src0_sel:WORD_1 src1_sel:DWORD
	v_pk_fma_f16 v32, v63, v65, v32
	v_pk_fma_f16 v30, v63, v66, v30
	;; [unrolled: 1-line block ×4, first 2 shown]
	ds_read_b128 v[65:68], v54 offset:128
	v_mul_u32_u24_sdwa v62, v71, s38 dst_sel:DWORD dst_unused:UNUSED_PAD src0_sel:WORD_0 src1_sel:DWORD
	v_pk_fma_f16 v73, v63, v69, v29
	v_add_u32_e32 v29, 0x1000, v23
	v_pk_fma_f16 v35, v63, v62, v35
	v_pk_fma_f16 v39, v64, v62, v39
	v_pk_fma_f16 v74, v64, v69, v61
	ds_read2_b64 v[61:64], v29 offset1:32
	ds_read_b128 v[69:72], v54 offset:144
	s_waitcnt lgkmcnt(2)
	v_mul_u32_u24_sdwa v75, v65, s38 dst_sel:DWORD dst_unused:UNUSED_PAD src0_sel:WORD_0 src1_sel:DWORD
	v_mul_u32_u24_sdwa v65, v65, s38 dst_sel:DWORD dst_unused:UNUSED_PAD src0_sel:WORD_1 src1_sel:DWORD
	v_mul_u32_u24_sdwa v76, v66, s38 dst_sel:DWORD dst_unused:UNUSED_PAD src0_sel:WORD_0 src1_sel:DWORD
	v_mul_u32_u24_sdwa v66, v66, s38 dst_sel:DWORD dst_unused:UNUSED_PAD src0_sel:WORD_1 src1_sel:DWORD
	s_waitcnt lgkmcnt(1)
	v_pk_fma_f16 v35, v61, v75, v35
	v_pk_fma_f16 v32, v61, v65, v32
	v_pk_fma_f16 v30, v61, v76, v30
	v_pk_fma_f16 v61, v61, v66, v73
	v_pk_fma_f16 v39, v62, v75, v39
	v_pk_fma_f16 v38, v62, v65, v38
	v_pk_fma_f16 v33, v62, v76, v33
	v_pk_fma_f16 v62, v62, v66, v74
	v_mul_u32_u24_sdwa v65, v67, s38 dst_sel:DWORD dst_unused:UNUSED_PAD src0_sel:WORD_0 src1_sel:DWORD
	v_mul_u32_u24_sdwa v66, v67, s38 dst_sel:DWORD dst_unused:UNUSED_PAD src0_sel:WORD_1 src1_sel:DWORD
	v_mul_u32_u24_sdwa v67, v68, s38 dst_sel:DWORD dst_unused:UNUSED_PAD src0_sel:WORD_0 src1_sel:DWORD
	v_mul_u32_u24_sdwa v68, v68, s38 dst_sel:DWORD dst_unused:UNUSED_PAD src0_sel:WORD_1 src1_sel:DWORD
	v_pk_fma_f16 v35, v63, v65, v35
	v_pk_fma_f16 v32, v63, v66, v32
	;; [unrolled: 1-line block ×8, first 2 shown]
	ds_read2_b64 v[61:64], v29 offset0:64 offset1:96
	s_waitcnt lgkmcnt(1)
	v_mul_u32_u24_sdwa v66, v69, s38 dst_sel:DWORD dst_unused:UNUSED_PAD src0_sel:WORD_0 src1_sel:DWORD
	v_mul_u32_u24_sdwa v67, v69, s38 dst_sel:DWORD dst_unused:UNUSED_PAD src0_sel:WORD_1 src1_sel:DWORD
	v_mul_u32_u24_sdwa v68, v70, s38 dst_sel:DWORD dst_unused:UNUSED_PAD src0_sel:WORD_0 src1_sel:DWORD
	v_mul_u32_u24_sdwa v69, v70, s38 dst_sel:DWORD dst_unused:UNUSED_PAD src0_sel:WORD_1 src1_sel:DWORD
	s_waitcnt lgkmcnt(0)
	v_pk_fma_f16 v35, v61, v66, v35
	v_pk_fma_f16 v32, v61, v67, v32
	;; [unrolled: 1-line block ×6, first 2 shown]
	v_mul_u32_u24_sdwa v65, v71, s38 dst_sel:DWORD dst_unused:UNUSED_PAD src0_sel:WORD_0 src1_sel:DWORD
	v_mul_u32_u24_sdwa v66, v71, s38 dst_sel:DWORD dst_unused:UNUSED_PAD src0_sel:WORD_1 src1_sel:DWORD
	v_pk_fma_f16 v30, v61, v68, v30
	v_pk_fma_f16 v35, v63, v65, v35
	;; [unrolled: 1-line block ×5, first 2 shown]
	ds_read_b128 v[65:68], v54 offset:160
	v_pk_fma_f16 v61, v61, v69, v73
	v_mul_u32_u24_sdwa v69, v72, s38 dst_sel:DWORD dst_unused:UNUSED_PAD src0_sel:WORD_0 src1_sel:DWORD
	v_mul_u32_u24_sdwa v70, v72, s38 dst_sel:DWORD dst_unused:UNUSED_PAD src0_sel:WORD_1 src1_sel:DWORD
	v_pk_fma_f16 v30, v63, v69, v30
	v_pk_fma_f16 v73, v63, v70, v61
	;; [unrolled: 1-line block ×4, first 2 shown]
	ds_read2_b64 v[61:64], v29 offset0:128 offset1:160
	ds_read_b128 v[69:72], v54 offset:176
	s_waitcnt lgkmcnt(2)
	v_mul_u32_u24_sdwa v75, v65, s38 dst_sel:DWORD dst_unused:UNUSED_PAD src0_sel:WORD_0 src1_sel:DWORD
	v_mul_u32_u24_sdwa v65, v65, s38 dst_sel:DWORD dst_unused:UNUSED_PAD src0_sel:WORD_1 src1_sel:DWORD
	v_mul_u32_u24_sdwa v76, v66, s38 dst_sel:DWORD dst_unused:UNUSED_PAD src0_sel:WORD_0 src1_sel:DWORD
	v_mul_u32_u24_sdwa v66, v66, s38 dst_sel:DWORD dst_unused:UNUSED_PAD src0_sel:WORD_1 src1_sel:DWORD
	s_waitcnt lgkmcnt(1)
	v_pk_fma_f16 v35, v61, v75, v35
	v_pk_fma_f16 v32, v61, v65, v32
	;; [unrolled: 1-line block ×8, first 2 shown]
	v_mul_u32_u24_sdwa v65, v67, s38 dst_sel:DWORD dst_unused:UNUSED_PAD src0_sel:WORD_0 src1_sel:DWORD
	v_mul_u32_u24_sdwa v66, v67, s38 dst_sel:DWORD dst_unused:UNUSED_PAD src0_sel:WORD_1 src1_sel:DWORD
	v_mul_u32_u24_sdwa v67, v68, s38 dst_sel:DWORD dst_unused:UNUSED_PAD src0_sel:WORD_0 src1_sel:DWORD
	v_mul_u32_u24_sdwa v68, v68, s38 dst_sel:DWORD dst_unused:UNUSED_PAD src0_sel:WORD_1 src1_sel:DWORD
	v_pk_fma_f16 v35, v63, v65, v35
	v_pk_fma_f16 v32, v63, v66, v32
	;; [unrolled: 1-line block ×8, first 2 shown]
	ds_read2_b64 v[61:64], v29 offset0:192 offset1:224
	s_waitcnt lgkmcnt(1)
	v_mul_u32_u24_sdwa v66, v69, s38 dst_sel:DWORD dst_unused:UNUSED_PAD src0_sel:WORD_0 src1_sel:DWORD
	v_mul_u32_u24_sdwa v67, v69, s38 dst_sel:DWORD dst_unused:UNUSED_PAD src0_sel:WORD_1 src1_sel:DWORD
	v_mul_u32_u24_sdwa v68, v70, s38 dst_sel:DWORD dst_unused:UNUSED_PAD src0_sel:WORD_0 src1_sel:DWORD
	v_mul_u32_u24_sdwa v69, v70, s38 dst_sel:DWORD dst_unused:UNUSED_PAD src0_sel:WORD_1 src1_sel:DWORD
	s_waitcnt lgkmcnt(0)
	v_pk_fma_f16 v35, v61, v66, v35
	v_pk_fma_f16 v32, v61, v67, v32
	v_pk_fma_f16 v30, v61, v68, v30
	v_pk_fma_f16 v39, v62, v66, v39
	v_pk_fma_f16 v38, v62, v67, v38
	v_pk_fma_f16 v33, v62, v68, v33
	v_pk_fma_f16 v62, v62, v69, v65
	v_mul_u32_u24_sdwa v65, v71, s38 dst_sel:DWORD dst_unused:UNUSED_PAD src0_sel:WORD_0 src1_sel:DWORD
	v_mul_u32_u24_sdwa v66, v71, s38 dst_sel:DWORD dst_unused:UNUSED_PAD src0_sel:WORD_1 src1_sel:DWORD
	v_mul_u32_u24_sdwa v67, v72, s38 dst_sel:DWORD dst_unused:UNUSED_PAD src0_sel:WORD_0 src1_sel:DWORD
	v_pk_fma_f16 v61, v61, v69, v73
	v_pk_fma_f16 v35, v63, v65, v35
	;; [unrolled: 1-line block ×7, first 2 shown]
	ds_read_b128 v[65:68], v54 offset:192
	v_mul_u32_u24_sdwa v69, v72, s38 dst_sel:DWORD dst_unused:UNUSED_PAD src0_sel:WORD_1 src1_sel:DWORD
	v_add_u32_e32 v30, 0x1800, v23
	v_pk_fma_f16 v74, v63, v69, v61
	v_pk_fma_f16 v75, v64, v69, v62
	ds_read2_b64 v[61:64], v30 offset1:32
	ds_read_b128 v[69:72], v54 offset:208
	s_or_b32 s39, s19, 32
	s_mul_hi_i32 s41, s39, s8
	s_mul_i32 s40, s39, s8
	s_lshl_b64 s[40:41], s[40:41], 2
	s_waitcnt lgkmcnt(2)
	v_mul_u32_u24_sdwa v76, v65, s38 dst_sel:DWORD dst_unused:UNUSED_PAD src0_sel:WORD_0 src1_sel:DWORD
	v_mul_u32_u24_sdwa v65, v65, s38 dst_sel:DWORD dst_unused:UNUSED_PAD src0_sel:WORD_1 src1_sel:DWORD
	s_add_u32 s39, s16, s40
	v_mul_u32_u24_sdwa v77, v66, s38 dst_sel:DWORD dst_unused:UNUSED_PAD src0_sel:WORD_0 src1_sel:DWORD
	s_waitcnt lgkmcnt(1)
	v_pk_fma_f16 v32, v61, v65, v32
	v_mul_u32_u24_sdwa v102, v67, s38 dst_sel:DWORD dst_unused:UNUSED_PAD src0_sel:WORD_1 src1_sel:DWORD
	s_addc_u32 s40, s17, s41
	v_pk_fma_f16 v100, v62, v77, v33
	v_pk_fma_f16 v105, v63, v102, v32
	v_mov_b32_e32 v32, s40
	v_add_co_u32_e32 v33, vcc, s39, v10
	v_pk_fma_f16 v99, v62, v65, v38
	v_addc_co_u32_e32 v38, vcc, v32, v11, vcc
	v_add_co_u32_e32 v32, vcc, v33, v58
	v_addc_co_u32_e32 v33, vcc, 0, v38, vcc
	v_pk_fma_f16 v98, v62, v76, v39
	v_mov_b32_e32 v38, s40
	v_add_co_u32_e32 v39, vcc, s39, v12
	v_addc_co_u32_e32 v89, vcc, v38, v13, vcc
	v_mul_u32_u24_sdwa v66, v66, s38 dst_sel:DWORD dst_unused:UNUSED_PAD src0_sel:WORD_1 src1_sel:DWORD
	v_add_co_u32_e32 v38, vcc, v39, v58
	v_pk_fma_f16 v35, v61, v76, v35
	v_pk_fma_f16 v97, v61, v77, v73
	;; [unrolled: 1-line block ×4, first 2 shown]
	v_mul_u32_u24_sdwa v101, v67, s38 dst_sel:DWORD dst_unused:UNUSED_PAD src0_sel:WORD_0 src1_sel:DWORD
	v_mul_u32_u24_sdwa v103, v68, s38 dst_sel:DWORD dst_unused:UNUSED_PAD src0_sel:WORD_0 src1_sel:DWORD
	v_mul_u32_u24_sdwa v104, v68, s38 dst_sel:DWORD dst_unused:UNUSED_PAD src0_sel:WORD_1 src1_sel:DWORD
	ds_read2_b64 v[65:68], v30 offset0:64 offset1:96
	ds_read2_b64 v[73:76], v30 offset0:128 offset1:160
	ds_read2_b64 v[77:80], v30 offset0:192 offset1:224
	ds_read_b128 v[81:84], v54 offset:224
	ds_read_b128 v[85:88], v54 offset:240
	s_waitcnt lgkmcnt(0)
	s_barrier
	v_addc_co_u32_e32 v39, vcc, 0, v89, vcc
	global_load_dwordx4 v[89:92], v[32:33], off
	global_load_dwordx4 v[93:96], v[38:39], off
	v_pk_fma_f16 v35, v63, v101, v35
	v_pk_fma_f16 v32, v63, v103, v97
	v_pk_fma_f16 v33, v63, v104, v61
	v_pk_fma_f16 v38, v64, v101, v98
	v_pk_fma_f16 v39, v64, v102, v99
	v_pk_fma_f16 v61, v64, v103, v100
	v_pk_fma_f16 v62, v64, v104, v62
	v_mul_u32_u24_sdwa v63, v69, s38 dst_sel:DWORD dst_unused:UNUSED_PAD src0_sel:WORD_0 src1_sel:DWORD
	v_mul_u32_u24_sdwa v64, v69, s38 dst_sel:DWORD dst_unused:UNUSED_PAD src0_sel:WORD_1 src1_sel:DWORD
	v_mul_u32_u24_sdwa v69, v70, s38 dst_sel:DWORD dst_unused:UNUSED_PAD src0_sel:WORD_0 src1_sel:DWORD
	v_mul_u32_u24_sdwa v70, v70, s38 dst_sel:DWORD dst_unused:UNUSED_PAD src0_sel:WORD_1 src1_sel:DWORD
	v_pk_fma_f16 v35, v65, v63, v35
	v_pk_fma_f16 v97, v65, v64, v105
	v_pk_fma_f16 v32, v65, v69, v32
	v_pk_fma_f16 v33, v65, v70, v33
	v_pk_fma_f16 v38, v66, v63, v38
	v_pk_fma_f16 v39, v66, v64, v39
	v_pk_fma_f16 v61, v66, v69, v61
	v_pk_fma_f16 v62, v66, v70, v62
	v_mul_u32_u24_sdwa v63, v71, s38 dst_sel:DWORD dst_unused:UNUSED_PAD src0_sel:WORD_0 src1_sel:DWORD
	v_mul_u32_u24_sdwa v64, v71, s38 dst_sel:DWORD dst_unused:UNUSED_PAD src0_sel:WORD_1 src1_sel:DWORD
	v_mul_u32_u24_sdwa v65, v72, s38 dst_sel:DWORD dst_unused:UNUSED_PAD src0_sel:WORD_0 src1_sel:DWORD
	v_mul_u32_u24_sdwa v66, v72, s38 dst_sel:DWORD dst_unused:UNUSED_PAD src0_sel:WORD_1 src1_sel:DWORD
	v_pk_fma_f16 v35, v67, v63, v35
	;; [unrolled: 12-line block ×6, first 2 shown]
	v_pk_fma_f16 v81, v79, v64, v67
	v_pk_fma_f16 v32, v79, v65, v32
	;; [unrolled: 1-line block ×7, first 2 shown]
	s_waitcnt vmcnt(1)
	ds_write_b128 v55, v[89:92]
	s_waitcnt vmcnt(0)
	ds_write_b128 v56, v[93:96]
	s_waitcnt lgkmcnt(0)
	s_barrier
	ds_read_b128 v[61:64], v54 offset:256
	ds_read2_b64 v[65:68], v23 offset1:32
	ds_read_b128 v[69:72], v54 offset:272
	ds_read_b128 v[73:76], v54 offset:288
	;; [unrolled: 1-line block ×3, first 2 shown]
	s_waitcnt lgkmcnt(4)
	v_mul_u32_u24_sdwa v84, v61, s38 dst_sel:DWORD dst_unused:UNUSED_PAD src0_sel:WORD_0 src1_sel:DWORD
	v_mul_u32_u24_sdwa v61, v61, s38 dst_sel:DWORD dst_unused:UNUSED_PAD src0_sel:WORD_1 src1_sel:DWORD
	v_mul_u32_u24_sdwa v85, v62, s38 dst_sel:DWORD dst_unused:UNUSED_PAD src0_sel:WORD_0 src1_sel:DWORD
	v_mul_u32_u24_sdwa v62, v62, s38 dst_sel:DWORD dst_unused:UNUSED_PAD src0_sel:WORD_1 src1_sel:DWORD
	s_waitcnt lgkmcnt(3)
	v_pk_fma_f16 v35, v65, v84, v35
	v_pk_fma_f16 v81, v65, v61, v81
	;; [unrolled: 1-line block ×8, first 2 shown]
	v_mul_u32_u24_sdwa v65, v63, s38 dst_sel:DWORD dst_unused:UNUSED_PAD src0_sel:WORD_0 src1_sel:DWORD
	v_mul_u32_u24_sdwa v63, v63, s38 dst_sel:DWORD dst_unused:UNUSED_PAD src0_sel:WORD_1 src1_sel:DWORD
	v_mul_u32_u24_sdwa v66, v64, s38 dst_sel:DWORD dst_unused:UNUSED_PAD src0_sel:WORD_0 src1_sel:DWORD
	v_mul_u32_u24_sdwa v64, v64, s38 dst_sel:DWORD dst_unused:UNUSED_PAD src0_sel:WORD_1 src1_sel:DWORD
	v_pk_fma_f16 v35, v67, v65, v35
	v_pk_fma_f16 v81, v67, v63, v81
	;; [unrolled: 1-line block ×8, first 2 shown]
	ds_read2_b64 v[61:64], v23 offset0:64 offset1:96
	s_waitcnt lgkmcnt(3)
	v_mul_u32_u24_sdwa v67, v69, s38 dst_sel:DWORD dst_unused:UNUSED_PAD src0_sel:WORD_0 src1_sel:DWORD
	v_mul_u32_u24_sdwa v68, v69, s38 dst_sel:DWORD dst_unused:UNUSED_PAD src0_sel:WORD_1 src1_sel:DWORD
	v_mul_u32_u24_sdwa v69, v70, s38 dst_sel:DWORD dst_unused:UNUSED_PAD src0_sel:WORD_0 src1_sel:DWORD
	v_mul_u32_u24_sdwa v70, v70, s38 dst_sel:DWORD dst_unused:UNUSED_PAD src0_sel:WORD_1 src1_sel:DWORD
	s_waitcnt lgkmcnt(0)
	v_pk_fma_f16 v35, v61, v67, v35
	v_pk_fma_f16 v81, v61, v68, v81
	;; [unrolled: 1-line block ×8, first 2 shown]
	v_mul_u32_u24_sdwa v65, v71, s38 dst_sel:DWORD dst_unused:UNUSED_PAD src0_sel:WORD_0 src1_sel:DWORD
	v_mul_u32_u24_sdwa v66, v71, s38 dst_sel:DWORD dst_unused:UNUSED_PAD src0_sel:WORD_1 src1_sel:DWORD
	v_mul_u32_u24_sdwa v67, v72, s38 dst_sel:DWORD dst_unused:UNUSED_PAD src0_sel:WORD_0 src1_sel:DWORD
	v_mul_u32_u24_sdwa v68, v72, s38 dst_sel:DWORD dst_unused:UNUSED_PAD src0_sel:WORD_1 src1_sel:DWORD
	v_pk_fma_f16 v35, v63, v65, v35
	v_pk_fma_f16 v69, v63, v66, v81
	;; [unrolled: 1-line block ×8, first 2 shown]
	ds_read2_b64 v[61:64], v23 offset0:128 offset1:160
	v_mul_u32_u24_sdwa v67, v73, s38 dst_sel:DWORD dst_unused:UNUSED_PAD src0_sel:WORD_0 src1_sel:DWORD
	v_mul_u32_u24_sdwa v68, v73, s38 dst_sel:DWORD dst_unused:UNUSED_PAD src0_sel:WORD_1 src1_sel:DWORD
	v_mul_u32_u24_sdwa v70, v74, s38 dst_sel:DWORD dst_unused:UNUSED_PAD src0_sel:WORD_0 src1_sel:DWORD
	v_mul_u32_u24_sdwa v71, v74, s38 dst_sel:DWORD dst_unused:UNUSED_PAD src0_sel:WORD_1 src1_sel:DWORD
	s_waitcnt lgkmcnt(0)
	v_pk_fma_f16 v35, v61, v67, v35
	v_pk_fma_f16 v69, v61, v68, v69
	;; [unrolled: 1-line block ×8, first 2 shown]
	v_mul_u32_u24_sdwa v65, v75, s38 dst_sel:DWORD dst_unused:UNUSED_PAD src0_sel:WORD_0 src1_sel:DWORD
	v_mul_u32_u24_sdwa v66, v75, s38 dst_sel:DWORD dst_unused:UNUSED_PAD src0_sel:WORD_1 src1_sel:DWORD
	v_mul_u32_u24_sdwa v67, v76, s38 dst_sel:DWORD dst_unused:UNUSED_PAD src0_sel:WORD_0 src1_sel:DWORD
	v_mul_u32_u24_sdwa v68, v76, s38 dst_sel:DWORD dst_unused:UNUSED_PAD src0_sel:WORD_1 src1_sel:DWORD
	v_pk_fma_f16 v35, v63, v65, v35
	v_pk_fma_f16 v69, v63, v66, v69
	;; [unrolled: 1-line block ×8, first 2 shown]
	ds_read2_b64 v[61:64], v23 offset0:192 offset1:224
	v_mul_u32_u24_sdwa v67, v77, s38 dst_sel:DWORD dst_unused:UNUSED_PAD src0_sel:WORD_0 src1_sel:DWORD
	v_mul_u32_u24_sdwa v68, v77, s38 dst_sel:DWORD dst_unused:UNUSED_PAD src0_sel:WORD_1 src1_sel:DWORD
	v_mul_u32_u24_sdwa v70, v78, s38 dst_sel:DWORD dst_unused:UNUSED_PAD src0_sel:WORD_0 src1_sel:DWORD
	v_mul_u32_u24_sdwa v71, v78, s38 dst_sel:DWORD dst_unused:UNUSED_PAD src0_sel:WORD_1 src1_sel:DWORD
	s_waitcnt lgkmcnt(0)
	v_pk_fma_f16 v35, v61, v67, v35
	v_pk_fma_f16 v69, v61, v68, v69
	;; [unrolled: 1-line block ×8, first 2 shown]
	v_mul_u32_u24_sdwa v65, v79, s38 dst_sel:DWORD dst_unused:UNUSED_PAD src0_sel:WORD_0 src1_sel:DWORD
	v_mul_u32_u24_sdwa v66, v79, s38 dst_sel:DWORD dst_unused:UNUSED_PAD src0_sel:WORD_1 src1_sel:DWORD
	v_pk_fma_f16 v35, v63, v65, v35
	v_pk_fma_f16 v73, v63, v66, v69
	;; [unrolled: 1-line block ×4, first 2 shown]
	ds_read_b128 v[65:68], v54 offset:320
	v_mul_u32_u24_sdwa v70, v80, s38 dst_sel:DWORD dst_unused:UNUSED_PAD src0_sel:WORD_0 src1_sel:DWORD
	v_mul_u32_u24_sdwa v71, v80, s38 dst_sel:DWORD dst_unused:UNUSED_PAD src0_sel:WORD_1 src1_sel:DWORD
	v_pk_fma_f16 v32, v63, v70, v32
	v_pk_fma_f16 v33, v63, v71, v33
	;; [unrolled: 1-line block ×4, first 2 shown]
	ds_read2_b64 v[61:64], v27 offset1:32
	ds_read_b128 v[69:72], v54 offset:336
	s_waitcnt lgkmcnt(2)
	v_mul_u32_u24_sdwa v76, v65, s38 dst_sel:DWORD dst_unused:UNUSED_PAD src0_sel:WORD_0 src1_sel:DWORD
	v_mul_u32_u24_sdwa v65, v65, s38 dst_sel:DWORD dst_unused:UNUSED_PAD src0_sel:WORD_1 src1_sel:DWORD
	v_mul_u32_u24_sdwa v77, v66, s38 dst_sel:DWORD dst_unused:UNUSED_PAD src0_sel:WORD_0 src1_sel:DWORD
	v_mul_u32_u24_sdwa v66, v66, s38 dst_sel:DWORD dst_unused:UNUSED_PAD src0_sel:WORD_1 src1_sel:DWORD
	s_waitcnt lgkmcnt(1)
	v_pk_fma_f16 v35, v61, v76, v35
	v_pk_fma_f16 v73, v61, v65, v73
	;; [unrolled: 1-line block ×8, first 2 shown]
	v_mul_u32_u24_sdwa v65, v67, s38 dst_sel:DWORD dst_unused:UNUSED_PAD src0_sel:WORD_0 src1_sel:DWORD
	v_mul_u32_u24_sdwa v66, v67, s38 dst_sel:DWORD dst_unused:UNUSED_PAD src0_sel:WORD_1 src1_sel:DWORD
	v_mul_u32_u24_sdwa v67, v68, s38 dst_sel:DWORD dst_unused:UNUSED_PAD src0_sel:WORD_0 src1_sel:DWORD
	v_mul_u32_u24_sdwa v68, v68, s38 dst_sel:DWORD dst_unused:UNUSED_PAD src0_sel:WORD_1 src1_sel:DWORD
	v_pk_fma_f16 v35, v63, v65, v35
	v_pk_fma_f16 v73, v63, v66, v73
	;; [unrolled: 1-line block ×8, first 2 shown]
	ds_read2_b64 v[61:64], v27 offset0:64 offset1:96
	s_waitcnt lgkmcnt(1)
	v_mul_u32_u24_sdwa v67, v69, s38 dst_sel:DWORD dst_unused:UNUSED_PAD src0_sel:WORD_0 src1_sel:DWORD
	v_mul_u32_u24_sdwa v68, v69, s38 dst_sel:DWORD dst_unused:UNUSED_PAD src0_sel:WORD_1 src1_sel:DWORD
	v_mul_u32_u24_sdwa v69, v70, s38 dst_sel:DWORD dst_unused:UNUSED_PAD src0_sel:WORD_0 src1_sel:DWORD
	v_mul_u32_u24_sdwa v70, v70, s38 dst_sel:DWORD dst_unused:UNUSED_PAD src0_sel:WORD_1 src1_sel:DWORD
	s_waitcnt lgkmcnt(0)
	v_pk_fma_f16 v35, v61, v67, v35
	v_pk_fma_f16 v73, v61, v68, v73
	;; [unrolled: 1-line block ×8, first 2 shown]
	v_mul_u32_u24_sdwa v65, v71, s38 dst_sel:DWORD dst_unused:UNUSED_PAD src0_sel:WORD_0 src1_sel:DWORD
	v_mul_u32_u24_sdwa v66, v71, s38 dst_sel:DWORD dst_unused:UNUSED_PAD src0_sel:WORD_1 src1_sel:DWORD
	v_pk_fma_f16 v35, v63, v65, v35
	v_pk_fma_f16 v73, v63, v66, v73
	;; [unrolled: 1-line block ×4, first 2 shown]
	ds_read_b128 v[65:68], v54 offset:352
	v_mul_u32_u24_sdwa v69, v72, s38 dst_sel:DWORD dst_unused:UNUSED_PAD src0_sel:WORD_0 src1_sel:DWORD
	v_mul_u32_u24_sdwa v70, v72, s38 dst_sel:DWORD dst_unused:UNUSED_PAD src0_sel:WORD_1 src1_sel:DWORD
	v_pk_fma_f16 v32, v63, v69, v32
	v_pk_fma_f16 v33, v63, v70, v33
	;; [unrolled: 1-line block ×4, first 2 shown]
	ds_read2_b64 v[61:64], v27 offset0:128 offset1:160
	ds_read_b128 v[69:72], v54 offset:368
	s_waitcnt lgkmcnt(2)
	v_mul_u32_u24_sdwa v76, v65, s38 dst_sel:DWORD dst_unused:UNUSED_PAD src0_sel:WORD_0 src1_sel:DWORD
	v_mul_u32_u24_sdwa v65, v65, s38 dst_sel:DWORD dst_unused:UNUSED_PAD src0_sel:WORD_1 src1_sel:DWORD
	v_mul_u32_u24_sdwa v77, v66, s38 dst_sel:DWORD dst_unused:UNUSED_PAD src0_sel:WORD_0 src1_sel:DWORD
	v_mul_u32_u24_sdwa v66, v66, s38 dst_sel:DWORD dst_unused:UNUSED_PAD src0_sel:WORD_1 src1_sel:DWORD
	s_waitcnt lgkmcnt(1)
	v_pk_fma_f16 v35, v61, v76, v35
	v_pk_fma_f16 v73, v61, v65, v73
	;; [unrolled: 1-line block ×8, first 2 shown]
	v_mul_u32_u24_sdwa v65, v67, s38 dst_sel:DWORD dst_unused:UNUSED_PAD src0_sel:WORD_0 src1_sel:DWORD
	v_mul_u32_u24_sdwa v66, v67, s38 dst_sel:DWORD dst_unused:UNUSED_PAD src0_sel:WORD_1 src1_sel:DWORD
	v_mul_u32_u24_sdwa v67, v68, s38 dst_sel:DWORD dst_unused:UNUSED_PAD src0_sel:WORD_0 src1_sel:DWORD
	v_mul_u32_u24_sdwa v68, v68, s38 dst_sel:DWORD dst_unused:UNUSED_PAD src0_sel:WORD_1 src1_sel:DWORD
	v_pk_fma_f16 v35, v63, v65, v35
	v_pk_fma_f16 v73, v63, v66, v73
	;; [unrolled: 1-line block ×8, first 2 shown]
	ds_read2_b64 v[61:64], v27 offset0:192 offset1:224
	s_waitcnt lgkmcnt(1)
	v_mul_u32_u24_sdwa v27, v69, s38 dst_sel:DWORD dst_unused:UNUSED_PAD src0_sel:WORD_0 src1_sel:DWORD
	v_mul_u32_u24_sdwa v67, v69, s38 dst_sel:DWORD dst_unused:UNUSED_PAD src0_sel:WORD_1 src1_sel:DWORD
	v_mul_u32_u24_sdwa v68, v70, s38 dst_sel:DWORD dst_unused:UNUSED_PAD src0_sel:WORD_0 src1_sel:DWORD
	v_mul_u32_u24_sdwa v69, v70, s38 dst_sel:DWORD dst_unused:UNUSED_PAD src0_sel:WORD_1 src1_sel:DWORD
	s_waitcnt lgkmcnt(0)
	v_pk_fma_f16 v35, v61, v27, v35
	v_pk_fma_f16 v70, v61, v67, v73
	;; [unrolled: 1-line block ×5, first 2 shown]
	v_mul_u32_u24_sdwa v65, v71, s38 dst_sel:DWORD dst_unused:UNUSED_PAD src0_sel:WORD_1 src1_sel:DWORD
	v_pk_fma_f16 v32, v61, v68, v32
	v_pk_fma_f16 v33, v61, v69, v33
	;; [unrolled: 1-line block ×5, first 2 shown]
	ds_read_b128 v[65:68], v54 offset:384
	v_mul_u32_u24_sdwa v62, v71, s38 dst_sel:DWORD dst_unused:UNUSED_PAD src0_sel:WORD_0 src1_sel:DWORD
	v_mul_u32_u24_sdwa v69, v72, s38 dst_sel:DWORD dst_unused:UNUSED_PAD src0_sel:WORD_0 src1_sel:DWORD
	v_mul_u32_u24_sdwa v71, v72, s38 dst_sel:DWORD dst_unused:UNUSED_PAD src0_sel:WORD_1 src1_sel:DWORD
	v_pk_fma_f16 v35, v63, v62, v35
	v_pk_fma_f16 v32, v63, v69, v32
	;; [unrolled: 1-line block ×6, first 2 shown]
	ds_read2_b64 v[61:64], v29 offset1:32
	ds_read_b128 v[69:72], v54 offset:400
	s_waitcnt lgkmcnt(2)
	v_mul_u32_u24_sdwa v75, v65, s38 dst_sel:DWORD dst_unused:UNUSED_PAD src0_sel:WORD_0 src1_sel:DWORD
	v_mul_u32_u24_sdwa v65, v65, s38 dst_sel:DWORD dst_unused:UNUSED_PAD src0_sel:WORD_1 src1_sel:DWORD
	v_mul_u32_u24_sdwa v76, v66, s38 dst_sel:DWORD dst_unused:UNUSED_PAD src0_sel:WORD_0 src1_sel:DWORD
	v_mul_u32_u24_sdwa v66, v66, s38 dst_sel:DWORD dst_unused:UNUSED_PAD src0_sel:WORD_1 src1_sel:DWORD
	s_waitcnt lgkmcnt(1)
	v_pk_fma_f16 v35, v61, v75, v35
	v_pk_fma_f16 v73, v61, v65, v73
	;; [unrolled: 1-line block ×8, first 2 shown]
	v_mul_u32_u24_sdwa v62, v67, s38 dst_sel:DWORD dst_unused:UNUSED_PAD src0_sel:WORD_0 src1_sel:DWORD
	v_mul_u32_u24_sdwa v65, v67, s38 dst_sel:DWORD dst_unused:UNUSED_PAD src0_sel:WORD_1 src1_sel:DWORD
	v_mul_u32_u24_sdwa v66, v68, s38 dst_sel:DWORD dst_unused:UNUSED_PAD src0_sel:WORD_0 src1_sel:DWORD
	v_mul_u32_u24_sdwa v67, v68, s38 dst_sel:DWORD dst_unused:UNUSED_PAD src0_sel:WORD_1 src1_sel:DWORD
	v_pk_fma_f16 v35, v63, v62, v35
	v_pk_fma_f16 v68, v63, v65, v73
	;; [unrolled: 1-line block ×8, first 2 shown]
	ds_read2_b64 v[61:64], v29 offset0:64 offset1:96
	s_waitcnt lgkmcnt(1)
	v_mul_u32_u24_sdwa v66, v69, s38 dst_sel:DWORD dst_unused:UNUSED_PAD src0_sel:WORD_0 src1_sel:DWORD
	v_mul_u32_u24_sdwa v67, v69, s38 dst_sel:DWORD dst_unused:UNUSED_PAD src0_sel:WORD_1 src1_sel:DWORD
	v_mul_u32_u24_sdwa v69, v70, s38 dst_sel:DWORD dst_unused:UNUSED_PAD src0_sel:WORD_0 src1_sel:DWORD
	v_mul_u32_u24_sdwa v70, v70, s38 dst_sel:DWORD dst_unused:UNUSED_PAD src0_sel:WORD_1 src1_sel:DWORD
	s_waitcnt lgkmcnt(0)
	v_pk_fma_f16 v35, v61, v66, v35
	v_pk_fma_f16 v68, v61, v67, v68
	;; [unrolled: 1-line block ×6, first 2 shown]
	v_mul_u32_u24_sdwa v65, v71, s38 dst_sel:DWORD dst_unused:UNUSED_PAD src0_sel:WORD_1 src1_sel:DWORD
	v_pk_fma_f16 v27, v62, v66, v27
	v_pk_fma_f16 v73, v63, v65, v68
	;; [unrolled: 1-line block ×3, first 2 shown]
	ds_read_b128 v[65:68], v54 offset:416
	v_pk_fma_f16 v39, v62, v69, v39
	v_mul_u32_u24_sdwa v62, v71, s38 dst_sel:DWORD dst_unused:UNUSED_PAD src0_sel:WORD_0 src1_sel:DWORD
	v_mul_u32_u24_sdwa v69, v72, s38 dst_sel:DWORD dst_unused:UNUSED_PAD src0_sel:WORD_0 src1_sel:DWORD
	v_mul_u32_u24_sdwa v70, v72, s38 dst_sel:DWORD dst_unused:UNUSED_PAD src0_sel:WORD_1 src1_sel:DWORD
	v_pk_fma_f16 v35, v63, v62, v35
	v_pk_fma_f16 v32, v63, v69, v32
	;; [unrolled: 1-line block ×6, first 2 shown]
	ds_read2_b64 v[61:64], v29 offset0:128 offset1:160
	ds_read_b128 v[69:72], v54 offset:432
	s_waitcnt lgkmcnt(2)
	v_mul_u32_u24_sdwa v75, v65, s38 dst_sel:DWORD dst_unused:UNUSED_PAD src0_sel:WORD_0 src1_sel:DWORD
	v_mul_u32_u24_sdwa v65, v65, s38 dst_sel:DWORD dst_unused:UNUSED_PAD src0_sel:WORD_1 src1_sel:DWORD
	v_mul_u32_u24_sdwa v76, v66, s38 dst_sel:DWORD dst_unused:UNUSED_PAD src0_sel:WORD_0 src1_sel:DWORD
	v_mul_u32_u24_sdwa v66, v66, s38 dst_sel:DWORD dst_unused:UNUSED_PAD src0_sel:WORD_1 src1_sel:DWORD
	s_waitcnt lgkmcnt(1)
	v_pk_fma_f16 v35, v61, v75, v35
	v_pk_fma_f16 v73, v61, v65, v73
	;; [unrolled: 1-line block ×8, first 2 shown]
	v_mul_u32_u24_sdwa v62, v67, s38 dst_sel:DWORD dst_unused:UNUSED_PAD src0_sel:WORD_0 src1_sel:DWORD
	v_mul_u32_u24_sdwa v65, v67, s38 dst_sel:DWORD dst_unused:UNUSED_PAD src0_sel:WORD_1 src1_sel:DWORD
	v_mul_u32_u24_sdwa v66, v68, s38 dst_sel:DWORD dst_unused:UNUSED_PAD src0_sel:WORD_0 src1_sel:DWORD
	v_mul_u32_u24_sdwa v67, v68, s38 dst_sel:DWORD dst_unused:UNUSED_PAD src0_sel:WORD_1 src1_sel:DWORD
	v_pk_fma_f16 v35, v63, v62, v35
	v_pk_fma_f16 v68, v63, v65, v73
	;; [unrolled: 1-line block ×8, first 2 shown]
	ds_read2_b64 v[61:64], v29 offset0:192 offset1:224
	s_waitcnt lgkmcnt(1)
	v_mul_u32_u24_sdwa v29, v69, s38 dst_sel:DWORD dst_unused:UNUSED_PAD src0_sel:WORD_0 src1_sel:DWORD
	v_mul_u32_u24_sdwa v66, v69, s38 dst_sel:DWORD dst_unused:UNUSED_PAD src0_sel:WORD_1 src1_sel:DWORD
	v_mul_u32_u24_sdwa v67, v70, s38 dst_sel:DWORD dst_unused:UNUSED_PAD src0_sel:WORD_0 src1_sel:DWORD
	v_mul_u32_u24_sdwa v69, v70, s38 dst_sel:DWORD dst_unused:UNUSED_PAD src0_sel:WORD_1 src1_sel:DWORD
	s_waitcnt lgkmcnt(0)
	v_pk_fma_f16 v35, v61, v29, v35
	v_pk_fma_f16 v68, v61, v66, v68
	;; [unrolled: 1-line block ×6, first 2 shown]
	v_mul_u32_u24_sdwa v62, v71, s38 dst_sel:DWORD dst_unused:UNUSED_PAD src0_sel:WORD_1 src1_sel:DWORD
	v_pk_fma_f16 v32, v61, v67, v32
	v_pk_fma_f16 v73, v63, v62, v68
	ds_read_b128 v[65:68], v54 offset:448
	v_pk_fma_f16 v33, v61, v69, v33
	v_mul_u32_u24_sdwa v61, v71, s38 dst_sel:DWORD dst_unused:UNUSED_PAD src0_sel:WORD_0 src1_sel:DWORD
	v_mul_u32_u24_sdwa v69, v72, s38 dst_sel:DWORD dst_unused:UNUSED_PAD src0_sel:WORD_0 src1_sel:DWORD
	v_mul_u32_u24_sdwa v70, v72, s38 dst_sel:DWORD dst_unused:UNUSED_PAD src0_sel:WORD_1 src1_sel:DWORD
	v_pk_fma_f16 v35, v63, v61, v35
	v_pk_fma_f16 v32, v63, v69, v32
	;; [unrolled: 1-line block ×7, first 2 shown]
	ds_read2_b64 v[61:64], v30 offset1:32
	ds_read_b128 v[69:72], v54 offset:464
	s_waitcnt lgkmcnt(2)
	v_mul_u32_u24_sdwa v74, v65, s38 dst_sel:DWORD dst_unused:UNUSED_PAD src0_sel:WORD_0 src1_sel:DWORD
	v_mul_u32_u24_sdwa v65, v65, s38 dst_sel:DWORD dst_unused:UNUSED_PAD src0_sel:WORD_1 src1_sel:DWORD
	v_mul_u32_u24_sdwa v75, v66, s38 dst_sel:DWORD dst_unused:UNUSED_PAD src0_sel:WORD_0 src1_sel:DWORD
	v_mul_u32_u24_sdwa v66, v66, s38 dst_sel:DWORD dst_unused:UNUSED_PAD src0_sel:WORD_1 src1_sel:DWORD
	s_waitcnt lgkmcnt(1)
	v_pk_fma_f16 v35, v61, v74, v35
	v_pk_fma_f16 v73, v61, v65, v73
	;; [unrolled: 1-line block ×8, first 2 shown]
	v_mul_u32_u24_sdwa v61, v67, s38 dst_sel:DWORD dst_unused:UNUSED_PAD src0_sel:WORD_0 src1_sel:DWORD
	v_mul_u32_u24_sdwa v62, v67, s38 dst_sel:DWORD dst_unused:UNUSED_PAD src0_sel:WORD_1 src1_sel:DWORD
	v_mul_u32_u24_sdwa v65, v68, s38 dst_sel:DWORD dst_unused:UNUSED_PAD src0_sel:WORD_0 src1_sel:DWORD
	v_mul_u32_u24_sdwa v66, v68, s38 dst_sel:DWORD dst_unused:UNUSED_PAD src0_sel:WORD_1 src1_sel:DWORD
	v_pk_fma_f16 v35, v63, v61, v35
	v_pk_fma_f16 v67, v63, v62, v73
	;; [unrolled: 1-line block ×8, first 2 shown]
	ds_read2_b64 v[61:64], v30 offset0:64 offset1:96
	s_waitcnt lgkmcnt(1)
	v_mul_u32_u24_sdwa v65, v69, s38 dst_sel:DWORD dst_unused:UNUSED_PAD src0_sel:WORD_0 src1_sel:DWORD
	v_mul_u32_u24_sdwa v66, v69, s38 dst_sel:DWORD dst_unused:UNUSED_PAD src0_sel:WORD_1 src1_sel:DWORD
	v_mul_u32_u24_sdwa v68, v70, s38 dst_sel:DWORD dst_unused:UNUSED_PAD src0_sel:WORD_0 src1_sel:DWORD
	v_mul_u32_u24_sdwa v69, v70, s38 dst_sel:DWORD dst_unused:UNUSED_PAD src0_sel:WORD_1 src1_sel:DWORD
	s_waitcnt lgkmcnt(0)
	v_pk_fma_f16 v67, v61, v66, v67
	v_pk_fma_f16 v27, v62, v65, v27
	v_pk_fma_f16 v29, v62, v66, v29
	v_pk_fma_f16 v38, v62, v68, v38
	v_pk_fma_f16 v39, v62, v69, v39
	v_mul_u32_u24_sdwa v62, v71, s38 dst_sel:DWORD dst_unused:UNUSED_PAD src0_sel:WORD_1 src1_sel:DWORD
	v_pk_fma_f16 v35, v61, v65, v35
	v_pk_fma_f16 v32, v61, v68, v32
	;; [unrolled: 1-line block ×3, first 2 shown]
	ds_read_b128 v[65:68], v54 offset:480
	v_pk_fma_f16 v33, v61, v69, v33
	v_mul_u32_u24_sdwa v61, v71, s38 dst_sel:DWORD dst_unused:UNUSED_PAD src0_sel:WORD_0 src1_sel:DWORD
	v_mul_u32_u24_sdwa v69, v72, s38 dst_sel:DWORD dst_unused:UNUSED_PAD src0_sel:WORD_0 src1_sel:DWORD
	v_mul_u32_u24_sdwa v70, v72, s38 dst_sel:DWORD dst_unused:UNUSED_PAD src0_sel:WORD_1 src1_sel:DWORD
	v_pk_fma_f16 v35, v63, v61, v35
	v_pk_fma_f16 v32, v63, v69, v32
	;; [unrolled: 1-line block ×7, first 2 shown]
	ds_read2_b64 v[61:64], v30 offset0:128 offset1:160
	ds_read_b128 v[69:72], v54 offset:496
	s_waitcnt lgkmcnt(2)
	v_mul_u32_u24_sdwa v74, v65, s38 dst_sel:DWORD dst_unused:UNUSED_PAD src0_sel:WORD_0 src1_sel:DWORD
	v_mul_u32_u24_sdwa v65, v65, s38 dst_sel:DWORD dst_unused:UNUSED_PAD src0_sel:WORD_1 src1_sel:DWORD
	v_mul_u32_u24_sdwa v75, v66, s38 dst_sel:DWORD dst_unused:UNUSED_PAD src0_sel:WORD_0 src1_sel:DWORD
	v_mul_u32_u24_sdwa v66, v66, s38 dst_sel:DWORD dst_unused:UNUSED_PAD src0_sel:WORD_1 src1_sel:DWORD
	s_waitcnt lgkmcnt(1)
	v_pk_fma_f16 v35, v61, v74, v35
	v_pk_fma_f16 v73, v61, v65, v73
	;; [unrolled: 1-line block ×8, first 2 shown]
	v_mul_u32_u24_sdwa v61, v67, s38 dst_sel:DWORD dst_unused:UNUSED_PAD src0_sel:WORD_0 src1_sel:DWORD
	v_mul_u32_u24_sdwa v62, v67, s38 dst_sel:DWORD dst_unused:UNUSED_PAD src0_sel:WORD_1 src1_sel:DWORD
	v_mul_u32_u24_sdwa v65, v68, s38 dst_sel:DWORD dst_unused:UNUSED_PAD src0_sel:WORD_0 src1_sel:DWORD
	v_mul_u32_u24_sdwa v66, v68, s38 dst_sel:DWORD dst_unused:UNUSED_PAD src0_sel:WORD_1 src1_sel:DWORD
	v_pk_fma_f16 v35, v63, v61, v35
	v_pk_fma_f16 v67, v63, v62, v73
	;; [unrolled: 1-line block ×8, first 2 shown]
	ds_read2_b64 v[61:64], v30 offset0:192 offset1:224
	s_waitcnt lgkmcnt(0)
	s_barrier
	s_load_dword s39, s[10:11], 0x4
	v_mul_u32_u24_sdwa v30, v69, s38 dst_sel:DWORD dst_unused:UNUSED_PAD src0_sel:WORD_0 src1_sel:DWORD
	v_mul_u32_u24_sdwa v65, v69, s38 dst_sel:DWORD dst_unused:UNUSED_PAD src0_sel:WORD_1 src1_sel:DWORD
	v_mul_u32_u24_sdwa v66, v70, s38 dst_sel:DWORD dst_unused:UNUSED_PAD src0_sel:WORD_0 src1_sel:DWORD
	v_mul_u32_u24_sdwa v68, v70, s38 dst_sel:DWORD dst_unused:UNUSED_PAD src0_sel:WORD_1 src1_sel:DWORD
	s_waitcnt lgkmcnt(0)
	s_lshl_b32 s39, s39, 6
	v_pk_fma_f16 v35, v61, v30, v35
	v_pk_fma_f16 v67, v61, v65, v67
	;; [unrolled: 1-line block ×8, first 2 shown]
	v_mul_u32_u24_sdwa v38, v71, s38 dst_sel:DWORD dst_unused:UNUSED_PAD src0_sel:WORD_0 src1_sel:DWORD
	v_mul_u32_u24_sdwa v66, v71, s38 dst_sel:DWORD dst_unused:UNUSED_PAD src0_sel:WORD_1 src1_sel:DWORD
	v_mul_u32_u24_sdwa v68, v72, s38 dst_sel:DWORD dst_unused:UNUSED_PAD src0_sel:WORD_0 src1_sel:DWORD
	v_mul_u32_u24_sdwa v70, v72, s38 dst_sel:DWORD dst_unused:UNUSED_PAD src0_sel:WORD_1 src1_sel:DWORD
	s_add_i32 s19, s39, s19
	v_pk_fma_f16 v35, v63, v38, v35
	v_pk_fma_f16 v32, v63, v66, v67
	;; [unrolled: 1-line block ×7, first 2 shown]
	s_cmp_lt_i32 s19, s15
	v_pk_fma_f16 v27, v64, v70, v62
	s_cbranch_scc0 .LBB56_28
; %bb.26:                               ;   in Loop: Header=BB56_8 Depth=1
	v_mov_b32_e32 v68, v2
	v_mov_b32_e32 v66, v3
	;; [unrolled: 1-line block ×8, first 2 shown]
	s_branch .LBB56_8
.LBB56_27:
	v_mov_b32_e32 v2, 0xfeffffff
	v_mov_b32_e32 v3, v2
	;; [unrolled: 1-line block ×15, first 2 shown]
.LBB56_28:
	s_cmp_gt_i32 s46, s19
	s_cbranch_scc1 .LBB56_30
; %bb.29:
	v_mbcnt_hi_u32_b32 v51, -1, v37
	v_and_b32_e32 v6, 0x60, v51
	v_add_u32_e32 v52, 32, v6
	v_xor_b32_e32 v54, 16, v51
	v_xor_b32_e32 v53, 8, v51
	;; [unrolled: 1-line block ×5, first 2 shown]
	s_cbranch_execz .LBB56_31
	s_branch .LBB56_71
.LBB56_30:
                                        ; implicit-def: $vgpr51
                                        ; implicit-def: $vgpr52
                                        ; implicit-def: $vgpr54
                                        ; implicit-def: $vgpr53
                                        ; implicit-def: $vgpr55
                                        ; implicit-def: $vgpr56
                                        ; implicit-def: $vgpr57
.LBB56_31:
	v_add_u32_e32 v46, v46, v20
	v_mul_lo_u32 v12, s12, v46
	s_mul_hi_i32 s11, s19, s12
	s_mul_i32 s10, s19, s12
	s_sub_i32 s23, s46, s19
	s_lshl_b64 s[10:11], s[10:11], 2
	v_ashrrev_i32_e32 v13, 31, v12
	s_add_u32 s10, s13, s10
	v_lshlrev_b64 v[6:7], 2, v[12:13]
	s_addc_u32 s11, s14, s11
	v_mov_b32_e32 v8, s11
	v_add_co_u32_e32 v6, vcc, s10, v6
	v_lshlrev_b32_e32 v45, 2, v45
	v_addc_co_u32_e32 v7, vcc, v8, v7, vcc
	s_mov_b64 s[6:7], src_private_base
	v_add_co_u32_e32 v10, vcc, v6, v45
	v_mov_b32_e32 v51, 0
	v_addc_co_u32_e32 v11, vcc, 0, v7, vcc
	v_mov_b32_e32 v54, s7
	v_cmp_gt_i32_e64 s[6:7], s23, v46
	v_mov_b32_e32 v55, 0
	buffer_store_dword v51, off, s[0:3], 0
	buffer_store_dword v51, off, s[0:3], 0 offset:4
	buffer_store_dword v51, off, s[0:3], 0 offset:8
	;; [unrolled: 1-line block ×3, first 2 shown]
	v_cndmask_b32_e64 v7, v54, v11, s[6:7]
	v_cndmask_b32_e64 v6, v55, v10, s[6:7]
	flat_load_dwordx4 v[6:9], v[6:7]
	v_lshl_add_u32 v12, s12, 5, v12
	v_ashrrev_i32_e32 v13, 31, v12
	v_lshlrev_b64 v[12:13], 2, v[12:13]
	v_mov_b32_e32 v47, s11
	v_add_co_u32_e32 v12, vcc, s10, v12
	v_addc_co_u32_e32 v13, vcc, v47, v13, vcc
	s_movk_i32 s13, 0x90
	v_add_co_u32_e32 v56, vcc, v12, v45
	v_mad_u32_u24 v53, v46, s13, v45
	v_add_u32_e32 v46, 32, v46
	v_addc_co_u32_e32 v57, vcc, 0, v13, vcc
	v_cmp_gt_i32_e32 vcc, s23, v46
	buffer_store_dword v51, off, s[0:3], 0
	buffer_store_dword v51, off, s[0:3], 0 offset:4
	buffer_store_dword v51, off, s[0:3], 0 offset:8
	;; [unrolled: 1-line block ×3, first 2 shown]
	v_cndmask_b32_e32 v13, v54, v57, vcc
	v_cndmask_b32_e32 v12, v55, v56, vcc
	v_mul_u32_u24_e32 v52, 0x90, v0
	v_mov_b32_e32 v49, 0
	v_mov_b32_e32 v47, 0
	;; [unrolled: 1-line block ×6, first 2 shown]
	s_movk_i32 s12, 0x80
	v_add_co_u32_e64 v10, s[10:11], s12, v10
	v_addc_co_u32_e64 v11, s[10:11], 0, v11, s[10:11]
	v_cndmask_b32_e64 v11, v54, v11, s[6:7]
	v_cndmask_b32_e64 v10, v55, v10, s[6:7]
	s_cmp_lg_u64 s[44:45], 0
	s_waitcnt vmcnt(0) lgkmcnt(0)
	ds_write_b128 v53, v[6:9]
	flat_load_dwordx4 v[6:9], v[12:13]
	v_mov_b32_e32 v12, 0
	v_mov_b32_e32 v13, 0
	s_waitcnt vmcnt(0) lgkmcnt(0)
	ds_write_b128 v53, v[6:9] offset:4608
	s_waitcnt lgkmcnt(0)
	s_barrier
	ds_read_b128 v[6:9], v36 offset:9216
	ds_read_b128 v[58:61], v52
	ds_read_b128 v[62:65], v52 offset:4608
	ds_read_b128 v[66:69], v36 offset:9472
	;; [unrolled: 1-line block ×4, first 2 shown]
	s_waitcnt lgkmcnt(4)
	;;#ASMSTART
	v_dot2_f32_f16 v49, v58, v6, v49
	;;#ASMEND
	;;#ASMSTART
	v_dot2_f32_f16 v49, v59, v7, v49
	;;#ASMEND
	;;#ASMSTART
	v_dot2_f32_f16 v49, v60, v8, v49
	;;#ASMEND
	;;#ASMSTART
	v_dot2_f32_f16 v49, v61, v9, v49
	;;#ASMEND
	s_waitcnt lgkmcnt(2)
	;;#ASMSTART
	v_dot2_f32_f16 v47, v58, v66, v47
	;;#ASMEND
	;;#ASMSTART
	v_dot2_f32_f16 v47, v59, v67, v47
	;;#ASMEND
	;;#ASMSTART
	v_dot2_f32_f16 v47, v60, v68, v47
	;;#ASMEND
	;;#ASMSTART
	v_dot2_f32_f16 v47, v61, v69, v47
	;;#ASMEND
	;; [unrolled: 13-line block ×4, first 2 shown]
	;;#ASMSTART
	v_dot2_f32_f16 v50, v62, v6, v50
	;;#ASMEND
	;;#ASMSTART
	v_dot2_f32_f16 v50, v63, v7, v50
	;;#ASMEND
	;; [unrolled: 3-line block ×16, first 2 shown]
	ds_read_b128 v[6:9], v36 offset:9232
	ds_read_b128 v[58:61], v52 offset:16
	;; [unrolled: 1-line block ×6, first 2 shown]
	s_waitcnt lgkmcnt(4)
	;;#ASMSTART
	v_dot2_f32_f16 v49, v58, v6, v49
	;;#ASMEND
	;;#ASMSTART
	v_dot2_f32_f16 v49, v59, v7, v49
	;;#ASMEND
	;;#ASMSTART
	v_dot2_f32_f16 v49, v60, v8, v49
	;;#ASMEND
	;;#ASMSTART
	v_dot2_f32_f16 v49, v61, v9, v49
	;;#ASMEND
	s_waitcnt lgkmcnt(2)
	;;#ASMSTART
	v_dot2_f32_f16 v47, v58, v66, v47
	;;#ASMEND
	;;#ASMSTART
	v_dot2_f32_f16 v47, v59, v67, v47
	;;#ASMEND
	;;#ASMSTART
	v_dot2_f32_f16 v47, v60, v68, v47
	;;#ASMEND
	;;#ASMSTART
	v_dot2_f32_f16 v47, v61, v69, v47
	;;#ASMEND
	;; [unrolled: 13-line block ×4, first 2 shown]
	;;#ASMSTART
	v_dot2_f32_f16 v50, v62, v6, v50
	;;#ASMEND
	;;#ASMSTART
	v_dot2_f32_f16 v50, v63, v7, v50
	;;#ASMEND
	;; [unrolled: 3-line block ×16, first 2 shown]
	ds_read_b128 v[6:9], v36 offset:9248
	ds_read_b128 v[58:61], v52 offset:32
	ds_read_b128 v[62:65], v52 offset:4640
	ds_read_b128 v[66:69], v36 offset:9504
	ds_read_b128 v[70:73], v36 offset:9760
	ds_read_b128 v[74:77], v36 offset:10016
	s_waitcnt lgkmcnt(4)
	;;#ASMSTART
	v_dot2_f32_f16 v49, v58, v6, v49
	;;#ASMEND
	;;#ASMSTART
	v_dot2_f32_f16 v49, v59, v7, v49
	;;#ASMEND
	;;#ASMSTART
	v_dot2_f32_f16 v49, v60, v8, v49
	;;#ASMEND
	;;#ASMSTART
	v_dot2_f32_f16 v49, v61, v9, v49
	;;#ASMEND
	s_waitcnt lgkmcnt(2)
	;;#ASMSTART
	v_dot2_f32_f16 v47, v58, v66, v47
	;;#ASMEND
	;;#ASMSTART
	v_dot2_f32_f16 v47, v59, v67, v47
	;;#ASMEND
	;;#ASMSTART
	v_dot2_f32_f16 v47, v60, v68, v47
	;;#ASMEND
	;;#ASMSTART
	v_dot2_f32_f16 v47, v61, v69, v47
	;;#ASMEND
	;; [unrolled: 13-line block ×4, first 2 shown]
	;;#ASMSTART
	v_dot2_f32_f16 v50, v62, v6, v50
	;;#ASMEND
	;;#ASMSTART
	v_dot2_f32_f16 v50, v63, v7, v50
	;;#ASMEND
	;; [unrolled: 3-line block ×16, first 2 shown]
	ds_read_b128 v[6:9], v36 offset:9264
	ds_read_b128 v[58:61], v52 offset:48
	;; [unrolled: 1-line block ×6, first 2 shown]
	s_waitcnt lgkmcnt(4)
	;;#ASMSTART
	v_dot2_f32_f16 v49, v58, v6, v49
	;;#ASMEND
	;;#ASMSTART
	v_dot2_f32_f16 v49, v59, v7, v49
	;;#ASMEND
	;;#ASMSTART
	v_dot2_f32_f16 v49, v60, v8, v49
	;;#ASMEND
	;;#ASMSTART
	v_dot2_f32_f16 v49, v61, v9, v49
	;;#ASMEND
	s_waitcnt lgkmcnt(2)
	;;#ASMSTART
	v_dot2_f32_f16 v47, v58, v66, v47
	;;#ASMEND
	;;#ASMSTART
	v_dot2_f32_f16 v47, v59, v67, v47
	;;#ASMEND
	;;#ASMSTART
	v_dot2_f32_f16 v47, v60, v68, v47
	;;#ASMEND
	;;#ASMSTART
	v_dot2_f32_f16 v47, v61, v69, v47
	;;#ASMEND
	;; [unrolled: 13-line block ×4, first 2 shown]
	;;#ASMSTART
	v_dot2_f32_f16 v50, v62, v6, v50
	;;#ASMEND
	;;#ASMSTART
	v_dot2_f32_f16 v50, v63, v7, v50
	;;#ASMEND
	;; [unrolled: 3-line block ×16, first 2 shown]
	ds_read_b128 v[6:9], v36 offset:9280
	ds_read_b128 v[58:61], v52 offset:64
	;; [unrolled: 1-line block ×6, first 2 shown]
	s_waitcnt lgkmcnt(4)
	;;#ASMSTART
	v_dot2_f32_f16 v49, v58, v6, v49
	;;#ASMEND
	;;#ASMSTART
	v_dot2_f32_f16 v49, v59, v7, v49
	;;#ASMEND
	;;#ASMSTART
	v_dot2_f32_f16 v49, v60, v8, v49
	;;#ASMEND
	;;#ASMSTART
	v_dot2_f32_f16 v49, v61, v9, v49
	;;#ASMEND
	s_waitcnt lgkmcnt(2)
	;;#ASMSTART
	v_dot2_f32_f16 v47, v58, v66, v47
	;;#ASMEND
	;;#ASMSTART
	v_dot2_f32_f16 v47, v59, v67, v47
	;;#ASMEND
	;;#ASMSTART
	v_dot2_f32_f16 v47, v60, v68, v47
	;;#ASMEND
	;;#ASMSTART
	v_dot2_f32_f16 v47, v61, v69, v47
	;;#ASMEND
	s_waitcnt lgkmcnt(1)
	;;#ASMSTART
	v_dot2_f32_f16 v45, v58, v70, v45
	;;#ASMEND
	;;#ASMSTART
	v_dot2_f32_f16 v45, v59, v71, v45
	;;#ASMEND
	;;#ASMSTART
	v_dot2_f32_f16 v45, v60, v72, v45
	;;#ASMEND
	;;#ASMSTART
	v_dot2_f32_f16 v45, v61, v73, v45
	;;#ASMEND
	s_waitcnt lgkmcnt(0)
	;;#ASMSTART
	v_dot2_f32_f16 v12, v58, v74, v12
	;;#ASMEND
	;;#ASMSTART
	v_dot2_f32_f16 v12, v59, v75, v12
	;;#ASMEND
	;;#ASMSTART
	v_dot2_f32_f16 v12, v60, v76, v12
	;;#ASMEND
	;;#ASMSTART
	v_dot2_f32_f16 v12, v61, v77, v12
	;;#ASMEND
	;;#ASMSTART
	v_dot2_f32_f16 v50, v62, v6, v50
	;;#ASMEND
	;;#ASMSTART
	v_dot2_f32_f16 v50, v63, v7, v50
	;;#ASMEND
	;; [unrolled: 3-line block ×16, first 2 shown]
	ds_read_b128 v[6:9], v36 offset:9296
	ds_read_b128 v[58:61], v52 offset:80
	;; [unrolled: 1-line block ×6, first 2 shown]
	s_waitcnt lgkmcnt(4)
	;;#ASMSTART
	v_dot2_f32_f16 v49, v58, v6, v49
	;;#ASMEND
	;;#ASMSTART
	v_dot2_f32_f16 v49, v59, v7, v49
	;;#ASMEND
	;;#ASMSTART
	v_dot2_f32_f16 v49, v60, v8, v49
	;;#ASMEND
	;;#ASMSTART
	v_dot2_f32_f16 v49, v61, v9, v49
	;;#ASMEND
	s_waitcnt lgkmcnt(2)
	;;#ASMSTART
	v_dot2_f32_f16 v47, v58, v66, v47
	;;#ASMEND
	;;#ASMSTART
	v_dot2_f32_f16 v47, v59, v67, v47
	;;#ASMEND
	;;#ASMSTART
	v_dot2_f32_f16 v47, v60, v68, v47
	;;#ASMEND
	;;#ASMSTART
	v_dot2_f32_f16 v47, v61, v69, v47
	;;#ASMEND
	;; [unrolled: 13-line block ×4, first 2 shown]
	;;#ASMSTART
	v_dot2_f32_f16 v50, v62, v6, v50
	;;#ASMEND
	;;#ASMSTART
	v_dot2_f32_f16 v50, v63, v7, v50
	;;#ASMEND
	;; [unrolled: 3-line block ×16, first 2 shown]
	ds_read_b128 v[6:9], v36 offset:9312
	ds_read_b128 v[58:61], v52 offset:96
	;; [unrolled: 1-line block ×6, first 2 shown]
	s_waitcnt lgkmcnt(4)
	;;#ASMSTART
	v_dot2_f32_f16 v49, v58, v6, v49
	;;#ASMEND
	;;#ASMSTART
	v_dot2_f32_f16 v49, v59, v7, v49
	;;#ASMEND
	;;#ASMSTART
	v_dot2_f32_f16 v49, v60, v8, v49
	;;#ASMEND
	;;#ASMSTART
	v_dot2_f32_f16 v49, v61, v9, v49
	;;#ASMEND
	s_waitcnt lgkmcnt(2)
	;;#ASMSTART
	v_dot2_f32_f16 v47, v58, v66, v47
	;;#ASMEND
	;;#ASMSTART
	v_dot2_f32_f16 v47, v59, v67, v47
	;;#ASMEND
	;;#ASMSTART
	v_dot2_f32_f16 v47, v60, v68, v47
	;;#ASMEND
	;;#ASMSTART
	v_dot2_f32_f16 v47, v61, v69, v47
	;;#ASMEND
	;; [unrolled: 13-line block ×4, first 2 shown]
	;;#ASMSTART
	v_dot2_f32_f16 v50, v62, v6, v50
	;;#ASMEND
	;;#ASMSTART
	v_dot2_f32_f16 v50, v63, v7, v50
	;;#ASMEND
	;; [unrolled: 3-line block ×16, first 2 shown]
	ds_read_b128 v[6:9], v36 offset:9328
	ds_read_b128 v[58:61], v52 offset:112
	ds_read_b128 v[62:65], v52 offset:4720
	ds_read_b128 v[66:69], v36 offset:9584
	ds_read_b128 v[70:73], v36 offset:9840
	ds_read_b128 v[74:77], v36 offset:10096
	s_waitcnt lgkmcnt(4)
	;;#ASMSTART
	v_dot2_f32_f16 v49, v58, v6, v49
	;;#ASMEND
	;;#ASMSTART
	v_dot2_f32_f16 v49, v59, v7, v49
	;;#ASMEND
	;;#ASMSTART
	v_dot2_f32_f16 v49, v60, v8, v49
	;;#ASMEND
	;;#ASMSTART
	v_dot2_f32_f16 v49, v61, v9, v49
	;;#ASMEND
	s_waitcnt lgkmcnt(2)
	;;#ASMSTART
	v_dot2_f32_f16 v47, v58, v66, v47
	;;#ASMEND
	;;#ASMSTART
	v_dot2_f32_f16 v47, v59, v67, v47
	;;#ASMEND
	;;#ASMSTART
	v_dot2_f32_f16 v47, v60, v68, v47
	;;#ASMEND
	;;#ASMSTART
	v_dot2_f32_f16 v47, v61, v69, v47
	;;#ASMEND
	;; [unrolled: 13-line block ×4, first 2 shown]
	;;#ASMSTART
	v_dot2_f32_f16 v50, v62, v6, v50
	;;#ASMEND
	;;#ASMSTART
	v_dot2_f32_f16 v50, v63, v7, v50
	;;#ASMEND
	;; [unrolled: 3-line block ×16, first 2 shown]
	s_barrier
	buffer_store_dword v51, off, s[0:3], 0
	buffer_store_dword v51, off, s[0:3], 0 offset:4
	buffer_store_dword v51, off, s[0:3], 0 offset:8
	;; [unrolled: 1-line block ×3, first 2 shown]
	flat_load_dwordx4 v[6:9], v[10:11]
	v_add_co_u32_e64 v10, s[6:7], s12, v56
	v_addc_co_u32_e64 v11, s[6:7], 0, v57, s[6:7]
	v_cndmask_b32_e32 v11, v54, v11, vcc
	v_cndmask_b32_e32 v10, v55, v10, vcc
	buffer_store_dword v51, off, s[0:3], 0
	buffer_store_dword v51, off, s[0:3], 0 offset:4
	buffer_store_dword v51, off, s[0:3], 0 offset:8
	;; [unrolled: 1-line block ×3, first 2 shown]
	s_cselect_b64 s[6:7], -1, 0
	v_cmp_gt_i32_e64 s[12:13], s23, v0
	s_waitcnt vmcnt(0) lgkmcnt(0)
	ds_write_b128 v53, v[6:9]
	flat_load_dwordx4 v[6:9], v[10:11]
	v_cndmask_b32_e64 v10, 0, 1, s[6:7]
	v_add_u32_e32 v11, s19, v40
	v_cmp_ne_u32_e64 s[6:7], 1, v10
	s_waitcnt vmcnt(0) lgkmcnt(0)
	ds_write_b128 v53, v[6:9] offset:4608
	s_waitcnt lgkmcnt(0)
	s_barrier
	ds_read_b128 v[6:9], v36 offset:9344
	ds_read_b128 v[53:56], v52
	ds_read_b128 v[57:60], v52 offset:4608
	ds_read_b128 v[61:64], v36 offset:9600
	;; [unrolled: 1-line block ×4, first 2 shown]
	s_waitcnt lgkmcnt(4)
	;;#ASMSTART
	v_dot2_f32_f16 v49, v53, v6, v49
	;;#ASMEND
	;;#ASMSTART
	v_dot2_f32_f16 v49, v54, v7, v49
	;;#ASMEND
	;;#ASMSTART
	v_dot2_f32_f16 v49, v55, v8, v49
	;;#ASMEND
	;;#ASMSTART
	v_dot2_f32_f16 v49, v56, v9, v49
	;;#ASMEND
	s_waitcnt lgkmcnt(2)
	;;#ASMSTART
	v_dot2_f32_f16 v47, v53, v61, v47
	;;#ASMEND
	;;#ASMSTART
	v_dot2_f32_f16 v47, v54, v62, v47
	;;#ASMEND
	;;#ASMSTART
	v_dot2_f32_f16 v47, v55, v63, v47
	;;#ASMEND
	;;#ASMSTART
	v_dot2_f32_f16 v47, v56, v64, v47
	;;#ASMEND
	;; [unrolled: 13-line block ×4, first 2 shown]
	;;#ASMSTART
	v_dot2_f32_f16 v50, v57, v6, v50
	;;#ASMEND
	;;#ASMSTART
	v_dot2_f32_f16 v50, v58, v7, v50
	;;#ASMEND
	;; [unrolled: 3-line block ×16, first 2 shown]
	ds_read_b128 v[6:9], v36 offset:9360
	ds_read_b128 v[53:56], v52 offset:16
	;; [unrolled: 1-line block ×6, first 2 shown]
	s_waitcnt lgkmcnt(4)
	;;#ASMSTART
	v_dot2_f32_f16 v49, v53, v6, v49
	;;#ASMEND
	;;#ASMSTART
	v_dot2_f32_f16 v49, v54, v7, v49
	;;#ASMEND
	;;#ASMSTART
	v_dot2_f32_f16 v49, v55, v8, v49
	;;#ASMEND
	;;#ASMSTART
	v_dot2_f32_f16 v49, v56, v9, v49
	;;#ASMEND
	s_waitcnt lgkmcnt(2)
	;;#ASMSTART
	v_dot2_f32_f16 v47, v53, v61, v47
	;;#ASMEND
	;;#ASMSTART
	v_dot2_f32_f16 v47, v54, v62, v47
	;;#ASMEND
	;;#ASMSTART
	v_dot2_f32_f16 v47, v55, v63, v47
	;;#ASMEND
	;;#ASMSTART
	v_dot2_f32_f16 v47, v56, v64, v47
	;;#ASMEND
	s_waitcnt lgkmcnt(1)
	;;#ASMSTART
	v_dot2_f32_f16 v45, v53, v65, v45
	;;#ASMEND
	;;#ASMSTART
	v_dot2_f32_f16 v45, v54, v66, v45
	;;#ASMEND
	;;#ASMSTART
	v_dot2_f32_f16 v45, v55, v67, v45
	;;#ASMEND
	;;#ASMSTART
	v_dot2_f32_f16 v45, v56, v68, v45
	;;#ASMEND
	s_waitcnt lgkmcnt(0)
	;;#ASMSTART
	v_dot2_f32_f16 v12, v53, v69, v12
	;;#ASMEND
	;;#ASMSTART
	v_dot2_f32_f16 v12, v54, v70, v12
	;;#ASMEND
	;;#ASMSTART
	v_dot2_f32_f16 v12, v55, v71, v12
	;;#ASMEND
	;;#ASMSTART
	v_dot2_f32_f16 v12, v56, v72, v12
	;;#ASMEND
	;;#ASMSTART
	v_dot2_f32_f16 v50, v57, v6, v50
	;;#ASMEND
	;;#ASMSTART
	v_dot2_f32_f16 v50, v58, v7, v50
	;;#ASMEND
	;; [unrolled: 3-line block ×16, first 2 shown]
	ds_read_b128 v[6:9], v36 offset:9376
	ds_read_b128 v[53:56], v52 offset:32
	;; [unrolled: 1-line block ×6, first 2 shown]
	s_waitcnt lgkmcnt(4)
	;;#ASMSTART
	v_dot2_f32_f16 v49, v53, v6, v49
	;;#ASMEND
	;;#ASMSTART
	v_dot2_f32_f16 v49, v54, v7, v49
	;;#ASMEND
	;;#ASMSTART
	v_dot2_f32_f16 v49, v55, v8, v49
	;;#ASMEND
	;;#ASMSTART
	v_dot2_f32_f16 v49, v56, v9, v49
	;;#ASMEND
	s_waitcnt lgkmcnt(2)
	;;#ASMSTART
	v_dot2_f32_f16 v47, v53, v61, v47
	;;#ASMEND
	;;#ASMSTART
	v_dot2_f32_f16 v47, v54, v62, v47
	;;#ASMEND
	;;#ASMSTART
	v_dot2_f32_f16 v47, v55, v63, v47
	;;#ASMEND
	;;#ASMSTART
	v_dot2_f32_f16 v47, v56, v64, v47
	;;#ASMEND
	;; [unrolled: 13-line block ×4, first 2 shown]
	;;#ASMSTART
	v_dot2_f32_f16 v50, v57, v6, v50
	;;#ASMEND
	;;#ASMSTART
	v_dot2_f32_f16 v50, v58, v7, v50
	;;#ASMEND
	;; [unrolled: 3-line block ×16, first 2 shown]
	ds_read_b128 v[6:9], v36 offset:9392
	ds_read_b128 v[53:56], v52 offset:48
	;; [unrolled: 1-line block ×6, first 2 shown]
	s_waitcnt lgkmcnt(4)
	;;#ASMSTART
	v_dot2_f32_f16 v49, v53, v6, v49
	;;#ASMEND
	;;#ASMSTART
	v_dot2_f32_f16 v49, v54, v7, v49
	;;#ASMEND
	;;#ASMSTART
	v_dot2_f32_f16 v49, v55, v8, v49
	;;#ASMEND
	;;#ASMSTART
	v_dot2_f32_f16 v49, v56, v9, v49
	;;#ASMEND
	s_waitcnt lgkmcnt(2)
	;;#ASMSTART
	v_dot2_f32_f16 v47, v53, v61, v47
	;;#ASMEND
	;;#ASMSTART
	v_dot2_f32_f16 v47, v54, v62, v47
	;;#ASMEND
	;;#ASMSTART
	v_dot2_f32_f16 v47, v55, v63, v47
	;;#ASMEND
	;;#ASMSTART
	v_dot2_f32_f16 v47, v56, v64, v47
	;;#ASMEND
	s_waitcnt lgkmcnt(1)
	;;#ASMSTART
	v_dot2_f32_f16 v45, v53, v65, v45
	;;#ASMEND
	;;#ASMSTART
	v_dot2_f32_f16 v45, v54, v66, v45
	;;#ASMEND
	;;#ASMSTART
	v_dot2_f32_f16 v45, v55, v67, v45
	;;#ASMEND
	;;#ASMSTART
	v_dot2_f32_f16 v45, v56, v68, v45
	;;#ASMEND
	s_waitcnt lgkmcnt(0)
	;;#ASMSTART
	v_dot2_f32_f16 v12, v53, v69, v12
	;;#ASMEND
	;;#ASMSTART
	v_dot2_f32_f16 v12, v54, v70, v12
	;;#ASMEND
	;;#ASMSTART
	v_dot2_f32_f16 v12, v55, v71, v12
	;;#ASMEND
	;;#ASMSTART
	v_dot2_f32_f16 v12, v56, v72, v12
	;;#ASMEND
	;;#ASMSTART
	v_dot2_f32_f16 v50, v57, v6, v50
	;;#ASMEND
	;;#ASMSTART
	v_dot2_f32_f16 v50, v58, v7, v50
	;;#ASMEND
	;; [unrolled: 3-line block ×16, first 2 shown]
	ds_read_b128 v[6:9], v36 offset:9408
	ds_read_b128 v[53:56], v52 offset:64
	;; [unrolled: 1-line block ×6, first 2 shown]
	s_waitcnt lgkmcnt(4)
	;;#ASMSTART
	v_dot2_f32_f16 v49, v53, v6, v49
	;;#ASMEND
	;;#ASMSTART
	v_dot2_f32_f16 v49, v54, v7, v49
	;;#ASMEND
	;;#ASMSTART
	v_dot2_f32_f16 v49, v55, v8, v49
	;;#ASMEND
	;;#ASMSTART
	v_dot2_f32_f16 v49, v56, v9, v49
	;;#ASMEND
	s_waitcnt lgkmcnt(2)
	;;#ASMSTART
	v_dot2_f32_f16 v47, v53, v61, v47
	;;#ASMEND
	;;#ASMSTART
	v_dot2_f32_f16 v47, v54, v62, v47
	;;#ASMEND
	;;#ASMSTART
	v_dot2_f32_f16 v47, v55, v63, v47
	;;#ASMEND
	;;#ASMSTART
	v_dot2_f32_f16 v47, v56, v64, v47
	;;#ASMEND
	;; [unrolled: 13-line block ×4, first 2 shown]
	;;#ASMSTART
	v_dot2_f32_f16 v50, v57, v6, v50
	;;#ASMEND
	;;#ASMSTART
	v_dot2_f32_f16 v50, v58, v7, v50
	;;#ASMEND
	;; [unrolled: 3-line block ×16, first 2 shown]
	ds_read_b128 v[6:9], v36 offset:9424
	ds_read_b128 v[53:56], v52 offset:80
	;; [unrolled: 1-line block ×6, first 2 shown]
	s_waitcnt lgkmcnt(4)
	;;#ASMSTART
	v_dot2_f32_f16 v49, v53, v6, v49
	;;#ASMEND
	;;#ASMSTART
	v_dot2_f32_f16 v49, v54, v7, v49
	;;#ASMEND
	;;#ASMSTART
	v_dot2_f32_f16 v49, v55, v8, v49
	;;#ASMEND
	;;#ASMSTART
	v_dot2_f32_f16 v49, v56, v9, v49
	;;#ASMEND
	s_waitcnt lgkmcnt(2)
	;;#ASMSTART
	v_dot2_f32_f16 v47, v53, v61, v47
	;;#ASMEND
	;;#ASMSTART
	v_dot2_f32_f16 v47, v54, v62, v47
	;;#ASMEND
	;;#ASMSTART
	v_dot2_f32_f16 v47, v55, v63, v47
	;;#ASMEND
	;;#ASMSTART
	v_dot2_f32_f16 v47, v56, v64, v47
	;;#ASMEND
	;; [unrolled: 13-line block ×4, first 2 shown]
	;;#ASMSTART
	v_dot2_f32_f16 v50, v57, v6, v50
	;;#ASMEND
	;;#ASMSTART
	v_dot2_f32_f16 v50, v58, v7, v50
	;;#ASMEND
	;; [unrolled: 3-line block ×16, first 2 shown]
	ds_read_b128 v[6:9], v36 offset:9440
	ds_read_b128 v[53:56], v52 offset:96
	;; [unrolled: 1-line block ×6, first 2 shown]
	s_waitcnt lgkmcnt(4)
	;;#ASMSTART
	v_dot2_f32_f16 v49, v53, v6, v49
	;;#ASMEND
	;;#ASMSTART
	v_dot2_f32_f16 v49, v54, v7, v49
	;;#ASMEND
	;;#ASMSTART
	v_dot2_f32_f16 v49, v55, v8, v49
	;;#ASMEND
	;;#ASMSTART
	v_dot2_f32_f16 v49, v56, v9, v49
	;;#ASMEND
	s_waitcnt lgkmcnt(2)
	;;#ASMSTART
	v_dot2_f32_f16 v47, v53, v61, v47
	;;#ASMEND
	;;#ASMSTART
	v_dot2_f32_f16 v47, v54, v62, v47
	;;#ASMEND
	;;#ASMSTART
	v_dot2_f32_f16 v47, v55, v63, v47
	;;#ASMEND
	;;#ASMSTART
	v_dot2_f32_f16 v47, v56, v64, v47
	;;#ASMEND
	;; [unrolled: 13-line block ×4, first 2 shown]
	;;#ASMSTART
	v_dot2_f32_f16 v50, v57, v6, v50
	;;#ASMEND
	;;#ASMSTART
	v_dot2_f32_f16 v50, v58, v7, v50
	;;#ASMEND
	;; [unrolled: 3-line block ×16, first 2 shown]
	ds_read_b128 v[6:9], v36 offset:9456
	ds_read_b128 v[53:56], v52 offset:112
	;; [unrolled: 1-line block ×6, first 2 shown]
	s_waitcnt lgkmcnt(4)
	;;#ASMSTART
	v_dot2_f32_f16 v49, v53, v6, v49
	;;#ASMEND
	;;#ASMSTART
	v_dot2_f32_f16 v49, v54, v7, v49
	;;#ASMEND
	;;#ASMSTART
	v_dot2_f32_f16 v49, v55, v8, v49
	;;#ASMEND
	;;#ASMSTART
	v_dot2_f32_f16 v49, v56, v9, v49
	;;#ASMEND
	s_waitcnt lgkmcnt(2)
	;;#ASMSTART
	v_dot2_f32_f16 v47, v53, v61, v47
	;;#ASMEND
	;;#ASMSTART
	v_dot2_f32_f16 v47, v54, v62, v47
	;;#ASMEND
	;;#ASMSTART
	v_dot2_f32_f16 v47, v55, v63, v47
	;;#ASMEND
	;;#ASMSTART
	v_dot2_f32_f16 v47, v56, v64, v47
	;;#ASMEND
	;; [unrolled: 13-line block ×4, first 2 shown]
	;;#ASMSTART
	v_dot2_f32_f16 v50, v57, v6, v50
	;;#ASMEND
	;;#ASMSTART
	v_dot2_f32_f16 v50, v58, v7, v50
	;;#ASMEND
	;; [unrolled: 3-line block ×14, first 2 shown]
	v_mov_b32_e32 v9, v5
	;;#ASMSTART
	v_dot2_f32_f16 v13, v59, v71, v13
	;;#ASMEND
	v_mov_b32_e32 v8, v4
	v_mov_b32_e32 v7, v3
	;; [unrolled: 1-line block ×3, first 2 shown]
	;;#ASMSTART
	v_dot2_f32_f16 v13, v60, v72, v13
	;;#ASMEND
	s_and_saveexec_b64 s[10:11], s[12:13]
	s_cbranch_execz .LBB56_35
; %bb.32:
	s_and_b64 vcc, exec, s[6:7]
	s_cbranch_vccnz .LBB56_34
; %bb.33:
	v_add_u32_e32 v6, v11, v0
	v_ashrrev_i32_e32 v7, 31, v6
	v_lshlrev_b64 v[6:7], 1, v[6:7]
	v_mov_b32_e32 v8, s45
	v_add_co_u32_e32 v6, vcc, s44, v6
	v_addc_co_u32_e32 v7, vcc, v8, v7, vcc
	global_load_ushort v6, v[6:7], off
	s_waitcnt vmcnt(0)
	v_cvt_f32_f16_e32 v6, v6
	v_mul_f32_e32 v51, v26, v6
.LBB56_34:
	v_add_f32_e32 v49, v49, v51
	v_add_f32_e32 v6, 0x40051340, v49
	v_max_f32_e32 v7, v2, v2
	v_max_f32_e32 v10, v7, v6
	v_mov_b32_e32 v9, v5
	v_mov_b32_e32 v6, v2
	;; [unrolled: 1-line block ×5, first 2 shown]
.LBB56_35:
	s_or_b64 exec, exec, s[10:11]
	v_add_u32_e32 v10, 32, v0
	v_cmp_gt_i32_e64 s[10:11], s23, v10
	s_and_saveexec_b64 s[14:15], s[10:11]
	s_cbranch_execz .LBB56_40
; %bb.36:
	s_and_b64 vcc, exec, s[6:7]
	s_cbranch_vccnz .LBB56_38
; %bb.37:
	v_ashrrev_i32_e32 v36, 31, v11
	v_add_co_u32_e32 v51, vcc, v11, v0
	v_addc_co_u32_e32 v52, vcc, 0, v36, vcc
	v_lshlrev_b64 v[51:52], 1, v[51:52]
	v_mov_b32_e32 v11, s45
	v_add_co_u32_e32 v51, vcc, s44, v51
	v_addc_co_u32_e32 v52, vcc, v11, v52, vcc
	global_load_ushort v11, v[51:52], off offset:64
	s_waitcnt vmcnt(0)
	v_cvt_f32_f16_e32 v11, v11
	v_mul_f32_e32 v11, v26, v11
	s_branch .LBB56_39
.LBB56_38:
	v_mov_b32_e32 v11, 0
.LBB56_39:
	v_add_f32_e32 v50, v50, v11
	v_add_f32_e32 v11, 0x40051340, v50
	v_max_f32_e32 v6, v6, v6
	v_max_f32_e32 v6, v6, v11
.LBB56_40:
	s_or_b64 exec, exec, s[14:15]
	v_mbcnt_hi_u32_b32 v51, -1, v37
	v_and_b32_e32 v11, 0x60, v51
	v_add_u32_e32 v52, 32, v11
	v_xor_b32_e32 v54, 16, v51
	v_cmp_lt_i32_e32 vcc, v54, v52
	v_cndmask_b32_e32 v11, v51, v54, vcc
	v_lshlrev_b32_e32 v37, 2, v11
	ds_bpermute_b32 v11, v37, v6
	v_xor_b32_e32 v53, 8, v51
	v_cmp_lt_i32_e32 vcc, v53, v52
	v_cndmask_b32_e32 v36, v51, v53, vcc
	v_max_f32_e32 v6, v6, v6
	s_waitcnt lgkmcnt(0)
	v_max_f32_e32 v11, v11, v11
	v_lshlrev_b32_e32 v40, 2, v36
	v_max_f32_e32 v6, v6, v11
	ds_bpermute_b32 v11, v40, v6
	v_xor_b32_e32 v55, 4, v51
	v_cmp_lt_i32_e32 vcc, v55, v52
	v_cndmask_b32_e32 v36, v51, v55, vcc
	v_lshlrev_b32_e32 v36, 2, v36
	s_waitcnt lgkmcnt(0)
	v_max_f32_e32 v11, v11, v11
	v_max_f32_e32 v6, v6, v11
	ds_bpermute_b32 v58, v36, v6
	v_xor_b32_e32 v56, 2, v51
	v_cmp_lt_i32_e32 vcc, v56, v52
	v_cndmask_b32_e32 v11, v51, v56, vcc
	v_mul_hi_u32 v60, s28, v34
	s_waitcnt lgkmcnt(0)
	v_max_f32_e32 v58, v58, v58
	v_lshlrev_b32_e32 v11, 2, v11
	v_max_f32_e32 v6, v6, v58
	ds_bpermute_b32 v59, v11, v6
	v_add_u32_e32 v60, v34, v60
	v_xor_b32_e32 v57, 1, v51
	v_lshrrev_b32_e32 v60, s29, v60
	v_cmp_lt_i32_e32 vcc, v57, v52
	v_mul_lo_u32 v60, v60, s30
	v_cndmask_b32_e32 v58, v51, v57, vcc
	s_waitcnt lgkmcnt(0)
	v_max_f32_e32 v59, v59, v59
	v_lshlrev_b32_e32 v58, 2, v58
	v_max_f32_e32 v6, v6, v59
	ds_bpermute_b32 v59, v58, v6
	v_sub_u32_e32 v34, v34, v60
	v_mul_lo_u32 v34, v34, s22
	s_waitcnt lgkmcnt(0)
	v_max_f32_e32 v59, v59, v59
	v_max_f32_e32 v6, v6, v59
	v_add_u32_e32 v34, s19, v34
	s_and_saveexec_b64 s[14:15], s[12:13]
	s_cbranch_execz .LBB56_45
; %bb.41:
	s_and_b64 vcc, exec, s[6:7]
	s_cbranch_vccnz .LBB56_43
; %bb.42:
	v_add_u32_e32 v59, v34, v0
	v_ashrrev_i32_e32 v60, 31, v59
	v_lshlrev_b64 v[59:60], 1, v[59:60]
	v_mov_b32_e32 v61, s45
	v_add_co_u32_e32 v59, vcc, s44, v59
	v_addc_co_u32_e32 v60, vcc, v61, v60, vcc
	global_load_ushort v59, v[59:60], off
	s_waitcnt vmcnt(0)
	v_cvt_f32_f16_e32 v59, v59
	v_mul_f32_e32 v59, v26, v59
	s_branch .LBB56_44
.LBB56_43:
	v_mov_b32_e32 v59, 0
.LBB56_44:
	v_add_f32_e32 v47, v47, v59
	v_add_f32_e32 v59, 0x40051340, v47
	v_max_f32_e32 v7, v7, v7
	v_max_f32_e32 v7, v7, v59
.LBB56_45:
	s_or_b64 exec, exec, s[14:15]
	s_and_saveexec_b64 s[14:15], s[10:11]
	s_cbranch_execz .LBB56_50
; %bb.46:
	s_and_b64 vcc, exec, s[6:7]
	s_cbranch_vccnz .LBB56_48
; %bb.47:
	v_ashrrev_i32_e32 v60, 31, v34
	v_add_co_u32_e32 v59, vcc, v34, v0
	v_addc_co_u32_e32 v60, vcc, 0, v60, vcc
	v_lshlrev_b64 v[59:60], 1, v[59:60]
	v_mov_b32_e32 v34, s45
	v_add_co_u32_e32 v59, vcc, s44, v59
	v_addc_co_u32_e32 v60, vcc, v34, v60, vcc
	global_load_ushort v34, v[59:60], off offset:64
	s_waitcnt vmcnt(0)
	v_cvt_f32_f16_e32 v34, v34
	v_mul_f32_e32 v34, v26, v34
	s_branch .LBB56_49
.LBB56_48:
	v_mov_b32_e32 v34, 0
.LBB56_49:
	v_add_f32_e32 v48, v48, v34
	v_add_f32_e32 v34, 0x40051340, v48
	v_max_f32_e32 v7, v7, v7
	v_max_f32_e32 v7, v7, v34
.LBB56_50:
	s_or_b64 exec, exec, s[14:15]
	ds_bpermute_b32 v34, v37, v7
	v_max_f32_e32 v7, v7, v7
	v_mul_hi_u32 v59, s28, v31
	s_waitcnt lgkmcnt(0)
	v_max_f32_e32 v34, v34, v34
	v_max_f32_e32 v7, v7, v34
	ds_bpermute_b32 v34, v40, v7
	v_add_u32_e32 v59, v31, v59
	v_lshrrev_b32_e32 v59, s29, v59
	v_mul_lo_u32 v59, v59, s30
	s_waitcnt lgkmcnt(0)
	v_max_f32_e32 v34, v34, v34
	v_max_f32_e32 v7, v7, v34
	ds_bpermute_b32 v34, v36, v7
	v_sub_u32_e32 v31, v31, v59
	v_mul_lo_u32 v31, v31, s22
	s_waitcnt lgkmcnt(0)
	v_max_f32_e32 v34, v34, v34
	v_max_f32_e32 v7, v7, v34
	ds_bpermute_b32 v34, v11, v7
	v_add_u32_e32 v31, s19, v31
	s_waitcnt lgkmcnt(0)
	v_max_f32_e32 v34, v34, v34
	v_max_f32_e32 v7, v7, v34
	ds_bpermute_b32 v34, v58, v7
	s_waitcnt lgkmcnt(0)
	v_max_f32_e32 v34, v34, v34
	v_max_f32_e32 v7, v7, v34
	s_and_saveexec_b64 s[14:15], s[12:13]
	s_cbranch_execz .LBB56_55
; %bb.51:
	s_and_b64 vcc, exec, s[6:7]
	s_cbranch_vccnz .LBB56_53
; %bb.52:
	v_add_u32_e32 v59, v31, v0
	v_ashrrev_i32_e32 v60, 31, v59
	v_lshlrev_b64 v[59:60], 1, v[59:60]
	v_mov_b32_e32 v34, s45
	v_add_co_u32_e32 v59, vcc, s44, v59
	v_addc_co_u32_e32 v60, vcc, v34, v60, vcc
	global_load_ushort v34, v[59:60], off
	s_waitcnt vmcnt(0)
	v_cvt_f32_f16_e32 v34, v34
	v_mul_f32_e32 v34, v26, v34
	s_branch .LBB56_54
.LBB56_53:
	v_mov_b32_e32 v34, 0
.LBB56_54:
	v_add_f32_e32 v45, v45, v34
	v_add_f32_e32 v34, 0x40051340, v45
	v_max_f32_e32 v8, v8, v8
	v_max_f32_e32 v8, v8, v34
.LBB56_55:
	s_or_b64 exec, exec, s[14:15]
	s_and_saveexec_b64 s[14:15], s[10:11]
	s_cbranch_execz .LBB56_60
; %bb.56:
	s_and_b64 vcc, exec, s[6:7]
	s_cbranch_vccnz .LBB56_58
; %bb.57:
	v_ashrrev_i32_e32 v34, 31, v31
	v_add_co_u32_e32 v59, vcc, v31, v0
	v_addc_co_u32_e32 v60, vcc, 0, v34, vcc
	v_lshlrev_b64 v[59:60], 1, v[59:60]
	v_mov_b32_e32 v31, s45
	v_add_co_u32_e32 v59, vcc, s44, v59
	v_addc_co_u32_e32 v60, vcc, v31, v60, vcc
	global_load_ushort v31, v[59:60], off offset:64
	s_waitcnt vmcnt(0)
	v_cvt_f32_f16_e32 v31, v31
	v_mul_f32_e32 v31, v26, v31
	s_branch .LBB56_59
.LBB56_58:
	v_mov_b32_e32 v31, 0
.LBB56_59:
	v_add_f32_e32 v46, v46, v31
	v_add_f32_e32 v31, 0x40051340, v46
	v_max_f32_e32 v8, v8, v8
	v_max_f32_e32 v8, v8, v31
.LBB56_60:
	s_or_b64 exec, exec, s[14:15]
	ds_bpermute_b32 v31, v37, v8
	v_max_f32_e32 v8, v8, v8
	v_mul_hi_u32 v34, s28, v28
	s_waitcnt lgkmcnt(0)
	v_max_f32_e32 v31, v31, v31
	v_max_f32_e32 v8, v8, v31
	ds_bpermute_b32 v31, v40, v8
	v_add_u32_e32 v34, v28, v34
	v_lshrrev_b32_e32 v34, s29, v34
	v_mul_lo_u32 v34, v34, s30
	s_waitcnt lgkmcnt(0)
	v_max_f32_e32 v31, v31, v31
	v_max_f32_e32 v8, v8, v31
	ds_bpermute_b32 v31, v36, v8
	v_sub_u32_e32 v28, v28, v34
	v_mul_lo_u32 v28, v28, s22
	s_waitcnt lgkmcnt(0)
	v_max_f32_e32 v31, v31, v31
	v_max_f32_e32 v8, v8, v31
	ds_bpermute_b32 v31, v11, v8
	v_add_u32_e32 v28, s19, v28
	s_waitcnt lgkmcnt(0)
	v_max_f32_e32 v31, v31, v31
	v_max_f32_e32 v8, v8, v31
	ds_bpermute_b32 v31, v58, v8
	s_waitcnt lgkmcnt(0)
	v_max_f32_e32 v31, v31, v31
	v_max_f32_e32 v8, v8, v31
	s_and_saveexec_b64 s[14:15], s[12:13]
	s_cbranch_execz .LBB56_65
; %bb.61:
	s_and_b64 vcc, exec, s[6:7]
	s_cbranch_vccnz .LBB56_63
; %bb.62:
	v_add_u32_e32 v59, v28, v0
	v_ashrrev_i32_e32 v60, 31, v59
	v_lshlrev_b64 v[59:60], 1, v[59:60]
	v_mov_b32_e32 v31, s45
	v_add_co_u32_e32 v59, vcc, s44, v59
	v_addc_co_u32_e32 v60, vcc, v31, v60, vcc
	global_load_ushort v31, v[59:60], off
	s_waitcnt vmcnt(0)
	v_cvt_f32_f16_e32 v31, v31
	v_mul_f32_e32 v31, v26, v31
	s_branch .LBB56_64
.LBB56_63:
	v_mov_b32_e32 v31, 0
.LBB56_64:
	v_add_f32_e32 v12, v12, v31
	v_add_f32_e32 v31, 0x40051340, v12
	v_max_f32_e32 v9, v9, v9
	v_max_f32_e32 v9, v9, v31
.LBB56_65:
	s_or_b64 exec, exec, s[14:15]
	s_and_saveexec_b64 s[12:13], s[10:11]
	s_cbranch_execz .LBB56_70
; %bb.66:
	s_and_b64 vcc, exec, s[6:7]
	s_cbranch_vccnz .LBB56_68
; %bb.67:
	v_ashrrev_i32_e32 v31, 31, v28
	v_add_co_u32_e32 v59, vcc, v28, v0
	v_addc_co_u32_e32 v60, vcc, 0, v31, vcc
	v_lshlrev_b64 v[59:60], 1, v[59:60]
	v_mov_b32_e32 v28, s45
	v_add_co_u32_e32 v59, vcc, s44, v59
	v_addc_co_u32_e32 v60, vcc, v28, v60, vcc
	global_load_ushort v28, v[59:60], off offset:64
	s_waitcnt vmcnt(0)
	v_cvt_f32_f16_e32 v28, v28
	v_mul_f32_e32 v26, v26, v28
	s_branch .LBB56_69
.LBB56_68:
	v_mov_b32_e32 v26, 0
.LBB56_69:
	v_add_f32_e32 v13, v13, v26
	v_add_f32_e32 v26, 0x40051340, v13
	v_max_f32_e32 v9, v9, v9
	v_max_f32_e32 v9, v9, v26
.LBB56_70:
	s_or_b64 exec, exec, s[12:13]
	ds_bpermute_b32 v26, v37, v9
	v_max_f32_e32 v9, v9, v9
	s_mov_b64 s[12:13], src_private_base
	v_sub_f32_e32 v31, v49, v6
	s_mov_b32 s12, 0x3fb8aa3b
	s_waitcnt lgkmcnt(0)
	v_max_f32_e32 v26, v26, v26
	v_max_f32_e32 v9, v9, v26
	ds_bpermute_b32 v28, v40, v9
	v_mul_f32_e32 v34, 0x3fb8aa3b, v31
	v_rndne_f32_e32 v37, v34
	s_mov_b32 s14, 0xc2ce8ed0
	v_cmp_ngt_f32_e32 vcc, s14, v31
	s_waitcnt lgkmcnt(0)
	v_max_f32_e32 v28, v28, v28
	v_max_f32_e32 v9, v9, v28
	ds_bpermute_b32 v28, v36, v9
	v_fma_f32 v36, v31, s12, -v34
	v_fmac_f32_e32 v36, 0x32a5705f, v31
	s_mov_b32 s15, 0x42b17218
	v_lshlrev_b32_e32 v26, 9, v1
	s_waitcnt lgkmcnt(0)
	v_max_f32_e32 v28, v28, v28
	v_max_f32_e32 v9, v9, v28
	ds_bpermute_b32 v11, v11, v9
	v_sub_f32_e32 v28, v34, v37
	v_add_f32_e32 v28, v28, v36
	v_cvt_i32_f32_e32 v34, v37
	v_exp_f32_e32 v28, v28
	s_waitcnt lgkmcnt(0)
	v_max_f32_e32 v11, v11, v11
	v_max_f32_e32 v9, v9, v11
	ds_bpermute_b32 v11, v58, v9
	v_ldexp_f32 v28, v28, v34
	v_cndmask_b32_e32 v34, 0, v28, vcc
	v_mov_b32_e32 v28, 0x7f800000
	v_cmp_nlt_f32_e32 vcc, s15, v31
	s_waitcnt lgkmcnt(0)
	v_max_f32_e32 v11, v11, v11
	v_sub_f32_e32 v31, v50, v6
	v_max_f32_e32 v9, v9, v11
	v_cndmask_b32_e32 v11, v28, v34, vcc
	v_mul_f32_e32 v34, 0x3fb8aa3b, v31
	v_fma_f32 v36, v31, s12, -v34
	v_rndne_f32_e32 v37, v34
	v_fmac_f32_e32 v36, 0x32a5705f, v31
	v_sub_f32_e32 v34, v34, v37
	v_add_f32_e32 v34, v34, v36
	v_exp_f32_e32 v34, v34
	v_cvt_i32_f32_e32 v36, v37
	v_cmp_ngt_f32_e64 s[6:7], s14, v31
	v_sub_f32_e32 v12, v12, v9
	v_sub_f32_e32 v13, v13, v9
	v_ldexp_f32 v34, v34, v36
	v_cndmask_b32_e64 v34, 0, v34, s[6:7]
	v_cmp_nlt_f32_e64 s[6:7], s15, v31
	v_cndmask_b32_e64 v31, v28, v34, s[6:7]
	v_sub_f32_e32 v34, v47, v7
	v_mul_f32_e32 v36, 0x3fb8aa3b, v34
	v_fma_f32 v37, v34, s12, -v36
	v_rndne_f32_e32 v40, v36
	v_fmac_f32_e32 v37, 0x32a5705f, v34
	v_sub_f32_e32 v36, v36, v40
	v_add_f32_e32 v36, v36, v37
	v_exp_f32_e32 v36, v36
	v_cvt_i32_f32_e32 v37, v40
	v_cmp_ngt_f32_e64 s[10:11], s14, v34
	v_cmp_gt_u32_e32 vcc, s23, v0
	v_cndmask_b32_e32 v49, 0, v11, vcc
	v_ldexp_f32 v36, v36, v37
	v_sub_f32_e32 v37, v48, v7
	v_mul_f32_e32 v40, 0x3fb8aa3b, v37
	v_fma_f32 v48, v37, s12, -v40
	v_rndne_f32_e32 v50, v40
	v_fmac_f32_e32 v48, 0x32a5705f, v37
	v_sub_f32_e32 v40, v40, v50
	v_add_f32_e32 v40, v40, v48
	v_exp_f32_e32 v40, v40
	v_cvt_i32_f32_e32 v50, v50
	v_cndmask_b32_e64 v36, 0, v36, s[10:11]
	v_cmp_nlt_f32_e64 s[10:11], s15, v34
	v_cndmask_b32_e64 v34, v28, v36, s[10:11]
	v_ldexp_f32 v36, v40, v50
	v_sub_f32_e32 v40, v45, v8
	v_mul_f32_e32 v45, 0x3fb8aa3b, v40
	v_fma_f32 v50, v40, s12, -v45
	v_rndne_f32_e32 v58, v45
	v_fmac_f32_e32 v50, 0x32a5705f, v40
	v_sub_f32_e32 v45, v45, v58
	v_add_f32_e32 v45, v45, v50
	v_exp_f32_e32 v45, v45
	v_cvt_i32_f32_e32 v50, v58
	v_cmp_ngt_f32_e64 s[10:11], s14, v37
	v_cndmask_b32_e64 v36, 0, v36, s[10:11]
	v_cmp_nlt_f32_e64 s[10:11], s15, v37
	v_ldexp_f32 v37, v45, v50
	v_sub_f32_e32 v45, v46, v8
	v_mul_f32_e32 v46, 0x3fb8aa3b, v45
	v_fma_f32 v50, v45, s12, -v46
	v_rndne_f32_e32 v58, v46
	v_fmac_f32_e32 v50, 0x32a5705f, v45
	v_sub_f32_e32 v46, v46, v58
	v_add_f32_e32 v46, v46, v50
	v_exp_f32_e32 v46, v46
	v_cvt_i32_f32_e32 v50, v58
	v_cndmask_b32_e64 v36, v28, v36, s[10:11]
	v_cmp_ngt_f32_e64 s[10:11], s14, v40
	v_cndmask_b32_e64 v37, 0, v37, s[10:11]
	v_cmp_nlt_f32_e64 s[10:11], s15, v40
	v_ldexp_f32 v40, v46, v50
	v_mul_f32_e32 v46, 0x3fb8aa3b, v12
	v_fma_f32 v50, v12, s12, -v46
	v_rndne_f32_e32 v58, v46
	v_fmac_f32_e32 v50, 0x32a5705f, v12
	v_sub_f32_e32 v46, v46, v58
	v_add_f32_e32 v46, v46, v50
	v_exp_f32_e32 v46, v46
	v_cvt_i32_f32_e32 v50, v58
	v_cndmask_b32_e64 v37, v28, v37, s[10:11]
	v_cmp_ngt_f32_e64 s[10:11], s14, v45
	v_cndmask_b32_e64 v40, 0, v40, s[10:11]
	v_cmp_nlt_f32_e64 s[10:11], s15, v45
	v_ldexp_f32 v45, v46, v50
	v_mul_f32_e32 v46, 0x3fb8aa3b, v13
	v_fma_f32 v50, v13, s12, -v46
	v_rndne_f32_e32 v58, v46
	v_fmac_f32_e32 v50, 0x32a5705f, v13
	v_sub_f32_e32 v46, v46, v58
	v_cndmask_b32_e64 v40, v28, v40, s[10:11]
	v_cmp_ngt_f32_e64 s[10:11], s14, v12
	v_add_f32_e32 v46, v46, v50
	v_cndmask_b32_e64 v45, 0, v45, s[10:11]
	v_exp_f32_e32 v46, v46
	v_cvt_i32_f32_e32 v50, v58
	v_cmp_nlt_f32_e64 s[10:11], s15, v12
	v_cndmask_b32_e64 v12, v28, v45, s[10:11]
	v_cndmask_b32_e32 v48, 0, v34, vcc
	v_cndmask_b32_e32 v65, 0, v37, vcc
	;; [unrolled: 1-line block ×3, first 2 shown]
	v_cvt_f16_f32_e32 v11, v49
	v_cvt_f16_f32_e32 v34, v48
	;; [unrolled: 1-line block ×4, first 2 shown]
	v_ldexp_f32 v45, v46, v50
	v_cmp_ngt_f32_e32 vcc, s14, v13
	v_cndmask_b32_e32 v45, 0, v45, vcc
	v_cmp_nlt_f32_e32 vcc, s15, v13
	v_cndmask_b32_e32 v13, v28, v45, vcc
	v_add_u32_e32 v45, 0x4400, v26
	v_cmp_gt_u32_e64 s[6:7], s23, v10
	v_add_u32_e32 v46, v45, v23
	v_pack_b32_f16 v12, v37, v12
	v_pack_b32_f16 v11, v11, v34
	s_barrier
	v_cndmask_b32_e64 v47, 0, v31, s[6:7]
	v_cndmask_b32_e64 v64, 0, v36, s[6:7]
	;; [unrolled: 1-line block ×4, first 2 shown]
	ds_write_b64 v46, v[11:12]
	v_lshl_add_u32 v46, v1, 1, v25
	v_cvt_f16_f32_e32 v31, v47
	v_cvt_f16_f32_e32 v36, v64
	;; [unrolled: 1-line block ×4, first 2 shown]
	v_mul_lo_u32 v62, s8, v46
	s_mul_hi_i32 s7, s19, s8
	s_mul_i32 s6, s19, s8
	v_lshl_add_u32 v12, v10, 3, v45
	v_pack_b32_f16 v11, v40, v13
	v_pack_b32_f16 v10, v31, v36
	v_ashrrev_i32_e32 v63, 31, v62
	s_lshl_b64 s[6:7], s[6:7], 2
	ds_write_b64 v12, v[10:11]
	s_add_u32 s6, s16, s6
	v_lshlrev_b64 v[12:13], 2, v[62:63]
	s_addc_u32 s7, s17, s7
	v_mov_b32_e32 v1, s7
	v_add_co_u32_e32 v10, vcc, s6, v12
	v_lshlrev_b32_e32 v31, 2, v24
	v_addc_co_u32_e32 v1, vcc, v1, v13, vcc
	v_add_co_u32_e32 v10, vcc, v10, v31
	v_addc_co_u32_e32 v1, vcc, 0, v1, vcc
	v_mov_b32_e32 v34, 0
	v_mov_b32_e32 v36, s13
	v_cmp_gt_i32_e32 vcc, s23, v46
	v_mov_b32_e32 v37, 0
	buffer_store_dword v34, off, s[0:3], 0
	buffer_store_dword v34, off, s[0:3], 0 offset:4
	buffer_store_dword v34, off, s[0:3], 0 offset:8
	;; [unrolled: 1-line block ×3, first 2 shown]
	v_cndmask_b32_e32 v11, v36, v1, vcc
	v_cndmask_b32_e32 v10, v37, v10, vcc
	flat_load_dwordx4 v[58:61], v[10:11]
	v_lshl_add_u32 v1, s8, 4, v62
	v_sub_f32_e32 v25, v2, v6
	v_ashrrev_i32_e32 v2, 31, v1
	v_lshlrev_b64 v[10:11], 2, v[1:2]
	v_mov_b32_e32 v1, s7
	v_add_co_u32_e32 v2, vcc, s6, v10
	v_lshl_or_b32 v45, v46, 8, v31
	v_addc_co_u32_e32 v1, vcc, v1, v11, vcc
	v_add_u32_e32 v40, 16, v46
	v_mul_f32_e32 v24, 0x3fb8aa3b, v25
	s_mov_b32 s6, 0x10001
	s_or_b32 s7, s19, 32
	s_mul_hi_i32 s11, s7, s8
	s_mul_i32 s10, s7, s8
	s_lshl_b64 s[10:11], s[10:11], 2
	s_add_u32 s7, s16, s10
	s_addc_u32 s8, s17, s11
	v_mov_b32_e32 v102, s8
	s_sub_i32 s10, s23, 32
	s_waitcnt vmcnt(0) lgkmcnt(0)
	ds_write_b128 v45, v[58:61]
	v_add_co_u32_e32 v58, vcc, v2, v31
	v_addc_co_u32_e32 v1, vcc, 0, v1, vcc
	v_cmp_gt_i32_e32 vcc, s23, v40
	buffer_store_dword v34, off, s[0:3], 0
	buffer_store_dword v34, off, s[0:3], 0 offset:4
	buffer_store_dword v34, off, s[0:3], 0 offset:8
	;; [unrolled: 1-line block ×3, first 2 shown]
	v_cndmask_b32_e32 v2, v36, v1, vcc
	v_cndmask_b32_e32 v1, v37, v58, vcc
	flat_load_dwordx4 v[58:61], v[1:2]
	v_fma_f32 v1, v25, s12, -v24
	v_rndne_f32_e32 v2, v24
	v_fmac_f32_e32 v1, 0x32a5705f, v25
	v_sub_f32_e32 v24, v24, v2
	v_add_f32_e32 v1, v24, v1
	v_exp_f32_e32 v1, v1
	v_cvt_i32_f32_e32 v2, v2
	v_cmp_ngt_f32_e32 vcc, s14, v25
	v_add_f32_e32 v24, v49, v47
	v_ldexp_f32 v1, v1, v2
	v_cndmask_b32_e32 v1, 0, v1, vcc
	v_cmp_nlt_f32_e32 vcc, s15, v25
	v_sub_f32_e32 v2, v3, v7
	v_cndmask_b32_e32 v1, v28, v1, vcc
	v_mul_f32_e32 v3, 0x3fb8aa3b, v2
	v_fmac_f32_e32 v24, v42, v1
	v_fma_f32 v25, v2, s12, -v3
	v_rndne_f32_e32 v42, v3
	v_fmac_f32_e32 v25, 0x32a5705f, v2
	v_sub_f32_e32 v3, v3, v42
	v_add_f32_e32 v3, v3, v25
	v_cvt_f16_f32_e32 v1, v1
	v_exp_f32_e32 v3, v3
	v_cvt_i32_f32_e32 v42, v42
	v_cmp_ngt_f32_e32 vcc, s14, v2
	v_mul_u32_u24_e32 v68, 0x10001, v1
	v_add_f32_e32 v25, v48, v64
	v_ldexp_f32 v1, v3, v42
	v_sub_f32_e32 v3, v4, v8
	v_mul_f32_e32 v4, 0x3fb8aa3b, v3
	v_fma_f32 v42, v3, s12, -v4
	v_rndne_f32_e32 v47, v4
	v_fmac_f32_e32 v42, 0x32a5705f, v3
	v_sub_f32_e32 v4, v4, v47
	v_add_f32_e32 v4, v4, v42
	v_exp_f32_e32 v4, v4
	v_cvt_i32_f32_e32 v42, v47
	v_cndmask_b32_e32 v1, 0, v1, vcc
	v_cmp_nlt_f32_e32 vcc, s15, v2
	v_cndmask_b32_e32 v1, v28, v1, vcc
	v_cvt_f16_f32_e32 v2, v1
	v_fmac_f32_e32 v25, v41, v1
	v_ldexp_f32 v1, v4, v42
	v_cmp_ngt_f32_e32 vcc, s14, v3
	v_cndmask_b32_e32 v1, 0, v1, vcc
	v_cmp_nlt_f32_e32 vcc, s15, v3
	v_sub_f32_e32 v3, v5, v9
	v_mul_f32_e32 v4, 0x3fb8aa3b, v3
	v_fma_f32 v5, v3, s12, -v4
	v_rndne_f32_e32 v41, v4
	v_fmac_f32_e32 v5, 0x32a5705f, v3
	v_sub_f32_e32 v4, v4, v41
	v_add_f32_e32 v4, v4, v5
	v_exp_f32_e32 v4, v4
	v_cvt_i32_f32_e32 v41, v41
	v_cndmask_b32_e32 v1, v28, v1, vcc
	v_mul_u32_u24_e32 v69, 0x10001, v2
	v_cvt_f16_f32_e32 v2, v1
	v_add_f32_e32 v5, v65, v66
	v_fmac_f32_e32 v5, v44, v1
	v_ldexp_f32 v1, v4, v41
	v_cmp_ngt_f32_e32 vcc, s14, v3
	v_cndmask_b32_e32 v1, 0, v1, vcc
	v_cmp_nlt_f32_e32 vcc, s15, v3
	v_cndmask_b32_e32 v1, v28, v1, vcc
	v_mul_u32_u24_e32 v66, 0x10001, v2
	v_cvt_f16_f32_e32 v2, v1
	v_add_f32_e32 v28, v67, v50
	v_pk_mul_f16 v70, v33, v66
	v_fmac_f32_e32 v28, v43, v1
	v_mul_u32_u24_e32 v1, 0x10001, v2
	v_lshl_or_b32 v33, v40, 8, v31
	v_pk_mul_f16 v29, v29, v1
	v_pk_mul_f16 v27, v27, v1
	v_pk_mul_f16 v39, v39, v68
	v_pk_mul_f16 v38, v38, v69
	v_add_co_u32_e32 v12, vcc, s7, v12
	s_waitcnt vmcnt(0) lgkmcnt(0)
	ds_write_b128 v33, v[58:61]
	s_waitcnt lgkmcnt(0)
	s_barrier
	ds_read_b128 v[1:4], v26 offset:17408
	ds_read2_b64 v[41:44], v23 offset1:32
	ds_read_b128 v[47:50], v26 offset:17424
	ds_read_b128 v[58:61], v26 offset:17440
	;; [unrolled: 1-line block ×3, first 2 shown]
	s_waitcnt lgkmcnt(4)
	v_mul_u32_u24_sdwa v67, v1, s6 dst_sel:DWORD dst_unused:UNUSED_PAD src0_sel:WORD_0 src1_sel:DWORD
	v_mul_u32_u24_sdwa v1, v1, s6 dst_sel:DWORD dst_unused:UNUSED_PAD src0_sel:WORD_1 src1_sel:DWORD
	s_waitcnt lgkmcnt(3)
	v_pk_mul_f16 v72, v41, v67
	v_mul_u32_u24_sdwa v71, v2, s6 dst_sel:DWORD dst_unused:UNUSED_PAD src0_sel:WORD_0 src1_sel:DWORD
	v_pk_fma_f16 v35, v35, v68, v72
	v_pk_mul_f16 v68, v41, v1
	v_mul_u32_u24_sdwa v2, v2, s6 dst_sel:DWORD dst_unused:UNUSED_PAD src0_sel:WORD_1 src1_sel:DWORD
	v_pk_fma_f16 v32, v32, v69, v68
	v_pk_mul_f16 v68, v41, v71
	v_pk_fma_f16 v30, v30, v66, v68
	v_pk_fma_f16 v29, v41, v2, v29
	;; [unrolled: 1-line block ×6, first 2 shown]
	v_mul_u32_u24_sdwa v27, v3, s6 dst_sel:DWORD dst_unused:UNUSED_PAD src0_sel:WORD_0 src1_sel:DWORD
	v_mul_u32_u24_sdwa v3, v3, s6 dst_sel:DWORD dst_unused:UNUSED_PAD src0_sel:WORD_1 src1_sel:DWORD
	v_mul_u32_u24_sdwa v41, v4, s6 dst_sel:DWORD dst_unused:UNUSED_PAD src0_sel:WORD_0 src1_sel:DWORD
	v_mul_u32_u24_sdwa v4, v4, s6 dst_sel:DWORD dst_unused:UNUSED_PAD src0_sel:WORD_1 src1_sel:DWORD
	v_pk_fma_f16 v35, v43, v27, v35
	v_pk_fma_f16 v32, v43, v3, v32
	;; [unrolled: 1-line block ×8, first 2 shown]
	ds_read2_b64 v[1:4], v23 offset0:64 offset1:96
	s_waitcnt lgkmcnt(3)
	v_mul_u32_u24_sdwa v42, v47, s6 dst_sel:DWORD dst_unused:UNUSED_PAD src0_sel:WORD_0 src1_sel:DWORD
	v_mul_u32_u24_sdwa v43, v47, s6 dst_sel:DWORD dst_unused:UNUSED_PAD src0_sel:WORD_1 src1_sel:DWORD
	v_mul_u32_u24_sdwa v44, v48, s6 dst_sel:DWORD dst_unused:UNUSED_PAD src0_sel:WORD_0 src1_sel:DWORD
	v_mul_u32_u24_sdwa v47, v48, s6 dst_sel:DWORD dst_unused:UNUSED_PAD src0_sel:WORD_1 src1_sel:DWORD
	s_waitcnt lgkmcnt(0)
	v_pk_fma_f16 v35, v1, v42, v35
	v_pk_fma_f16 v32, v1, v43, v32
	;; [unrolled: 1-line block ×8, first 2 shown]
	v_mul_u32_u24_sdwa v39, v49, s6 dst_sel:DWORD dst_unused:UNUSED_PAD src0_sel:WORD_0 src1_sel:DWORD
	v_mul_u32_u24_sdwa v41, v49, s6 dst_sel:DWORD dst_unused:UNUSED_PAD src0_sel:WORD_1 src1_sel:DWORD
	v_mul_u32_u24_sdwa v42, v50, s6 dst_sel:DWORD dst_unused:UNUSED_PAD src0_sel:WORD_0 src1_sel:DWORD
	v_mul_u32_u24_sdwa v43, v50, s6 dst_sel:DWORD dst_unused:UNUSED_PAD src0_sel:WORD_1 src1_sel:DWORD
	v_pk_fma_f16 v35, v3, v39, v35
	v_pk_fma_f16 v32, v3, v41, v32
	;; [unrolled: 1-line block ×8, first 2 shown]
	ds_read2_b64 v[1:4], v23 offset0:128 offset1:160
	v_mul_u32_u24_sdwa v41, v58, s6 dst_sel:DWORD dst_unused:UNUSED_PAD src0_sel:WORD_0 src1_sel:DWORD
	v_mul_u32_u24_sdwa v42, v58, s6 dst_sel:DWORD dst_unused:UNUSED_PAD src0_sel:WORD_1 src1_sel:DWORD
	v_mul_u32_u24_sdwa v43, v59, s6 dst_sel:DWORD dst_unused:UNUSED_PAD src0_sel:WORD_0 src1_sel:DWORD
	v_mul_u32_u24_sdwa v47, v59, s6 dst_sel:DWORD dst_unused:UNUSED_PAD src0_sel:WORD_1 src1_sel:DWORD
	s_waitcnt lgkmcnt(0)
	v_pk_fma_f16 v35, v1, v41, v35
	v_pk_fma_f16 v32, v1, v42, v32
	;; [unrolled: 1-line block ×8, first 2 shown]
	v_mul_u32_u24_sdwa v39, v60, s6 dst_sel:DWORD dst_unused:UNUSED_PAD src0_sel:WORD_0 src1_sel:DWORD
	v_mul_u32_u24_sdwa v41, v60, s6 dst_sel:DWORD dst_unused:UNUSED_PAD src0_sel:WORD_1 src1_sel:DWORD
	v_mul_u32_u24_sdwa v42, v61, s6 dst_sel:DWORD dst_unused:UNUSED_PAD src0_sel:WORD_0 src1_sel:DWORD
	v_mul_u32_u24_sdwa v43, v61, s6 dst_sel:DWORD dst_unused:UNUSED_PAD src0_sel:WORD_1 src1_sel:DWORD
	v_pk_fma_f16 v35, v3, v39, v35
	v_pk_fma_f16 v32, v3, v41, v32
	;; [unrolled: 1-line block ×8, first 2 shown]
	ds_read2_b64 v[1:4], v23 offset0:192 offset1:224
	v_mul_u32_u24_sdwa v41, v62, s6 dst_sel:DWORD dst_unused:UNUSED_PAD src0_sel:WORD_0 src1_sel:DWORD
	v_mul_u32_u24_sdwa v42, v62, s6 dst_sel:DWORD dst_unused:UNUSED_PAD src0_sel:WORD_1 src1_sel:DWORD
	v_mul_u32_u24_sdwa v43, v63, s6 dst_sel:DWORD dst_unused:UNUSED_PAD src0_sel:WORD_0 src1_sel:DWORD
	v_mul_u32_u24_sdwa v47, v63, s6 dst_sel:DWORD dst_unused:UNUSED_PAD src0_sel:WORD_1 src1_sel:DWORD
	s_waitcnt lgkmcnt(0)
	v_pk_fma_f16 v35, v1, v41, v35
	v_pk_fma_f16 v32, v1, v42, v32
	;; [unrolled: 1-line block ×6, first 2 shown]
	v_mul_u32_u24_sdwa v41, v64, s6 dst_sel:DWORD dst_unused:UNUSED_PAD src0_sel:WORD_1 src1_sel:DWORD
	v_mul_u32_u24_sdwa v42, v65, s6 dst_sel:DWORD dst_unused:UNUSED_PAD src0_sel:WORD_0 src1_sel:DWORD
	v_pk_fma_f16 v1, v1, v47, v44
	v_pk_fma_f16 v2, v2, v47, v39
	v_mul_u32_u24_sdwa v39, v64, s6 dst_sel:DWORD dst_unused:UNUSED_PAD src0_sel:WORD_0 src1_sel:DWORD
	v_pk_fma_f16 v32, v3, v41, v32
	v_pk_fma_f16 v30, v3, v42, v30
	;; [unrolled: 1-line block ×4, first 2 shown]
	ds_read_b128 v[41:44], v26 offset:17472
	v_mul_u32_u24_sdwa v47, v65, s6 dst_sel:DWORD dst_unused:UNUSED_PAD src0_sel:WORD_1 src1_sel:DWORD
	v_pk_fma_f16 v35, v3, v39, v35
	v_pk_fma_f16 v39, v4, v39, v27
	v_add_u32_e32 v27, 0x800, v23
	v_pk_fma_f16 v58, v3, v47, v1
	v_pk_fma_f16 v59, v4, v47, v2
	ds_read2_b64 v[1:4], v27 offset1:32
	ds_read_b128 v[47:50], v26 offset:17488
	s_waitcnt lgkmcnt(2)
	v_mul_u32_u24_sdwa v60, v41, s6 dst_sel:DWORD dst_unused:UNUSED_PAD src0_sel:WORD_0 src1_sel:DWORD
	v_mul_u32_u24_sdwa v41, v41, s6 dst_sel:DWORD dst_unused:UNUSED_PAD src0_sel:WORD_1 src1_sel:DWORD
	v_mul_u32_u24_sdwa v61, v42, s6 dst_sel:DWORD dst_unused:UNUSED_PAD src0_sel:WORD_0 src1_sel:DWORD
	v_mul_u32_u24_sdwa v42, v42, s6 dst_sel:DWORD dst_unused:UNUSED_PAD src0_sel:WORD_1 src1_sel:DWORD
	s_waitcnt lgkmcnt(1)
	v_pk_fma_f16 v35, v1, v60, v35
	v_pk_fma_f16 v32, v1, v41, v32
	;; [unrolled: 1-line block ×8, first 2 shown]
	v_mul_u32_u24_sdwa v41, v43, s6 dst_sel:DWORD dst_unused:UNUSED_PAD src0_sel:WORD_0 src1_sel:DWORD
	v_mul_u32_u24_sdwa v42, v43, s6 dst_sel:DWORD dst_unused:UNUSED_PAD src0_sel:WORD_1 src1_sel:DWORD
	v_mul_u32_u24_sdwa v43, v44, s6 dst_sel:DWORD dst_unused:UNUSED_PAD src0_sel:WORD_0 src1_sel:DWORD
	v_mul_u32_u24_sdwa v44, v44, s6 dst_sel:DWORD dst_unused:UNUSED_PAD src0_sel:WORD_1 src1_sel:DWORD
	v_pk_fma_f16 v35, v3, v41, v35
	v_pk_fma_f16 v32, v3, v42, v32
	;; [unrolled: 1-line block ×8, first 2 shown]
	ds_read2_b64 v[1:4], v27 offset0:64 offset1:96
	s_waitcnt lgkmcnt(1)
	v_mul_u32_u24_sdwa v42, v47, s6 dst_sel:DWORD dst_unused:UNUSED_PAD src0_sel:WORD_0 src1_sel:DWORD
	v_mul_u32_u24_sdwa v43, v47, s6 dst_sel:DWORD dst_unused:UNUSED_PAD src0_sel:WORD_1 src1_sel:DWORD
	v_mul_u32_u24_sdwa v44, v48, s6 dst_sel:DWORD dst_unused:UNUSED_PAD src0_sel:WORD_0 src1_sel:DWORD
	v_mul_u32_u24_sdwa v47, v48, s6 dst_sel:DWORD dst_unused:UNUSED_PAD src0_sel:WORD_1 src1_sel:DWORD
	s_waitcnt lgkmcnt(0)
	v_pk_fma_f16 v35, v1, v42, v35
	v_pk_fma_f16 v32, v1, v43, v32
	;; [unrolled: 1-line block ×6, first 2 shown]
	v_mul_u32_u24_sdwa v41, v49, s6 dst_sel:DWORD dst_unused:UNUSED_PAD src0_sel:WORD_0 src1_sel:DWORD
	v_mul_u32_u24_sdwa v42, v49, s6 dst_sel:DWORD dst_unused:UNUSED_PAD src0_sel:WORD_1 src1_sel:DWORD
	v_pk_fma_f16 v30, v1, v44, v30
	v_pk_fma_f16 v35, v3, v41, v35
	v_pk_fma_f16 v32, v3, v42, v32
	v_pk_fma_f16 v39, v4, v41, v39
	v_pk_fma_f16 v29, v4, v42, v29
	ds_read_b128 v[41:44], v26 offset:17504
	v_pk_fma_f16 v1, v1, v47, v58
	v_mul_u32_u24_sdwa v47, v50, s6 dst_sel:DWORD dst_unused:UNUSED_PAD src0_sel:WORD_0 src1_sel:DWORD
	v_mul_u32_u24_sdwa v48, v50, s6 dst_sel:DWORD dst_unused:UNUSED_PAD src0_sel:WORD_1 src1_sel:DWORD
	v_pk_fma_f16 v30, v3, v47, v30
	v_pk_fma_f16 v58, v3, v48, v1
	;; [unrolled: 1-line block ×4, first 2 shown]
	ds_read2_b64 v[1:4], v27 offset0:128 offset1:160
	ds_read_b128 v[47:50], v26 offset:17520
	s_waitcnt lgkmcnt(2)
	v_mul_u32_u24_sdwa v60, v41, s6 dst_sel:DWORD dst_unused:UNUSED_PAD src0_sel:WORD_0 src1_sel:DWORD
	v_mul_u32_u24_sdwa v41, v41, s6 dst_sel:DWORD dst_unused:UNUSED_PAD src0_sel:WORD_1 src1_sel:DWORD
	v_mul_u32_u24_sdwa v61, v42, s6 dst_sel:DWORD dst_unused:UNUSED_PAD src0_sel:WORD_0 src1_sel:DWORD
	v_mul_u32_u24_sdwa v42, v42, s6 dst_sel:DWORD dst_unused:UNUSED_PAD src0_sel:WORD_1 src1_sel:DWORD
	s_waitcnt lgkmcnt(1)
	v_pk_fma_f16 v35, v1, v60, v35
	v_pk_fma_f16 v32, v1, v41, v32
	;; [unrolled: 1-line block ×8, first 2 shown]
	v_mul_u32_u24_sdwa v41, v43, s6 dst_sel:DWORD dst_unused:UNUSED_PAD src0_sel:WORD_0 src1_sel:DWORD
	v_mul_u32_u24_sdwa v42, v43, s6 dst_sel:DWORD dst_unused:UNUSED_PAD src0_sel:WORD_1 src1_sel:DWORD
	v_mul_u32_u24_sdwa v43, v44, s6 dst_sel:DWORD dst_unused:UNUSED_PAD src0_sel:WORD_0 src1_sel:DWORD
	v_mul_u32_u24_sdwa v44, v44, s6 dst_sel:DWORD dst_unused:UNUSED_PAD src0_sel:WORD_1 src1_sel:DWORD
	v_pk_fma_f16 v35, v3, v41, v35
	v_pk_fma_f16 v32, v3, v42, v32
	;; [unrolled: 1-line block ×8, first 2 shown]
	ds_read2_b64 v[1:4], v27 offset0:192 offset1:224
	s_waitcnt lgkmcnt(1)
	v_mul_u32_u24_sdwa v42, v47, s6 dst_sel:DWORD dst_unused:UNUSED_PAD src0_sel:WORD_0 src1_sel:DWORD
	v_mul_u32_u24_sdwa v43, v47, s6 dst_sel:DWORD dst_unused:UNUSED_PAD src0_sel:WORD_1 src1_sel:DWORD
	v_mul_u32_u24_sdwa v44, v48, s6 dst_sel:DWORD dst_unused:UNUSED_PAD src0_sel:WORD_0 src1_sel:DWORD
	v_mul_u32_u24_sdwa v47, v48, s6 dst_sel:DWORD dst_unused:UNUSED_PAD src0_sel:WORD_1 src1_sel:DWORD
	s_waitcnt lgkmcnt(0)
	v_pk_fma_f16 v35, v1, v42, v35
	v_pk_fma_f16 v32, v1, v43, v32
	;; [unrolled: 1-line block ×7, first 2 shown]
	v_mul_u32_u24_sdwa v41, v49, s6 dst_sel:DWORD dst_unused:UNUSED_PAD src0_sel:WORD_0 src1_sel:DWORD
	v_mul_u32_u24_sdwa v42, v49, s6 dst_sel:DWORD dst_unused:UNUSED_PAD src0_sel:WORD_1 src1_sel:DWORD
	v_mul_u32_u24_sdwa v43, v50, s6 dst_sel:DWORD dst_unused:UNUSED_PAD src0_sel:WORD_0 src1_sel:DWORD
	v_pk_fma_f16 v35, v3, v41, v35
	v_pk_fma_f16 v32, v3, v42, v32
	;; [unrolled: 1-line block ×6, first 2 shown]
	ds_read_b128 v[41:44], v26 offset:17536
	v_pk_fma_f16 v1, v1, v47, v58
	v_mul_u32_u24_sdwa v47, v50, s6 dst_sel:DWORD dst_unused:UNUSED_PAD src0_sel:WORD_1 src1_sel:DWORD
	v_add_u32_e32 v29, 0x1000, v23
	v_pk_fma_f16 v58, v3, v47, v1
	v_pk_fma_f16 v60, v4, v47, v2
	ds_read2_b64 v[47:50], v29 offset1:32
	ds_read_b128 v[1:4], v26 offset:17552
	s_waitcnt lgkmcnt(2)
	v_mul_u32_u24_sdwa v61, v41, s6 dst_sel:DWORD dst_unused:UNUSED_PAD src0_sel:WORD_0 src1_sel:DWORD
	v_mul_u32_u24_sdwa v41, v41, s6 dst_sel:DWORD dst_unused:UNUSED_PAD src0_sel:WORD_1 src1_sel:DWORD
	v_mul_u32_u24_sdwa v62, v42, s6 dst_sel:DWORD dst_unused:UNUSED_PAD src0_sel:WORD_0 src1_sel:DWORD
	v_mul_u32_u24_sdwa v42, v42, s6 dst_sel:DWORD dst_unused:UNUSED_PAD src0_sel:WORD_1 src1_sel:DWORD
	s_waitcnt lgkmcnt(1)
	v_pk_fma_f16 v35, v47, v61, v35
	v_pk_fma_f16 v32, v47, v41, v32
	;; [unrolled: 1-line block ×8, first 2 shown]
	v_mul_u32_u24_sdwa v48, v43, s6 dst_sel:DWORD dst_unused:UNUSED_PAD src0_sel:WORD_0 src1_sel:DWORD
	v_mul_u32_u24_sdwa v43, v43, s6 dst_sel:DWORD dst_unused:UNUSED_PAD src0_sel:WORD_1 src1_sel:DWORD
	v_mul_u32_u24_sdwa v58, v44, s6 dst_sel:DWORD dst_unused:UNUSED_PAD src0_sel:WORD_0 src1_sel:DWORD
	v_mul_u32_u24_sdwa v44, v44, s6 dst_sel:DWORD dst_unused:UNUSED_PAD src0_sel:WORD_1 src1_sel:DWORD
	v_pk_fma_f16 v35, v49, v48, v35
	v_pk_fma_f16 v32, v49, v43, v32
	;; [unrolled: 1-line block ×6, first 2 shown]
	ds_read2_b64 v[41:44], v29 offset0:64 offset1:96
	v_addc_co_u32_e32 v13, vcc, v102, v13, vcc
	v_add_co_u32_e32 v12, vcc, v12, v31
	v_pk_fma_f16 v30, v49, v58, v30
	s_waitcnt lgkmcnt(1)
	v_mul_u32_u24_sdwa v49, v1, s6 dst_sel:DWORD dst_unused:UNUSED_PAD src0_sel:WORD_0 src1_sel:DWORD
	v_mul_u32_u24_sdwa v1, v1, s6 dst_sel:DWORD dst_unused:UNUSED_PAD src0_sel:WORD_1 src1_sel:DWORD
	v_addc_co_u32_e32 v13, vcc, 0, v13, vcc
	v_mul_u32_u24_sdwa v107, v2, s6 dst_sel:DWORD dst_unused:UNUSED_PAD src0_sel:WORD_0 src1_sel:DWORD
	v_mul_u32_u24_sdwa v2, v2, s6 dst_sel:DWORD dst_unused:UNUSED_PAD src0_sel:WORD_1 src1_sel:DWORD
	s_waitcnt lgkmcnt(0)
	v_pk_fma_f16 v32, v41, v1, v32
	v_pk_fma_f16 v108, v42, v1, v48
	v_add_u32_e32 v1, 0x1800, v23
	v_cmp_gt_i32_e32 vcc, s10, v46
	v_pk_fma_f16 v38, v50, v58, v38
	v_pk_fma_f16 v35, v41, v49, v35
	;; [unrolled: 1-line block ×5, first 2 shown]
	ds_read2_b64 v[47:50], v29 offset0:128 offset1:160
	ds_read2_b64 v[58:61], v29 offset0:192 offset1:224
	ds_read_b128 v[62:65], v26 offset:17568
	ds_read_b128 v[66:69], v26 offset:17584
	ds_read2_b64 v[70:73], v1 offset1:32
	ds_read2_b64 v[74:77], v1 offset0:64 offset1:96
	ds_read_b128 v[78:81], v26 offset:17600
	ds_read_b128 v[82:85], v26 offset:17616
	ds_read2_b64 v[86:89], v1 offset0:128 offset1:160
	ds_read2_b64 v[90:93], v1 offset0:192 offset1:224
	ds_read_b128 v[94:97], v26 offset:17632
	ds_read_b128 v[98:101], v26 offset:17648
	s_waitcnt lgkmcnt(0)
	s_barrier
	buffer_store_dword v34, off, s[0:3], 0
	buffer_store_dword v34, off, s[0:3], 0 offset:4
	buffer_store_dword v34, off, s[0:3], 0 offset:8
	;; [unrolled: 1-line block ×3, first 2 shown]
	v_cndmask_b32_e32 v13, v36, v13, vcc
	v_cndmask_b32_e32 v12, v37, v12, vcc
	flat_load_dwordx4 v[102:105], v[12:13]
	v_pk_fma_f16 v12, v42, v107, v38
	v_pk_fma_f16 v2, v42, v2, v106
	v_mul_u32_u24_sdwa v13, v3, s6 dst_sel:DWORD dst_unused:UNUSED_PAD src0_sel:WORD_0 src1_sel:DWORD
	v_mul_u32_u24_sdwa v3, v3, s6 dst_sel:DWORD dst_unused:UNUSED_PAD src0_sel:WORD_1 src1_sel:DWORD
	v_mul_u32_u24_sdwa v38, v4, s6 dst_sel:DWORD dst_unused:UNUSED_PAD src0_sel:WORD_0 src1_sel:DWORD
	v_mul_u32_u24_sdwa v4, v4, s6 dst_sel:DWORD dst_unused:UNUSED_PAD src0_sel:WORD_1 src1_sel:DWORD
	v_pk_fma_f16 v32, v43, v3, v32
	v_pk_fma_f16 v30, v43, v38, v30
	;; [unrolled: 1-line block ×6, first 2 shown]
	v_mul_u32_u24_sdwa v38, v62, s6 dst_sel:DWORD dst_unused:UNUSED_PAD src0_sel:WORD_1 src1_sel:DWORD
	v_mul_u32_u24_sdwa v42, v63, s6 dst_sel:DWORD dst_unused:UNUSED_PAD src0_sel:WORD_1 src1_sel:DWORD
	v_pk_fma_f16 v32, v47, v38, v32
	v_pk_fma_f16 v41, v47, v42, v41
	v_pk_fma_f16 v3, v48, v38, v3
	v_pk_fma_f16 v2, v48, v42, v2
	v_mul_u32_u24_sdwa v38, v64, s6 dst_sel:DWORD dst_unused:UNUSED_PAD src0_sel:WORD_1 src1_sel:DWORD
	v_mul_u32_u24_sdwa v42, v65, s6 dst_sel:DWORD dst_unused:UNUSED_PAD src0_sel:WORD_1 src1_sel:DWORD
	v_pk_fma_f16 v32, v49, v38, v32
	v_pk_fma_f16 v41, v49, v42, v41
	v_pk_fma_f16 v3, v50, v38, v3
	v_pk_fma_f16 v2, v50, v42, v2
	;; [unrolled: 6-line block ×5, first 2 shown]
	v_mov_b32_e32 v2, s8
	v_add_co_u32_e32 v3, vcc, s7, v10
	v_pk_fma_f16 v35, v43, v13, v35
	v_pk_fma_f16 v13, v44, v13, v39
	v_mul_u32_u24_sdwa v4, v62, s6 dst_sel:DWORD dst_unused:UNUSED_PAD src0_sel:WORD_0 src1_sel:DWORD
	v_mul_u32_u24_sdwa v39, v63, s6 dst_sel:DWORD dst_unused:UNUSED_PAD src0_sel:WORD_0 src1_sel:DWORD
	v_addc_co_u32_e32 v2, vcc, v2, v11, vcc
	v_pk_fma_f16 v35, v47, v4, v35
	v_pk_fma_f16 v30, v47, v39, v30
	;; [unrolled: 1-line block ×4, first 2 shown]
	v_mul_u32_u24_sdwa v13, v64, s6 dst_sel:DWORD dst_unused:UNUSED_PAD src0_sel:WORD_0 src1_sel:DWORD
	v_mul_u32_u24_sdwa v39, v65, s6 dst_sel:DWORD dst_unused:UNUSED_PAD src0_sel:WORD_0 src1_sel:DWORD
	v_add_co_u32_e32 v10, vcc, v3, v31
	v_pk_fma_f16 v35, v49, v13, v35
	v_pk_fma_f16 v30, v49, v39, v30
	;; [unrolled: 1-line block ×4, first 2 shown]
	v_mul_u32_u24_sdwa v13, v66, s6 dst_sel:DWORD dst_unused:UNUSED_PAD src0_sel:WORD_0 src1_sel:DWORD
	v_mul_u32_u24_sdwa v39, v67, s6 dst_sel:DWORD dst_unused:UNUSED_PAD src0_sel:WORD_0 src1_sel:DWORD
	v_addc_co_u32_e32 v2, vcc, 0, v2, vcc
	v_pk_fma_f16 v35, v58, v13, v35
	v_pk_fma_f16 v30, v58, v39, v30
	;; [unrolled: 1-line block ×4, first 2 shown]
	v_mul_u32_u24_sdwa v13, v68, s6 dst_sel:DWORD dst_unused:UNUSED_PAD src0_sel:WORD_0 src1_sel:DWORD
	v_mul_u32_u24_sdwa v39, v69, s6 dst_sel:DWORD dst_unused:UNUSED_PAD src0_sel:WORD_0 src1_sel:DWORD
	v_cmp_gt_i32_e32 vcc, s10, v40
	v_pk_fma_f16 v35, v60, v13, v35
	v_pk_fma_f16 v30, v60, v39, v30
	;; [unrolled: 1-line block ×4, first 2 shown]
	v_mul_u32_u24_sdwa v13, v78, s6 dst_sel:DWORD dst_unused:UNUSED_PAD src0_sel:WORD_0 src1_sel:DWORD
	v_mul_u32_u24_sdwa v39, v79, s6 dst_sel:DWORD dst_unused:UNUSED_PAD src0_sel:WORD_0 src1_sel:DWORD
	s_waitcnt vmcnt(0) lgkmcnt(0)
	ds_write_b128 v45, v[102:105]
	buffer_store_dword v34, off, s[0:3], 0
	buffer_store_dword v34, off, s[0:3], 0 offset:4
	buffer_store_dword v34, off, s[0:3], 0 offset:8
	;; [unrolled: 1-line block ×3, first 2 shown]
	v_cndmask_b32_e32 v3, v36, v2, vcc
	v_cndmask_b32_e32 v2, v37, v10, vcc
	v_pk_fma_f16 v35, v70, v13, v35
	v_pk_fma_f16 v30, v70, v39, v30
	v_pk_fma_f16 v4, v71, v13, v4
	v_pk_fma_f16 v39, v71, v39, v12
	flat_load_dwordx4 v[10:13], v[2:3]
	v_mul_u32_u24_sdwa v43, v80, s6 dst_sel:DWORD dst_unused:UNUSED_PAD src0_sel:WORD_0 src1_sel:DWORD
	v_mul_u32_u24_sdwa v44, v80, s6 dst_sel:DWORD dst_unused:UNUSED_PAD src0_sel:WORD_1 src1_sel:DWORD
	v_mul_u32_u24_sdwa v46, v81, s6 dst_sel:DWORD dst_unused:UNUSED_PAD src0_sel:WORD_0 src1_sel:DWORD
	v_mul_u32_u24_sdwa v47, v81, s6 dst_sel:DWORD dst_unused:UNUSED_PAD src0_sel:WORD_1 src1_sel:DWORD
	v_pk_fma_f16 v35, v72, v43, v35
	v_pk_fma_f16 v2, v72, v44, v32
	v_pk_fma_f16 v3, v72, v46, v30
	v_pk_fma_f16 v30, v72, v47, v41
	v_pk_fma_f16 v4, v73, v43, v4
	v_pk_fma_f16 v31, v73, v44, v38
	v_pk_fma_f16 v32, v73, v46, v39
	v_pk_fma_f16 v34, v73, v47, v42
	v_mul_u32_u24_sdwa v36, v82, s6 dst_sel:DWORD dst_unused:UNUSED_PAD src0_sel:WORD_0 src1_sel:DWORD
	v_mul_u32_u24_sdwa v37, v82, s6 dst_sel:DWORD dst_unused:UNUSED_PAD src0_sel:WORD_1 src1_sel:DWORD
	v_mul_u32_u24_sdwa v38, v83, s6 dst_sel:DWORD dst_unused:UNUSED_PAD src0_sel:WORD_0 src1_sel:DWORD
	v_mul_u32_u24_sdwa v39, v83, s6 dst_sel:DWORD dst_unused:UNUSED_PAD src0_sel:WORD_1 src1_sel:DWORD
	v_pk_fma_f16 v35, v74, v36, v35
	v_pk_fma_f16 v2, v74, v37, v2
	v_pk_fma_f16 v3, v74, v38, v3
	v_pk_fma_f16 v30, v74, v39, v30
	v_pk_fma_f16 v4, v75, v36, v4
	v_pk_fma_f16 v31, v75, v37, v31
	v_pk_fma_f16 v32, v75, v38, v32
	v_pk_fma_f16 v34, v75, v39, v34
	;; [unrolled: 12-line block ×7, first 2 shown]
	s_waitcnt vmcnt(0) lgkmcnt(0)
	ds_write_b128 v33, v[10:13]
	s_waitcnt lgkmcnt(0)
	s_barrier
	ds_read_b128 v[10:13], v26 offset:17664
	ds_read2_b64 v[30:33], v23 offset1:32
	ds_read_b128 v[34:37], v26 offset:17680
	ds_read_b128 v[38:41], v26 offset:17696
	;; [unrolled: 1-line block ×3, first 2 shown]
	s_waitcnt lgkmcnt(4)
	v_mul_u32_u24_sdwa v58, v10, s6 dst_sel:DWORD dst_unused:UNUSED_PAD src0_sel:WORD_0 src1_sel:DWORD
	v_mul_u32_u24_sdwa v10, v10, s6 dst_sel:DWORD dst_unused:UNUSED_PAD src0_sel:WORD_1 src1_sel:DWORD
	v_mul_u32_u24_sdwa v59, v11, s6 dst_sel:DWORD dst_unused:UNUSED_PAD src0_sel:WORD_0 src1_sel:DWORD
	v_mul_u32_u24_sdwa v11, v11, s6 dst_sel:DWORD dst_unused:UNUSED_PAD src0_sel:WORD_1 src1_sel:DWORD
	s_waitcnt lgkmcnt(3)
	v_pk_fma_f16 v46, v30, v58, v46
	v_pk_fma_f16 v2, v30, v10, v2
	v_pk_fma_f16 v3, v30, v59, v3
	v_pk_fma_f16 v30, v30, v11, v47
	v_pk_fma_f16 v4, v31, v58, v4
	v_pk_fma_f16 v10, v31, v10, v48
	v_pk_fma_f16 v47, v31, v59, v49
	v_pk_fma_f16 v11, v31, v11, v50
	v_mul_u32_u24_sdwa v31, v12, s6 dst_sel:DWORD dst_unused:UNUSED_PAD src0_sel:WORD_0 src1_sel:DWORD
	v_mul_u32_u24_sdwa v12, v12, s6 dst_sel:DWORD dst_unused:UNUSED_PAD src0_sel:WORD_1 src1_sel:DWORD
	v_mul_u32_u24_sdwa v48, v13, s6 dst_sel:DWORD dst_unused:UNUSED_PAD src0_sel:WORD_0 src1_sel:DWORD
	v_mul_u32_u24_sdwa v13, v13, s6 dst_sel:DWORD dst_unused:UNUSED_PAD src0_sel:WORD_1 src1_sel:DWORD
	v_pk_fma_f16 v46, v32, v31, v46
	v_pk_fma_f16 v2, v32, v12, v2
	;; [unrolled: 1-line block ×8, first 2 shown]
	ds_read2_b64 v[10:13], v23 offset0:64 offset1:96
	s_waitcnt lgkmcnt(3)
	v_mul_u32_u24_sdwa v47, v34, s6 dst_sel:DWORD dst_unused:UNUSED_PAD src0_sel:WORD_0 src1_sel:DWORD
	v_mul_u32_u24_sdwa v34, v34, s6 dst_sel:DWORD dst_unused:UNUSED_PAD src0_sel:WORD_1 src1_sel:DWORD
	v_mul_u32_u24_sdwa v48, v35, s6 dst_sel:DWORD dst_unused:UNUSED_PAD src0_sel:WORD_0 src1_sel:DWORD
	v_mul_u32_u24_sdwa v35, v35, s6 dst_sel:DWORD dst_unused:UNUSED_PAD src0_sel:WORD_1 src1_sel:DWORD
	s_waitcnt lgkmcnt(0)
	v_pk_fma_f16 v46, v10, v47, v46
	v_pk_fma_f16 v2, v10, v34, v2
	;; [unrolled: 1-line block ×8, first 2 shown]
	v_mul_u32_u24_sdwa v32, v36, s6 dst_sel:DWORD dst_unused:UNUSED_PAD src0_sel:WORD_0 src1_sel:DWORD
	v_mul_u32_u24_sdwa v33, v36, s6 dst_sel:DWORD dst_unused:UNUSED_PAD src0_sel:WORD_1 src1_sel:DWORD
	v_mul_u32_u24_sdwa v34, v37, s6 dst_sel:DWORD dst_unused:UNUSED_PAD src0_sel:WORD_0 src1_sel:DWORD
	v_mul_u32_u24_sdwa v35, v37, s6 dst_sel:DWORD dst_unused:UNUSED_PAD src0_sel:WORD_1 src1_sel:DWORD
	v_pk_fma_f16 v36, v12, v32, v46
	v_pk_fma_f16 v2, v12, v33, v2
	;; [unrolled: 1-line block ×8, first 2 shown]
	ds_read2_b64 v[10:13], v23 offset0:128 offset1:160
	v_mul_u32_u24_sdwa v33, v38, s6 dst_sel:DWORD dst_unused:UNUSED_PAD src0_sel:WORD_0 src1_sel:DWORD
	v_mul_u32_u24_sdwa v34, v38, s6 dst_sel:DWORD dst_unused:UNUSED_PAD src0_sel:WORD_1 src1_sel:DWORD
	v_mul_u32_u24_sdwa v35, v39, s6 dst_sel:DWORD dst_unused:UNUSED_PAD src0_sel:WORD_0 src1_sel:DWORD
	v_mul_u32_u24_sdwa v38, v39, s6 dst_sel:DWORD dst_unused:UNUSED_PAD src0_sel:WORD_1 src1_sel:DWORD
	s_waitcnt lgkmcnt(0)
	v_pk_fma_f16 v36, v10, v33, v36
	v_pk_fma_f16 v2, v10, v34, v2
	;; [unrolled: 1-line block ×8, first 2 shown]
	v_mul_u32_u24_sdwa v32, v40, s6 dst_sel:DWORD dst_unused:UNUSED_PAD src0_sel:WORD_0 src1_sel:DWORD
	v_mul_u32_u24_sdwa v33, v40, s6 dst_sel:DWORD dst_unused:UNUSED_PAD src0_sel:WORD_1 src1_sel:DWORD
	v_mul_u32_u24_sdwa v34, v41, s6 dst_sel:DWORD dst_unused:UNUSED_PAD src0_sel:WORD_0 src1_sel:DWORD
	v_mul_u32_u24_sdwa v35, v41, s6 dst_sel:DWORD dst_unused:UNUSED_PAD src0_sel:WORD_1 src1_sel:DWORD
	v_pk_fma_f16 v36, v12, v32, v36
	v_pk_fma_f16 v2, v12, v33, v2
	;; [unrolled: 1-line block ×8, first 2 shown]
	ds_read2_b64 v[10:13], v23 offset0:192 offset1:224
	v_mul_u32_u24_sdwa v23, v42, s6 dst_sel:DWORD dst_unused:UNUSED_PAD src0_sel:WORD_0 src1_sel:DWORD
	v_mul_u32_u24_sdwa v33, v42, s6 dst_sel:DWORD dst_unused:UNUSED_PAD src0_sel:WORD_1 src1_sel:DWORD
	v_mul_u32_u24_sdwa v34, v43, s6 dst_sel:DWORD dst_unused:UNUSED_PAD src0_sel:WORD_0 src1_sel:DWORD
	v_mul_u32_u24_sdwa v35, v43, s6 dst_sel:DWORD dst_unused:UNUSED_PAD src0_sel:WORD_1 src1_sel:DWORD
	s_waitcnt lgkmcnt(0)
	v_pk_fma_f16 v36, v10, v23, v36
	v_pk_fma_f16 v2, v10, v33, v2
	;; [unrolled: 1-line block ×6, first 2 shown]
	v_mul_u32_u24_sdwa v30, v44, s6 dst_sel:DWORD dst_unused:UNUSED_PAD src0_sel:WORD_0 src1_sel:DWORD
	v_mul_u32_u24_sdwa v31, v44, s6 dst_sel:DWORD dst_unused:UNUSED_PAD src0_sel:WORD_1 src1_sel:DWORD
	v_pk_fma_f16 v11, v11, v35, v32
	v_pk_fma_f16 v38, v12, v30, v36
	;; [unrolled: 1-line block ×5, first 2 shown]
	ds_read_b128 v[30:33], v26 offset:17728
	v_pk_fma_f16 v10, v10, v35, v37
	v_mul_u32_u24_sdwa v35, v45, s6 dst_sel:DWORD dst_unused:UNUSED_PAD src0_sel:WORD_0 src1_sel:DWORD
	v_mul_u32_u24_sdwa v37, v45, s6 dst_sel:DWORD dst_unused:UNUSED_PAD src0_sel:WORD_1 src1_sel:DWORD
	v_pk_fma_f16 v3, v12, v35, v3
	v_pk_fma_f16 v39, v12, v37, v10
	;; [unrolled: 1-line block ×4, first 2 shown]
	ds_read2_b64 v[10:13], v27 offset1:32
	ds_read_b128 v[34:37], v26 offset:17744
	s_waitcnt lgkmcnt(2)
	v_mul_u32_u24_sdwa v42, v30, s6 dst_sel:DWORD dst_unused:UNUSED_PAD src0_sel:WORD_0 src1_sel:DWORD
	v_mul_u32_u24_sdwa v30, v30, s6 dst_sel:DWORD dst_unused:UNUSED_PAD src0_sel:WORD_1 src1_sel:DWORD
	v_mul_u32_u24_sdwa v43, v31, s6 dst_sel:DWORD dst_unused:UNUSED_PAD src0_sel:WORD_0 src1_sel:DWORD
	v_mul_u32_u24_sdwa v31, v31, s6 dst_sel:DWORD dst_unused:UNUSED_PAD src0_sel:WORD_1 src1_sel:DWORD
	s_waitcnt lgkmcnt(1)
	v_pk_fma_f16 v38, v10, v42, v38
	v_pk_fma_f16 v2, v10, v30, v2
	;; [unrolled: 1-line block ×8, first 2 shown]
	v_mul_u32_u24_sdwa v31, v32, s6 dst_sel:DWORD dst_unused:UNUSED_PAD src0_sel:WORD_0 src1_sel:DWORD
	v_mul_u32_u24_sdwa v32, v32, s6 dst_sel:DWORD dst_unused:UNUSED_PAD src0_sel:WORD_1 src1_sel:DWORD
	v_mul_u32_u24_sdwa v39, v33, s6 dst_sel:DWORD dst_unused:UNUSED_PAD src0_sel:WORD_0 src1_sel:DWORD
	v_mul_u32_u24_sdwa v33, v33, s6 dst_sel:DWORD dst_unused:UNUSED_PAD src0_sel:WORD_1 src1_sel:DWORD
	v_pk_fma_f16 v38, v12, v31, v38
	v_pk_fma_f16 v2, v12, v32, v2
	;; [unrolled: 1-line block ×8, first 2 shown]
	ds_read2_b64 v[10:13], v27 offset0:64 offset1:96
	s_waitcnt lgkmcnt(1)
	v_mul_u32_u24_sdwa v32, v34, s6 dst_sel:DWORD dst_unused:UNUSED_PAD src0_sel:WORD_0 src1_sel:DWORD
	v_mul_u32_u24_sdwa v33, v34, s6 dst_sel:DWORD dst_unused:UNUSED_PAD src0_sel:WORD_1 src1_sel:DWORD
	v_mul_u32_u24_sdwa v34, v35, s6 dst_sel:DWORD dst_unused:UNUSED_PAD src0_sel:WORD_0 src1_sel:DWORD
	v_mul_u32_u24_sdwa v35, v35, s6 dst_sel:DWORD dst_unused:UNUSED_PAD src0_sel:WORD_1 src1_sel:DWORD
	s_waitcnt lgkmcnt(0)
	v_pk_fma_f16 v38, v10, v32, v38
	v_pk_fma_f16 v2, v10, v33, v2
	v_pk_fma_f16 v3, v10, v34, v3
	v_pk_fma_f16 v4, v11, v32, v4
	v_pk_fma_f16 v23, v11, v33, v23
	v_pk_fma_f16 v34, v11, v34, v30
	v_pk_fma_f16 v11, v11, v35, v31
	v_mul_u32_u24_sdwa v30, v36, s6 dst_sel:DWORD dst_unused:UNUSED_PAD src0_sel:WORD_0 src1_sel:DWORD
	v_mul_u32_u24_sdwa v31, v36, s6 dst_sel:DWORD dst_unused:UNUSED_PAD src0_sel:WORD_1 src1_sel:DWORD
	v_pk_fma_f16 v38, v12, v30, v38
	v_pk_fma_f16 v2, v12, v31, v2
	;; [unrolled: 1-line block ×4, first 2 shown]
	ds_read_b128 v[30:33], v26 offset:17760
	v_pk_fma_f16 v10, v10, v35, v40
	v_mul_u32_u24_sdwa v35, v37, s6 dst_sel:DWORD dst_unused:UNUSED_PAD src0_sel:WORD_0 src1_sel:DWORD
	v_mul_u32_u24_sdwa v36, v37, s6 dst_sel:DWORD dst_unused:UNUSED_PAD src0_sel:WORD_1 src1_sel:DWORD
	v_pk_fma_f16 v3, v12, v35, v3
	v_pk_fma_f16 v39, v12, v36, v10
	;; [unrolled: 1-line block ×4, first 2 shown]
	ds_read2_b64 v[10:13], v27 offset0:128 offset1:160
	ds_read_b128 v[34:37], v26 offset:17776
	s_waitcnt lgkmcnt(2)
	v_mul_u32_u24_sdwa v42, v30, s6 dst_sel:DWORD dst_unused:UNUSED_PAD src0_sel:WORD_0 src1_sel:DWORD
	v_mul_u32_u24_sdwa v30, v30, s6 dst_sel:DWORD dst_unused:UNUSED_PAD src0_sel:WORD_1 src1_sel:DWORD
	v_mul_u32_u24_sdwa v43, v31, s6 dst_sel:DWORD dst_unused:UNUSED_PAD src0_sel:WORD_0 src1_sel:DWORD
	v_mul_u32_u24_sdwa v31, v31, s6 dst_sel:DWORD dst_unused:UNUSED_PAD src0_sel:WORD_1 src1_sel:DWORD
	s_waitcnt lgkmcnt(1)
	v_pk_fma_f16 v38, v10, v42, v38
	v_pk_fma_f16 v2, v10, v30, v2
	;; [unrolled: 1-line block ×8, first 2 shown]
	v_mul_u32_u24_sdwa v31, v32, s6 dst_sel:DWORD dst_unused:UNUSED_PAD src0_sel:WORD_0 src1_sel:DWORD
	v_mul_u32_u24_sdwa v32, v32, s6 dst_sel:DWORD dst_unused:UNUSED_PAD src0_sel:WORD_1 src1_sel:DWORD
	v_mul_u32_u24_sdwa v39, v33, s6 dst_sel:DWORD dst_unused:UNUSED_PAD src0_sel:WORD_0 src1_sel:DWORD
	v_mul_u32_u24_sdwa v33, v33, s6 dst_sel:DWORD dst_unused:UNUSED_PAD src0_sel:WORD_1 src1_sel:DWORD
	v_pk_fma_f16 v38, v12, v31, v38
	v_pk_fma_f16 v2, v12, v32, v2
	v_pk_fma_f16 v3, v12, v39, v3
	v_pk_fma_f16 v40, v12, v33, v10
	v_pk_fma_f16 v4, v13, v31, v4
	v_pk_fma_f16 v23, v13, v32, v23
	v_pk_fma_f16 v30, v13, v39, v30
	v_pk_fma_f16 v31, v13, v33, v11
	ds_read2_b64 v[10:13], v27 offset0:192 offset1:224
	s_waitcnt lgkmcnt(1)
	v_mul_u32_u24_sdwa v27, v34, s6 dst_sel:DWORD dst_unused:UNUSED_PAD src0_sel:WORD_0 src1_sel:DWORD
	v_mul_u32_u24_sdwa v32, v34, s6 dst_sel:DWORD dst_unused:UNUSED_PAD src0_sel:WORD_1 src1_sel:DWORD
	v_mul_u32_u24_sdwa v33, v35, s6 dst_sel:DWORD dst_unused:UNUSED_PAD src0_sel:WORD_0 src1_sel:DWORD
	v_mul_u32_u24_sdwa v34, v35, s6 dst_sel:DWORD dst_unused:UNUSED_PAD src0_sel:WORD_1 src1_sel:DWORD
	s_waitcnt lgkmcnt(0)
	v_pk_fma_f16 v35, v10, v27, v38
	v_pk_fma_f16 v2, v10, v32, v2
	;; [unrolled: 1-line block ×6, first 2 shown]
	v_mul_u32_u24_sdwa v30, v36, s6 dst_sel:DWORD dst_unused:UNUSED_PAD src0_sel:WORD_0 src1_sel:DWORD
	v_mul_u32_u24_sdwa v31, v36, s6 dst_sel:DWORD dst_unused:UNUSED_PAD src0_sel:WORD_1 src1_sel:DWORD
	v_pk_fma_f16 v3, v10, v33, v3
	v_pk_fma_f16 v38, v12, v30, v35
	;; [unrolled: 1-line block ×5, first 2 shown]
	ds_read_b128 v[30:33], v26 offset:17792
	v_pk_fma_f16 v10, v10, v34, v40
	v_mul_u32_u24_sdwa v34, v37, s6 dst_sel:DWORD dst_unused:UNUSED_PAD src0_sel:WORD_0 src1_sel:DWORD
	v_mul_u32_u24_sdwa v36, v37, s6 dst_sel:DWORD dst_unused:UNUSED_PAD src0_sel:WORD_1 src1_sel:DWORD
	v_pk_fma_f16 v3, v12, v34, v3
	v_pk_fma_f16 v39, v12, v36, v10
	;; [unrolled: 1-line block ×4, first 2 shown]
	ds_read2_b64 v[10:13], v29 offset1:32
	ds_read_b128 v[34:37], v26 offset:17808
	s_waitcnt lgkmcnt(2)
	v_mul_u32_u24_sdwa v41, v30, s6 dst_sel:DWORD dst_unused:UNUSED_PAD src0_sel:WORD_0 src1_sel:DWORD
	v_mul_u32_u24_sdwa v30, v30, s6 dst_sel:DWORD dst_unused:UNUSED_PAD src0_sel:WORD_1 src1_sel:DWORD
	v_mul_u32_u24_sdwa v42, v31, s6 dst_sel:DWORD dst_unused:UNUSED_PAD src0_sel:WORD_0 src1_sel:DWORD
	v_mul_u32_u24_sdwa v31, v31, s6 dst_sel:DWORD dst_unused:UNUSED_PAD src0_sel:WORD_1 src1_sel:DWORD
	s_waitcnt lgkmcnt(1)
	v_pk_fma_f16 v38, v10, v41, v38
	v_pk_fma_f16 v2, v10, v30, v2
	;; [unrolled: 1-line block ×8, first 2 shown]
	v_mul_u32_u24_sdwa v30, v32, s6 dst_sel:DWORD dst_unused:UNUSED_PAD src0_sel:WORD_0 src1_sel:DWORD
	v_mul_u32_u24_sdwa v31, v32, s6 dst_sel:DWORD dst_unused:UNUSED_PAD src0_sel:WORD_1 src1_sel:DWORD
	v_mul_u32_u24_sdwa v32, v33, s6 dst_sel:DWORD dst_unused:UNUSED_PAD src0_sel:WORD_0 src1_sel:DWORD
	v_mul_u32_u24_sdwa v33, v33, s6 dst_sel:DWORD dst_unused:UNUSED_PAD src0_sel:WORD_1 src1_sel:DWORD
	v_pk_fma_f16 v38, v12, v30, v38
	v_pk_fma_f16 v2, v12, v31, v2
	v_pk_fma_f16 v3, v12, v32, v3
	v_pk_fma_f16 v39, v12, v33, v10
	v_pk_fma_f16 v4, v13, v30, v4
	v_pk_fma_f16 v23, v13, v31, v23
	v_pk_fma_f16 v27, v13, v32, v27
	v_pk_fma_f16 v30, v13, v33, v11
	ds_read2_b64 v[10:13], v29 offset0:64 offset1:96
	s_waitcnt lgkmcnt(1)
	v_mul_u32_u24_sdwa v31, v34, s6 dst_sel:DWORD dst_unused:UNUSED_PAD src0_sel:WORD_0 src1_sel:DWORD
	v_mul_u32_u24_sdwa v32, v34, s6 dst_sel:DWORD dst_unused:UNUSED_PAD src0_sel:WORD_1 src1_sel:DWORD
	v_mul_u32_u24_sdwa v33, v35, s6 dst_sel:DWORD dst_unused:UNUSED_PAD src0_sel:WORD_0 src1_sel:DWORD
	v_mul_u32_u24_sdwa v34, v35, s6 dst_sel:DWORD dst_unused:UNUSED_PAD src0_sel:WORD_1 src1_sel:DWORD
	s_waitcnt lgkmcnt(0)
	v_pk_fma_f16 v35, v10, v31, v38
	v_pk_fma_f16 v2, v10, v32, v2
	;; [unrolled: 1-line block ×6, first 2 shown]
	v_mul_u32_u24_sdwa v30, v36, s6 dst_sel:DWORD dst_unused:UNUSED_PAD src0_sel:WORD_0 src1_sel:DWORD
	v_mul_u32_u24_sdwa v31, v36, s6 dst_sel:DWORD dst_unused:UNUSED_PAD src0_sel:WORD_1 src1_sel:DWORD
	v_pk_fma_f16 v3, v10, v33, v3
	v_pk_fma_f16 v38, v12, v30, v35
	;; [unrolled: 1-line block ×5, first 2 shown]
	ds_read_b128 v[30:33], v26 offset:17824
	v_pk_fma_f16 v10, v10, v34, v39
	v_mul_u32_u24_sdwa v34, v37, s6 dst_sel:DWORD dst_unused:UNUSED_PAD src0_sel:WORD_0 src1_sel:DWORD
	v_mul_u32_u24_sdwa v36, v37, s6 dst_sel:DWORD dst_unused:UNUSED_PAD src0_sel:WORD_1 src1_sel:DWORD
	v_pk_fma_f16 v3, v12, v34, v3
	v_pk_fma_f16 v39, v12, v36, v10
	;; [unrolled: 1-line block ×4, first 2 shown]
	ds_read2_b64 v[10:13], v29 offset0:128 offset1:160
	ds_read_b128 v[34:37], v26 offset:17840
	s_waitcnt lgkmcnt(2)
	v_mul_u32_u24_sdwa v41, v30, s6 dst_sel:DWORD dst_unused:UNUSED_PAD src0_sel:WORD_0 src1_sel:DWORD
	v_mul_u32_u24_sdwa v30, v30, s6 dst_sel:DWORD dst_unused:UNUSED_PAD src0_sel:WORD_1 src1_sel:DWORD
	v_mul_u32_u24_sdwa v42, v31, s6 dst_sel:DWORD dst_unused:UNUSED_PAD src0_sel:WORD_0 src1_sel:DWORD
	v_mul_u32_u24_sdwa v31, v31, s6 dst_sel:DWORD dst_unused:UNUSED_PAD src0_sel:WORD_1 src1_sel:DWORD
	s_waitcnt lgkmcnt(1)
	v_pk_fma_f16 v38, v10, v41, v38
	v_pk_fma_f16 v2, v10, v30, v2
	v_pk_fma_f16 v3, v10, v42, v3
	v_pk_fma_f16 v10, v10, v31, v39
	v_pk_fma_f16 v4, v11, v41, v4
	v_pk_fma_f16 v23, v11, v30, v23
	v_pk_fma_f16 v27, v11, v42, v27
	v_pk_fma_f16 v11, v11, v31, v40
	v_mul_u32_u24_sdwa v30, v32, s6 dst_sel:DWORD dst_unused:UNUSED_PAD src0_sel:WORD_0 src1_sel:DWORD
	v_mul_u32_u24_sdwa v31, v32, s6 dst_sel:DWORD dst_unused:UNUSED_PAD src0_sel:WORD_1 src1_sel:DWORD
	v_mul_u32_u24_sdwa v32, v33, s6 dst_sel:DWORD dst_unused:UNUSED_PAD src0_sel:WORD_0 src1_sel:DWORD
	v_mul_u32_u24_sdwa v33, v33, s6 dst_sel:DWORD dst_unused:UNUSED_PAD src0_sel:WORD_1 src1_sel:DWORD
	v_pk_fma_f16 v38, v12, v30, v38
	v_pk_fma_f16 v2, v12, v31, v2
	;; [unrolled: 1-line block ×8, first 2 shown]
	ds_read2_b64 v[10:13], v29 offset0:192 offset1:224
	s_waitcnt lgkmcnt(1)
	v_mul_u32_u24_sdwa v29, v34, s6 dst_sel:DWORD dst_unused:UNUSED_PAD src0_sel:WORD_0 src1_sel:DWORD
	v_mul_u32_u24_sdwa v31, v34, s6 dst_sel:DWORD dst_unused:UNUSED_PAD src0_sel:WORD_1 src1_sel:DWORD
	v_mul_u32_u24_sdwa v32, v35, s6 dst_sel:DWORD dst_unused:UNUSED_PAD src0_sel:WORD_0 src1_sel:DWORD
	v_mul_u32_u24_sdwa v33, v35, s6 dst_sel:DWORD dst_unused:UNUSED_PAD src0_sel:WORD_1 src1_sel:DWORD
	s_waitcnt lgkmcnt(0)
	v_pk_fma_f16 v34, v10, v29, v38
	v_pk_fma_f16 v2, v10, v31, v2
	;; [unrolled: 1-line block ×6, first 2 shown]
	v_mul_u32_u24_sdwa v29, v36, s6 dst_sel:DWORD dst_unused:UNUSED_PAD src0_sel:WORD_0 src1_sel:DWORD
	v_mul_u32_u24_sdwa v30, v36, s6 dst_sel:DWORD dst_unused:UNUSED_PAD src0_sel:WORD_1 src1_sel:DWORD
	v_pk_fma_f16 v3, v10, v32, v3
	v_pk_fma_f16 v10, v10, v33, v39
	v_mul_u32_u24_sdwa v33, v37, s6 dst_sel:DWORD dst_unused:UNUSED_PAD src0_sel:WORD_0 src1_sel:DWORD
	v_mul_u32_u24_sdwa v35, v37, s6 dst_sel:DWORD dst_unused:UNUSED_PAD src0_sel:WORD_1 src1_sel:DWORD
	v_pk_fma_f16 v37, v12, v29, v34
	v_pk_fma_f16 v2, v12, v30, v2
	;; [unrolled: 1-line block ×4, first 2 shown]
	ds_read_b128 v[29:32], v26 offset:17856
	v_pk_fma_f16 v3, v12, v33, v3
	v_pk_fma_f16 v38, v12, v35, v10
	;; [unrolled: 1-line block ×4, first 2 shown]
	ds_read2_b64 v[10:13], v1 offset1:32
	ds_read_b128 v[33:36], v26 offset:17872
	s_waitcnt lgkmcnt(2)
	v_mul_u32_u24_sdwa v40, v29, s6 dst_sel:DWORD dst_unused:UNUSED_PAD src0_sel:WORD_0 src1_sel:DWORD
	v_mul_u32_u24_sdwa v29, v29, s6 dst_sel:DWORD dst_unused:UNUSED_PAD src0_sel:WORD_1 src1_sel:DWORD
	v_mul_u32_u24_sdwa v41, v30, s6 dst_sel:DWORD dst_unused:UNUSED_PAD src0_sel:WORD_0 src1_sel:DWORD
	v_mul_u32_u24_sdwa v30, v30, s6 dst_sel:DWORD dst_unused:UNUSED_PAD src0_sel:WORD_1 src1_sel:DWORD
	s_waitcnt lgkmcnt(1)
	v_pk_fma_f16 v37, v10, v40, v37
	v_pk_fma_f16 v2, v10, v29, v2
	;; [unrolled: 1-line block ×8, first 2 shown]
	v_mul_u32_u24_sdwa v29, v31, s6 dst_sel:DWORD dst_unused:UNUSED_PAD src0_sel:WORD_0 src1_sel:DWORD
	v_mul_u32_u24_sdwa v30, v31, s6 dst_sel:DWORD dst_unused:UNUSED_PAD src0_sel:WORD_1 src1_sel:DWORD
	v_mul_u32_u24_sdwa v31, v32, s6 dst_sel:DWORD dst_unused:UNUSED_PAD src0_sel:WORD_0 src1_sel:DWORD
	v_mul_u32_u24_sdwa v32, v32, s6 dst_sel:DWORD dst_unused:UNUSED_PAD src0_sel:WORD_1 src1_sel:DWORD
	v_pk_fma_f16 v37, v12, v29, v37
	v_pk_fma_f16 v2, v12, v30, v2
	;; [unrolled: 1-line block ×8, first 2 shown]
	ds_read2_b64 v[10:13], v1 offset0:64 offset1:96
	s_waitcnt lgkmcnt(1)
	v_mul_u32_u24_sdwa v30, v33, s6 dst_sel:DWORD dst_unused:UNUSED_PAD src0_sel:WORD_0 src1_sel:DWORD
	v_mul_u32_u24_sdwa v31, v33, s6 dst_sel:DWORD dst_unused:UNUSED_PAD src0_sel:WORD_1 src1_sel:DWORD
	v_mul_u32_u24_sdwa v32, v34, s6 dst_sel:DWORD dst_unused:UNUSED_PAD src0_sel:WORD_0 src1_sel:DWORD
	v_mul_u32_u24_sdwa v33, v34, s6 dst_sel:DWORD dst_unused:UNUSED_PAD src0_sel:WORD_1 src1_sel:DWORD
	s_waitcnt lgkmcnt(0)
	v_pk_fma_f16 v34, v10, v30, v37
	v_pk_fma_f16 v2, v10, v31, v2
	;; [unrolled: 1-line block ×6, first 2 shown]
	v_mul_u32_u24_sdwa v29, v35, s6 dst_sel:DWORD dst_unused:UNUSED_PAD src0_sel:WORD_0 src1_sel:DWORD
	v_mul_u32_u24_sdwa v30, v35, s6 dst_sel:DWORD dst_unused:UNUSED_PAD src0_sel:WORD_1 src1_sel:DWORD
	v_pk_fma_f16 v3, v10, v32, v3
	v_pk_fma_f16 v37, v12, v29, v34
	;; [unrolled: 1-line block ×5, first 2 shown]
	ds_read_b128 v[29:32], v26 offset:17888
	v_pk_fma_f16 v10, v10, v33, v38
	v_mul_u32_u24_sdwa v33, v36, s6 dst_sel:DWORD dst_unused:UNUSED_PAD src0_sel:WORD_0 src1_sel:DWORD
	v_mul_u32_u24_sdwa v35, v36, s6 dst_sel:DWORD dst_unused:UNUSED_PAD src0_sel:WORD_1 src1_sel:DWORD
	v_pk_fma_f16 v3, v12, v33, v3
	v_pk_fma_f16 v38, v12, v35, v10
	;; [unrolled: 1-line block ×4, first 2 shown]
	ds_read2_b64 v[10:13], v1 offset0:128 offset1:160
	ds_read_b128 v[33:36], v26 offset:17904
	s_waitcnt lgkmcnt(2)
	v_mul_u32_u24_sdwa v26, v29, s6 dst_sel:DWORD dst_unused:UNUSED_PAD src0_sel:WORD_0 src1_sel:DWORD
	v_mul_u32_u24_sdwa v29, v29, s6 dst_sel:DWORD dst_unused:UNUSED_PAD src0_sel:WORD_1 src1_sel:DWORD
	v_mul_u32_u24_sdwa v40, v30, s6 dst_sel:DWORD dst_unused:UNUSED_PAD src0_sel:WORD_0 src1_sel:DWORD
	v_mul_u32_u24_sdwa v30, v30, s6 dst_sel:DWORD dst_unused:UNUSED_PAD src0_sel:WORD_1 src1_sel:DWORD
	s_waitcnt lgkmcnt(1)
	v_pk_fma_f16 v37, v10, v26, v37
	v_pk_fma_f16 v2, v10, v29, v2
	;; [unrolled: 1-line block ×8, first 2 shown]
	v_mul_u32_u24_sdwa v27, v31, s6 dst_sel:DWORD dst_unused:UNUSED_PAD src0_sel:WORD_0 src1_sel:DWORD
	v_mul_u32_u24_sdwa v29, v31, s6 dst_sel:DWORD dst_unused:UNUSED_PAD src0_sel:WORD_1 src1_sel:DWORD
	v_mul_u32_u24_sdwa v30, v32, s6 dst_sel:DWORD dst_unused:UNUSED_PAD src0_sel:WORD_0 src1_sel:DWORD
	v_mul_u32_u24_sdwa v31, v32, s6 dst_sel:DWORD dst_unused:UNUSED_PAD src0_sel:WORD_1 src1_sel:DWORD
	v_pk_fma_f16 v32, v12, v27, v37
	v_pk_fma_f16 v37, v12, v29, v2
	;; [unrolled: 1-line block ×5, first 2 shown]
	ds_read2_b64 v[1:4], v1 offset0:192 offset1:224
	v_pk_fma_f16 v23, v13, v29, v23
	v_pk_fma_f16 v26, v13, v30, v26
	v_pk_fma_f16 v11, v13, v31, v11
	s_waitcnt lgkmcnt(1)
	v_mul_u32_u24_sdwa v13, v33, s6 dst_sel:DWORD dst_unused:UNUSED_PAD src0_sel:WORD_0 src1_sel:DWORD
	v_mul_u32_u24_sdwa v27, v33, s6 dst_sel:DWORD dst_unused:UNUSED_PAD src0_sel:WORD_1 src1_sel:DWORD
	v_mul_u32_u24_sdwa v29, v34, s6 dst_sel:DWORD dst_unused:UNUSED_PAD src0_sel:WORD_0 src1_sel:DWORD
	v_mul_u32_u24_sdwa v30, v34, s6 dst_sel:DWORD dst_unused:UNUSED_PAD src0_sel:WORD_1 src1_sel:DWORD
	s_waitcnt lgkmcnt(0)
	v_pk_fma_f16 v31, v1, v13, v32
	v_pk_fma_f16 v32, v1, v27, v37
	;; [unrolled: 1-line block ×8, first 2 shown]
	v_mul_u32_u24_sdwa v11, v35, s6 dst_sel:DWORD dst_unused:UNUSED_PAD src0_sel:WORD_0 src1_sel:DWORD
	v_mul_u32_u24_sdwa v23, v35, s6 dst_sel:DWORD dst_unused:UNUSED_PAD src0_sel:WORD_1 src1_sel:DWORD
	v_mul_u32_u24_sdwa v26, v36, s6 dst_sel:DWORD dst_unused:UNUSED_PAD src0_sel:WORD_0 src1_sel:DWORD
	v_mul_u32_u24_sdwa v27, v36, s6 dst_sel:DWORD dst_unused:UNUSED_PAD src0_sel:WORD_1 src1_sel:DWORD
	v_pk_fma_f16 v35, v3, v11, v31
	v_pk_fma_f16 v32, v3, v23, v32
	;; [unrolled: 1-line block ×8, first 2 shown]
	v_mov_b32_e32 v44, v5
	v_mov_b32_e32 v2, v6
	;; [unrolled: 1-line block ×8, first 2 shown]
	s_barrier
.LBB56_71:
	v_cmp_lt_i32_e32 vcc, v54, v52
	v_cndmask_b32_e32 v1, v51, v54, vcc
	v_lshlrev_b32_e32 v1, 2, v1
	ds_bpermute_b32 v6, v1, v42
	ds_bpermute_b32 v12, v1, v41
	ds_bpermute_b32 v13, v1, v44
	ds_bpermute_b32 v1, v1, v43
	v_cmp_lt_i32_e32 vcc, v53, v52
	v_cndmask_b32_e32 v7, v51, v53, vcc
	v_lshlrev_b32_e32 v7, 2, v7
	s_waitcnt lgkmcnt(3)
	v_add_f32_e32 v6, v42, v6
	s_waitcnt lgkmcnt(2)
	v_add_f32_e32 v12, v41, v12
	s_waitcnt lgkmcnt(1)
	v_add_f32_e32 v13, v44, v13
	s_waitcnt lgkmcnt(0)
	v_add_f32_e32 v1, v43, v1
	ds_bpermute_b32 v8, v7, v6
	ds_bpermute_b32 v23, v7, v12
	ds_bpermute_b32 v24, v7, v13
	ds_bpermute_b32 v7, v7, v1
	v_cmp_lt_i32_e32 vcc, v55, v52
	v_cndmask_b32_e32 v9, v51, v55, vcc
	v_lshlrev_b32_e32 v9, 2, v9
	s_waitcnt lgkmcnt(3)
	v_add_f32_e32 v6, v6, v8
	s_waitcnt lgkmcnt(2)
	v_add_f32_e32 v12, v12, v23
	s_waitcnt lgkmcnt(1)
	v_add_f32_e32 v13, v13, v24
	s_waitcnt lgkmcnt(0)
	v_add_f32_e32 v1, v1, v7
	;; [unrolled: 15-line block ×4, first 2 shown]
	ds_bpermute_b32 v8, v11, v6
	ds_bpermute_b32 v10, v11, v9
	;; [unrolled: 1-line block ×4, first 2 shown]
	s_cmp_eq_u64 s[20:21], 0
	s_cselect_b64 s[6:7], -1, 0
	s_cmp_lg_u32 s9, 0
	s_cselect_b64 s[10:11], -1, 0
	s_or_b64 s[6:7], s[10:11], s[6:7]
	s_waitcnt lgkmcnt(3)
	v_add_f32_e32 v6, v6, v8
	s_waitcnt lgkmcnt(2)
	v_add_f32_e32 v7, v9, v10
	;; [unrolled: 2-line block ×4, first 2 shown]
	s_and_b64 vcc, exec, s[6:7]
	s_cbranch_vccnz .LBB56_74
; %bb.72:
	s_lshl_b64 s[6:7], s[34:35], 2
	s_add_u32 s6, s20, s6
	s_addc_u32 s7, s21, s7
	v_mov_b32_e32 v1, 0
	global_load_dword v1, v1, s[6:7]
	v_max_f32_e32 v10, v2, v2
	v_max_f32_e32 v11, v3, v3
	s_mov_b32 s8, 0x3fb8aa3b
	v_max_f32_e32 v12, v4, v4
	s_mov_b32 s7, 0xc2ce8ed0
	s_mov_b32 s6, 0x42b17218
	v_mov_b32_e32 v13, 0x7f800000
	s_waitcnt vmcnt(0)
	v_max_f32_e32 v26, v1, v1
	v_max_f32_e32 v23, v10, v26
	v_sub_f32_e32 v2, v2, v23
	v_max_f32_e32 v24, v11, v26
	v_sub_f32_e32 v10, v1, v23
	v_mul_f32_e32 v28, 0x3fb8aa3b, v2
	v_sub_f32_e32 v3, v3, v24
	v_mul_f32_e32 v31, 0x3fb8aa3b, v10
	v_fma_f32 v41, v2, s8, -v28
	v_rndne_f32_e32 v42, v28
	v_max_f32_e32 v25, v12, v26
	v_sub_f32_e32 v11, v1, v24
	v_mul_f32_e32 v34, 0x3fb8aa3b, v3
	v_fma_f32 v43, v10, s8, -v31
	v_rndne_f32_e32 v44, v31
	v_fmac_f32_e32 v41, 0x32a5705f, v2
	v_sub_f32_e32 v28, v28, v42
	v_sub_f32_e32 v4, v4, v25
	v_mul_f32_e32 v36, 0x3fb8aa3b, v11
	v_fma_f32 v45, v3, s8, -v34
	v_rndne_f32_e32 v46, v34
	v_fmac_f32_e32 v43, 0x32a5705f, v10
	v_sub_f32_e32 v31, v31, v44
	v_add_f32_e32 v28, v28, v41
	v_mul_f32_e32 v37, 0x3fb8aa3b, v4
	v_fma_f32 v47, v11, s8, -v36
	v_rndne_f32_e32 v48, v36
	v_cvt_i32_f32_e32 v42, v42
	v_fmac_f32_e32 v45, 0x32a5705f, v3
	v_sub_f32_e32 v34, v34, v46
	v_add_f32_e32 v31, v31, v43
	v_exp_f32_e32 v28, v28
	v_fma_f32 v49, v4, s8, -v37
	v_rndne_f32_e32 v50, v37
	v_cvt_i32_f32_e32 v44, v44
	v_fmac_f32_e32 v47, 0x32a5705f, v11
	v_sub_f32_e32 v36, v36, v48
	v_add_f32_e32 v34, v34, v45
	v_exp_f32_e32 v31, v31
	v_cvt_i32_f32_e32 v46, v46
	v_fmac_f32_e32 v49, 0x32a5705f, v4
	v_sub_f32_e32 v37, v37, v50
	v_add_f32_e32 v36, v36, v47
	v_exp_f32_e32 v34, v34
	v_cvt_i32_f32_e32 v48, v48
	v_add_f32_e32 v37, v37, v49
	v_exp_f32_e32 v36, v36
	v_cvt_i32_f32_e32 v50, v50
	v_exp_f32_e32 v37, v37
	v_ldexp_f32 v28, v28, v42
	v_cmp_ngt_f32_e32 vcc, s7, v2
	v_ldexp_f32 v31, v31, v44
	v_cndmask_b32_e32 v28, 0, v28, vcc
	v_cmp_ngt_f32_e32 vcc, s7, v10
	v_ldexp_f32 v34, v34, v46
	v_cndmask_b32_e32 v31, 0, v31, vcc
	v_cmp_ngt_f32_e32 vcc, s7, v3
	v_ldexp_f32 v36, v36, v48
	v_cndmask_b32_e32 v34, 0, v34, vcc
	v_cmp_ngt_f32_e32 vcc, s7, v11
	v_ldexp_f32 v37, v37, v50
	v_cndmask_b32_e32 v36, 0, v36, vcc
	v_cmp_ngt_f32_e32 vcc, s7, v4
	v_sub_f32_e32 v12, v1, v25
	v_cndmask_b32_e32 v37, 0, v37, vcc
	v_cmp_nlt_f32_e32 vcc, s6, v2
	v_mul_f32_e32 v40, 0x3fb8aa3b, v12
	v_cndmask_b32_e32 v2, v13, v28, vcc
	v_cmp_nlt_f32_e32 vcc, s6, v10
	v_fma_f32 v51, v12, s8, -v40
	v_rndne_f32_e32 v52, v40
	v_cndmask_b32_e32 v10, v13, v31, vcc
	v_cmp_nlt_f32_e32 vcc, s6, v3
	v_fmac_f32_e32 v51, 0x32a5705f, v12
	v_sub_f32_e32 v40, v40, v52
	v_cndmask_b32_e32 v3, v13, v34, vcc
	v_add_f32_e32 v40, v40, v51
	v_cvt_f16_f32_e32 v28, v2
	v_cvt_f16_f32_e32 v31, v3
	v_cvt_i32_f32_e32 v52, v52
	v_exp_f32_e32 v40, v40
	v_cmp_nlt_f32_e32 vcc, s6, v11
	v_cndmask_b32_e32 v11, v13, v36, vcc
	v_fmac_f32_e32 v10, v6, v2
	v_fmac_f32_e32 v11, v7, v3
	v_mul_u32_u24_e32 v2, 0x10001, v28
	v_mul_u32_u24_e32 v3, 0x10001, v31
	v_cmp_nlt_f32_e32 vcc, s6, v4
	v_pk_mul_f16 v35, v35, v2
	v_pk_mul_f16 v39, v39, v2
	;; [unrolled: 1-line block ×4, first 2 shown]
	v_cndmask_b32_e32 v2, v13, v37, vcc
	v_ldexp_f32 v3, v40, v52
	v_cmp_ngt_f32_e32 vcc, s7, v12
	v_cndmask_b32_e32 v3, 0, v3, vcc
	v_cmp_nlt_f32_e32 vcc, s6, v12
	v_cndmask_b32_e32 v12, v13, v3, vcc
	v_max_f32_e32 v3, v5, v5
	v_max_f32_e32 v26, v3, v26
	v_sub_f32_e32 v3, v5, v26
	v_mul_f32_e32 v4, 0x3fb8aa3b, v3
	v_fma_f32 v5, v3, s8, -v4
	v_rndne_f32_e32 v6, v4
	v_fmac_f32_e32 v5, 0x32a5705f, v3
	v_sub_f32_e32 v4, v4, v6
	v_fmac_f32_e32 v12, v8, v2
	v_cvt_f16_f32_e32 v2, v2
	v_add_f32_e32 v4, v4, v5
	v_exp_f32_e32 v4, v4
	v_cvt_i32_f32_e32 v5, v6
	v_mul_u32_u24_e32 v2, 0x10001, v2
	v_sub_f32_e32 v1, v1, v26
	v_pk_mul_f16 v30, v30, v2
	v_pk_mul_f16 v33, v33, v2
	v_ldexp_f32 v2, v4, v5
	v_mul_f32_e32 v4, 0x3fb8aa3b, v1
	v_fma_f32 v5, v1, s8, -v4
	v_rndne_f32_e32 v6, v4
	v_fmac_f32_e32 v5, 0x32a5705f, v1
	v_sub_f32_e32 v4, v4, v6
	v_add_f32_e32 v4, v4, v5
	v_exp_f32_e32 v4, v4
	v_cvt_i32_f32_e32 v5, v6
	v_cmp_ngt_f32_e32 vcc, s7, v3
	v_cndmask_b32_e32 v2, 0, v2, vcc
	v_cmp_nlt_f32_e32 vcc, s6, v3
	v_cndmask_b32_e32 v2, v13, v2, vcc
	v_ldexp_f32 v3, v4, v5
	v_cvt_f16_f32_e32 v4, v2
	v_cmp_ngt_f32_e32 vcc, s7, v1
	v_cndmask_b32_e32 v3, 0, v3, vcc
	v_cmp_nlt_f32_e32 vcc, s6, v1
	v_cndmask_b32_e32 v13, v13, v3, vcc
	v_fmac_f32_e32 v13, v9, v2
	v_mul_u32_u24_e32 v1, 0x10001, v4
	v_mov_b32_e32 v6, v10
	v_mov_b32_e32 v2, v23
	v_pk_mul_f16 v29, v29, v1
	v_pk_mul_f16 v27, v27, v1
	v_mov_b32_e32 v7, v11
	v_mov_b32_e32 v8, v12
	;; [unrolled: 1-line block ×6, first 2 shown]
	v_cmp_gt_i32_e32 vcc, s30, v22
	s_and_saveexec_b64 s[6:7], vcc
	s_cbranch_execnz .LBB56_75
.LBB56_73:
	s_endpgm
.LBB56_74:
	v_mov_b32_e32 v10, v6
	v_mov_b32_e32 v11, v7
	;; [unrolled: 1-line block ×4, first 2 shown]
	v_cmp_gt_i32_e32 vcc, s30, v22
	s_and_saveexec_b64 s[6:7], vcc
	s_cbranch_execz .LBB56_73
.LBB56_75:
	s_load_dword s8, s[4:5], 0xd4
	v_mov_b32_e32 v1, 1.0
	s_waitcnt lgkmcnt(0)
	s_cmp_lg_u32 s8, 1
	s_cselect_b64 s[6:7], -1, 0
	s_cmp_eq_u32 s8, 1
	s_cselect_b64 s[10:11], -1, 0
	s_and_b64 vcc, exec, s[6:7]
	s_cbranch_vccnz .LBB56_77
; %bb.76:
	v_div_scale_f32 v1, s[4:5], v10, v10, 1.0
	v_div_scale_f32 v22, vcc, 1.0, v10, 1.0
	v_rcp_f32_e32 v23, v1
	v_fma_f32 v24, -v1, v23, 1.0
	v_fmac_f32_e32 v23, v24, v23
	v_mul_f32_e32 v24, v22, v23
	v_fma_f32 v25, -v1, v24, v22
	v_fmac_f32_e32 v24, v25, v23
	v_fma_f32 v1, -v1, v24, v22
	v_div_fmas_f32 v1, v1, v23, v24
	v_div_fixup_f32 v1, v1, v10, 1.0
.LBB56_77:
	s_mul_i32 s12, s33, s30
	s_add_i32 s12, s12, s18
	v_add_u32_e32 v10, s12, v20
	v_mul_lo_u32 v10, v10, s31
	v_cmp_eq_u32_e32 vcc, 0, v0
	v_cvt_f32_f16_e32 v20, v35
	v_cvt_f32_f16_e32 v24, v39
	v_add_u32_e32 v0, s34, v10
	v_mul_lo_u32 v0, s8, v0
	v_cvt_f32_f16_sdwa v10, v35 dst_sel:DWORD dst_unused:UNUSED_PAD src0_sel:WORD_1
	v_cvt_f32_f16_sdwa v25, v39 dst_sel:DWORD dst_unused:UNUSED_PAD src0_sel:WORD_1
	v_mov_b32_e32 v36, 0
	v_add_u32_e32 v0, s9, v0
	v_lshl_add_u32 v35, v0, 7, v18
	v_lshlrev_b64 v[34:35], 2, v[35:36]
	v_mul_f32_e32 v22, v1, v20
	v_mul_f32_e32 v23, v1, v10
	;; [unrolled: 1-line block ×4, first 2 shown]
	v_mov_b32_e32 v1, s25
	v_add_co_u32_e64 v34, s[4:5], s24, v34
	v_addc_co_u32_e64 v35, s[4:5], v1, v35, s[4:5]
	s_and_b64 s[6:7], vcc, s[6:7]
	global_store_dwordx4 v[34:35], v[22:25], off
	s_and_saveexec_b64 s[4:5], s[6:7]
	s_cbranch_execz .LBB56_79
; %bb.78:
	v_ashrrev_i32_e32 v1, 31, v0
	v_lshlrev_b64 v[0:1], 3, v[0:1]
	v_mov_b32_e32 v10, s27
	v_add_co_u32_e32 v0, vcc, s26, v0
	v_addc_co_u32_e32 v1, vcc, v10, v1, vcc
	v_mov_b32_e32 v22, v2
	v_mov_b32_e32 v23, v6
	global_store_dwordx2 v[0:1], v[22:23], off
.LBB56_79:
	s_or_b64 exec, exec, s[4:5]
	v_cmp_gt_i32_e32 vcc, s30, v21
	s_and_b64 exec, exec, vcc
	s_cbranch_execz .LBB56_73
; %bb.80:
	v_cndmask_b32_e64 v0, 0, 1, s[10:11]
	v_cmp_ne_u32_e64 s[4:5], 1, v0
	s_andn2_b64 vcc, exec, s[10:11]
	v_mov_b32_e32 v1, 1.0
	s_cbranch_vccnz .LBB56_82
; %bb.81:
	v_div_scale_f32 v0, s[10:11], v11, v11, 1.0
	v_div_scale_f32 v1, vcc, 1.0, v11, 1.0
	v_rcp_f32_e32 v2, v0
	v_fma_f32 v6, -v0, v2, 1.0
	v_fmac_f32_e32 v2, v6, v2
	v_mul_f32_e32 v6, v1, v2
	v_fma_f32 v10, -v0, v6, v1
	v_fmac_f32_e32 v6, v10, v2
	v_fma_f32 v0, -v0, v6, v1
	v_div_fmas_f32 v0, v0, v2, v6
	v_div_fixup_f32 v1, v0, v11, 1.0
.LBB56_82:
	v_add_u32_e32 v0, s12, v19
	v_mul_lo_u32 v0, v0, s31
	v_cvt_f32_f16_e32 v2, v32
	v_cvt_f32_f16_sdwa v6, v32 dst_sel:DWORD dst_unused:UNUSED_PAD src0_sel:WORD_1
	v_cvt_f32_f16_e32 v21, v38
	v_add_u32_e32 v0, s34, v0
	v_mul_lo_u32 v0, s8, v0
	v_cvt_f32_f16_sdwa v22, v38 dst_sel:DWORD dst_unused:UNUSED_PAD src0_sel:WORD_1
	v_mov_b32_e32 v11, 0
	v_mul_f32_e32 v19, v1, v2
	v_add_u32_e32 v0, s9, v0
	v_lshl_add_u32 v10, v0, 7, v18
	v_mul_f32_e32 v20, v1, v6
	v_mul_f32_e32 v21, v1, v21
	;; [unrolled: 1-line block ×3, first 2 shown]
	v_lshlrev_b64 v[1:2], 2, v[10:11]
	v_mov_b32_e32 v6, s25
	v_add_co_u32_e32 v1, vcc, s24, v1
	v_addc_co_u32_e32 v2, vcc, v6, v2, vcc
	global_store_dwordx4 v[1:2], v[19:22], off
	s_and_saveexec_b64 s[10:11], s[6:7]
	s_cbranch_execz .LBB56_84
; %bb.83:
	v_ashrrev_i32_e32 v1, 31, v0
	v_lshlrev_b64 v[0:1], 3, v[0:1]
	v_mov_b32_e32 v2, s27
	v_add_co_u32_e32 v0, vcc, s26, v0
	v_addc_co_u32_e32 v1, vcc, v2, v1, vcc
	v_mov_b32_e32 v6, v3
	global_store_dwordx2 v[0:1], v[6:7], off
.LBB56_84:
	s_or_b64 exec, exec, s[10:11]
	v_cmp_gt_i32_e32 vcc, s30, v17
	s_and_b64 exec, exec, vcc
	s_cbranch_execz .LBB56_73
; %bb.85:
	s_and_b64 vcc, exec, s[4:5]
	v_mov_b32_e32 v1, 1.0
	s_cbranch_vccnz .LBB56_87
; %bb.86:
	v_div_scale_f32 v0, s[10:11], v12, v12, 1.0
	v_div_scale_f32 v1, vcc, 1.0, v12, 1.0
	v_rcp_f32_e32 v2, v0
	v_fma_f32 v3, -v0, v2, 1.0
	v_fmac_f32_e32 v2, v3, v2
	v_mul_f32_e32 v3, v1, v2
	v_fma_f32 v6, -v0, v3, v1
	v_fmac_f32_e32 v3, v6, v2
	v_fma_f32 v0, -v0, v3, v1
	v_div_fmas_f32 v0, v0, v2, v3
	v_div_fixup_f32 v1, v0, v12, 1.0
.LBB56_87:
	v_add_u32_e32 v0, s12, v16
	v_mul_lo_u32 v0, v0, s31
	v_cvt_f32_f16_e32 v2, v30
	v_cvt_f32_f16_sdwa v6, v30 dst_sel:DWORD dst_unused:UNUSED_PAD src0_sel:WORD_1
	v_cvt_f32_f16_e32 v7, v33
	v_add_u32_e32 v0, s34, v0
	v_mul_lo_u32 v0, s8, v0
	v_cvt_f32_f16_sdwa v10, v33 dst_sel:DWORD dst_unused:UNUSED_PAD src0_sel:WORD_1
	v_mov_b32_e32 v3, 0
	v_mul_f32_e32 v19, v1, v2
	v_add_u32_e32 v0, s9, v0
	v_lshl_add_u32 v2, v0, 7, v18
	v_mul_f32_e32 v20, v1, v6
	v_mul_f32_e32 v21, v1, v7
	;; [unrolled: 1-line block ×3, first 2 shown]
	v_lshlrev_b64 v[1:2], 2, v[2:3]
	v_mov_b32_e32 v3, s25
	v_add_co_u32_e32 v1, vcc, s24, v1
	v_addc_co_u32_e32 v2, vcc, v3, v2, vcc
	global_store_dwordx4 v[1:2], v[19:22], off
	s_and_saveexec_b64 s[10:11], s[6:7]
	s_cbranch_execz .LBB56_89
; %bb.88:
	v_ashrrev_i32_e32 v1, 31, v0
	v_lshlrev_b64 v[0:1], 3, v[0:1]
	v_mov_b32_e32 v2, s27
	v_add_co_u32_e32 v0, vcc, s26, v0
	v_addc_co_u32_e32 v1, vcc, v2, v1, vcc
	v_mov_b32_e32 v7, v4
	global_store_dwordx2 v[0:1], v[7:8], off
.LBB56_89:
	s_or_b64 exec, exec, s[10:11]
	v_cmp_gt_i32_e32 vcc, s30, v15
	s_and_b64 exec, exec, vcc
	s_cbranch_execz .LBB56_73
; %bb.90:
	s_and_b64 vcc, exec, s[4:5]
	v_mov_b32_e32 v1, 1.0
	s_cbranch_vccnz .LBB56_92
; %bb.91:
	v_div_scale_f32 v0, s[4:5], v13, v13, 1.0
	v_div_scale_f32 v1, vcc, 1.0, v13, 1.0
	v_rcp_f32_e32 v2, v0
	v_fma_f32 v3, -v0, v2, 1.0
	v_fmac_f32_e32 v2, v3, v2
	v_mul_f32_e32 v3, v1, v2
	v_fma_f32 v4, -v0, v3, v1
	v_fmac_f32_e32 v3, v4, v2
	v_fma_f32 v0, -v0, v3, v1
	v_div_fmas_f32 v0, v0, v2, v3
	v_div_fixup_f32 v1, v0, v13, 1.0
.LBB56_92:
	v_add_u32_e32 v0, s12, v14
	v_mul_lo_u32 v0, v0, s31
	v_cvt_f32_f16_e32 v2, v29
	v_cvt_f32_f16_sdwa v4, v29 dst_sel:DWORD dst_unused:UNUSED_PAD src0_sel:WORD_1
	v_cvt_f32_f16_e32 v6, v27
	v_add_u32_e32 v0, s34, v0
	v_mul_lo_u32 v0, s8, v0
	v_cvt_f32_f16_sdwa v7, v27 dst_sel:DWORD dst_unused:UNUSED_PAD src0_sel:WORD_1
	v_mov_b32_e32 v3, 0
	v_mul_f32_e32 v10, v1, v2
	v_add_u32_e32 v0, s9, v0
	v_lshl_add_u32 v2, v0, 7, v18
	v_mul_f32_e32 v11, v1, v4
	v_mul_f32_e32 v12, v1, v6
	;; [unrolled: 1-line block ×3, first 2 shown]
	v_lshlrev_b64 v[1:2], 2, v[2:3]
	v_mov_b32_e32 v3, s25
	v_add_co_u32_e32 v1, vcc, s24, v1
	v_addc_co_u32_e32 v2, vcc, v3, v2, vcc
	global_store_dwordx4 v[1:2], v[10:13], off
	s_and_b64 exec, exec, s[6:7]
	s_cbranch_execz .LBB56_73
; %bb.93:
	v_ashrrev_i32_e32 v1, 31, v0
	v_lshlrev_b64 v[0:1], 3, v[0:1]
	v_mov_b32_e32 v2, s27
	v_add_co_u32_e32 v0, vcc, s26, v0
	v_addc_co_u32_e32 v1, vcc, v2, v1, vcc
	v_mov_b32_e32 v8, v5
	global_store_dwordx2 v[0:1], v[8:9], off
	s_endpgm
	.section	.rodata,"a",@progbits
	.p2align	6, 0x0
	.amdhsa_kernel _ZL15flash_attn_tileILi128ELi128ELi32ELi1ELb0EEvPKcS1_S1_S1_S1_PKiPfP15HIP_vector_typeIfLj2EEffffjfiS5_IjLj3EEiiiiiiiiiiiliiliiiiil
		.amdhsa_group_segment_fixed_size 21504
		.amdhsa_private_segment_fixed_size 32
		.amdhsa_kernarg_size 464
		.amdhsa_user_sgpr_count 8
		.amdhsa_user_sgpr_private_segment_buffer 1
		.amdhsa_user_sgpr_dispatch_ptr 0
		.amdhsa_user_sgpr_queue_ptr 0
		.amdhsa_user_sgpr_kernarg_segment_ptr 1
		.amdhsa_user_sgpr_dispatch_id 0
		.amdhsa_user_sgpr_flat_scratch_init 1
		.amdhsa_user_sgpr_private_segment_size 0
		.amdhsa_uses_dynamic_stack 0
		.amdhsa_system_sgpr_private_segment_wavefront_offset 1
		.amdhsa_system_sgpr_workgroup_id_x 1
		.amdhsa_system_sgpr_workgroup_id_y 1
		.amdhsa_system_sgpr_workgroup_id_z 1
		.amdhsa_system_sgpr_workgroup_info 0
		.amdhsa_system_vgpr_workitem_id 1
		.amdhsa_next_free_vgpr 109
		.amdhsa_next_free_sgpr 96
		.amdhsa_reserve_vcc 1
		.amdhsa_reserve_flat_scratch 1
		.amdhsa_float_round_mode_32 0
		.amdhsa_float_round_mode_16_64 0
		.amdhsa_float_denorm_mode_32 3
		.amdhsa_float_denorm_mode_16_64 3
		.amdhsa_dx10_clamp 1
		.amdhsa_ieee_mode 1
		.amdhsa_fp16_overflow 0
		.amdhsa_exception_fp_ieee_invalid_op 0
		.amdhsa_exception_fp_denorm_src 0
		.amdhsa_exception_fp_ieee_div_zero 0
		.amdhsa_exception_fp_ieee_overflow 0
		.amdhsa_exception_fp_ieee_underflow 0
		.amdhsa_exception_fp_ieee_inexact 0
		.amdhsa_exception_int_div_zero 0
	.end_amdhsa_kernel
	.section	.text._ZL15flash_attn_tileILi128ELi128ELi32ELi1ELb0EEvPKcS1_S1_S1_S1_PKiPfP15HIP_vector_typeIfLj2EEffffjfiS5_IjLj3EEiiiiiiiiiiiliiliiiiil,"axG",@progbits,_ZL15flash_attn_tileILi128ELi128ELi32ELi1ELb0EEvPKcS1_S1_S1_S1_PKiPfP15HIP_vector_typeIfLj2EEffffjfiS5_IjLj3EEiiiiiiiiiiiliiliiiiil,comdat
.Lfunc_end56:
	.size	_ZL15flash_attn_tileILi128ELi128ELi32ELi1ELb0EEvPKcS1_S1_S1_S1_PKiPfP15HIP_vector_typeIfLj2EEffffjfiS5_IjLj3EEiiiiiiiiiiiliiliiiiil, .Lfunc_end56-_ZL15flash_attn_tileILi128ELi128ELi32ELi1ELb0EEvPKcS1_S1_S1_S1_PKiPfP15HIP_vector_typeIfLj2EEffffjfiS5_IjLj3EEiiiiiiiiiiiliiliiiiil
                                        ; -- End function
	.set _ZL15flash_attn_tileILi128ELi128ELi32ELi1ELb0EEvPKcS1_S1_S1_S1_PKiPfP15HIP_vector_typeIfLj2EEffffjfiS5_IjLj3EEiiiiiiiiiiiliiliiiiil.num_vgpr, 109
	.set _ZL15flash_attn_tileILi128ELi128ELi32ELi1ELb0EEvPKcS1_S1_S1_S1_PKiPfP15HIP_vector_typeIfLj2EEffffjfiS5_IjLj3EEiiiiiiiiiiiliiliiiiil.num_agpr, 0
	.set _ZL15flash_attn_tileILi128ELi128ELi32ELi1ELb0EEvPKcS1_S1_S1_S1_PKiPfP15HIP_vector_typeIfLj2EEffffjfiS5_IjLj3EEiiiiiiiiiiiliiliiiiil.numbered_sgpr, 52
	.set _ZL15flash_attn_tileILi128ELi128ELi32ELi1ELb0EEvPKcS1_S1_S1_S1_PKiPfP15HIP_vector_typeIfLj2EEffffjfiS5_IjLj3EEiiiiiiiiiiiliiliiiiil.num_named_barrier, 0
	.set _ZL15flash_attn_tileILi128ELi128ELi32ELi1ELb0EEvPKcS1_S1_S1_S1_PKiPfP15HIP_vector_typeIfLj2EEffffjfiS5_IjLj3EEiiiiiiiiiiiliiliiiiil.private_seg_size, 32
	.set _ZL15flash_attn_tileILi128ELi128ELi32ELi1ELb0EEvPKcS1_S1_S1_S1_PKiPfP15HIP_vector_typeIfLj2EEffffjfiS5_IjLj3EEiiiiiiiiiiiliiliiiiil.uses_vcc, 1
	.set _ZL15flash_attn_tileILi128ELi128ELi32ELi1ELb0EEvPKcS1_S1_S1_S1_PKiPfP15HIP_vector_typeIfLj2EEffffjfiS5_IjLj3EEiiiiiiiiiiiliiliiiiil.uses_flat_scratch, 1
	.set _ZL15flash_attn_tileILi128ELi128ELi32ELi1ELb0EEvPKcS1_S1_S1_S1_PKiPfP15HIP_vector_typeIfLj2EEffffjfiS5_IjLj3EEiiiiiiiiiiiliiliiiiil.has_dyn_sized_stack, 0
	.set _ZL15flash_attn_tileILi128ELi128ELi32ELi1ELb0EEvPKcS1_S1_S1_S1_PKiPfP15HIP_vector_typeIfLj2EEffffjfiS5_IjLj3EEiiiiiiiiiiiliiliiiiil.has_recursion, 0
	.set _ZL15flash_attn_tileILi128ELi128ELi32ELi1ELb0EEvPKcS1_S1_S1_S1_PKiPfP15HIP_vector_typeIfLj2EEffffjfiS5_IjLj3EEiiiiiiiiiiiliiliiiiil.has_indirect_call, 0
	.section	.AMDGPU.csdata,"",@progbits
; Kernel info:
; codeLenInByte = 35968
; TotalNumSgprs: 58
; NumVgprs: 109
; ScratchSize: 32
; MemoryBound: 0
; FloatMode: 240
; IeeeMode: 1
; LDSByteSize: 21504 bytes/workgroup (compile time only)
; SGPRBlocks: 12
; VGPRBlocks: 27
; NumSGPRsForWavesPerEU: 102
; NumVGPRsForWavesPerEU: 109
; Occupancy: 2
; WaveLimiterHint : 1
; COMPUTE_PGM_RSRC2:SCRATCH_EN: 1
; COMPUTE_PGM_RSRC2:USER_SGPR: 8
; COMPUTE_PGM_RSRC2:TRAP_HANDLER: 0
; COMPUTE_PGM_RSRC2:TGID_X_EN: 1
; COMPUTE_PGM_RSRC2:TGID_Y_EN: 1
; COMPUTE_PGM_RSRC2:TGID_Z_EN: 1
; COMPUTE_PGM_RSRC2:TIDIG_COMP_CNT: 1
	.section	.text._ZL33flash_attn_stream_k_fixup_uniformILi128ELi32ELi1EEvPfPK15HIP_vector_typeIfLj2EEiiiiiiS1_IjLj3EES5_S5_,"axG",@progbits,_ZL33flash_attn_stream_k_fixup_uniformILi128ELi32ELi1EEvPfPK15HIP_vector_typeIfLj2EEiiiiiiS1_IjLj3EES5_S5_,comdat
	.globl	_ZL33flash_attn_stream_k_fixup_uniformILi128ELi32ELi1EEvPfPK15HIP_vector_typeIfLj2EEiiiiiiS1_IjLj3EES5_S5_ ; -- Begin function _ZL33flash_attn_stream_k_fixup_uniformILi128ELi32ELi1EEvPfPK15HIP_vector_typeIfLj2EEiiiiiiS1_IjLj3EES5_S5_
	.p2align	8
	.type	_ZL33flash_attn_stream_k_fixup_uniformILi128ELi32ELi1EEvPfPK15HIP_vector_typeIfLj2EEiiiiiiS1_IjLj3EES5_S5_,@function
_ZL33flash_attn_stream_k_fixup_uniformILi128ELi32ELi1EEvPfPK15HIP_vector_typeIfLj2EEiiiiiiS1_IjLj3EES5_S5_: ; @_ZL33flash_attn_stream_k_fixup_uniformILi128ELi32ELi1EEvPfPK15HIP_vector_typeIfLj2EEiiiiiiS1_IjLj3EES5_S5_
; %bb.0:
	s_load_dwordx8 s[12:19], s[4:5], 0x1c
	s_load_dwordx2 s[10:11], s[4:5], 0x10
	s_load_dwordx4 s[0:3], s[4:5], 0x3c
	s_waitcnt lgkmcnt(0)
	s_mul_hi_u32 s9, s15, s6
	s_add_i32 s9, s6, s9
	s_lshr_b32 s9, s9, s16
	s_mul_i32 s15, s9, s17
	s_sub_i32 s15, s6, s15
	s_mul_hi_u32 s16, s15, s18
	s_add_i32 s16, s15, s16
	s_lshr_b32 s16, s16, s19
	s_mul_i32 s0, s16, s0
	s_sub_i32 s0, s15, s0
	;; [unrolled: 5-line block ×3, first 2 shown]
	s_lshl_b32 s0, s17, 5
	s_add_i32 s0, s0, s7
	s_cmp_lt_i32 s0, s10
	s_cselect_b64 s[0:1], -1, 0
	s_add_i32 s2, s15, s8
	s_cmp_lt_i32 s2, s13
	s_cselect_b64 s[2:3], -1, 0
	s_and_b64 s[0:1], s[0:1], s[2:3]
	s_andn2_b64 vcc, exec, s[0:1]
	s_cbranch_vccnz .LBB57_6
; %bb.1:
	s_load_dwordx4 s[0:3], s[4:5], 0x0
	s_mul_i32 s4, s9, s10
	s_add_i32 s4, s4, s7
	s_mul_i32 s4, s4, s11
	s_mul_i32 s16, s16, s13
	s_add_i32 s4, s4, s8
	s_add_i32 s4, s4, s16
	s_mul_i32 s5, s11, s17
	s_add_i32 s4, s4, s15
	s_lshl_b32 s5, s5, 12
	s_lshl_b32 s4, s4, 7
	s_add_i32 s5, s5, s4
	v_or_b32_e32 v1, s5, v0
	v_ashrrev_i32_e32 v2, 31, v1
	v_lshlrev_b64 v[1:2], 2, v[1:2]
	s_waitcnt lgkmcnt(0)
	v_mov_b32_e32 v3, s1
	v_add_co_u32_e32 v1, vcc, s0, v1
	v_addc_co_u32_e32 v2, vcc, v3, v2, vcc
	global_load_dword v8, v[1:2], off
	s_add_i32 s4, s7, s8
	s_mul_i32 s7, s14, s6
	s_add_i32 s5, s7, s14
	s_lshl_b32 s0, s5, 5
	s_add_i32 s0, s4, s0
	s_sub_i32 s0, s0, 32
	s_ashr_i32 s1, s0, 31
	s_lshl_b64 s[0:1], s[0:1], 3
	s_add_u32 s0, s2, s0
	s_addc_u32 s1, s3, s1
	s_load_dword s10, s[0:1], 0x4
	s_add_i32 s8, s5, -2
	s_cmp_lt_i32 s8, s7
	s_cbranch_scc1 .LBB57_4
; %bb.2:
	s_lshl_b32 s8, s12, 7
	s_ashr_i32 s9, s8, 31
	s_lshl_b64 s[8:9], s[8:9], 2
	s_add_u32 s8, s2, s8
	s_addc_u32 s11, s3, s9
	s_add_i32 s6, s6, 1
	s_add_i32 s9, s5, -1
	s_mul_i32 s5, s14, s6
	s_load_dword s0, s[0:1], 0x0
	s_lshl_b32 s1, s4, 7
	s_lshl_b32 s6, s5, 12
	s_add_i32 s1, s1, s6
	v_or_b32_e32 v0, s1, v0
	s_lshl_b32 s1, s5, 5
	s_add_i32 s1, s4, s1
	s_lshl_b32 s4, s12, 5
	s_add_i32 s1, s1, s4
	v_add_u32_e32 v3, 0xffffe000, v0
	s_sub_i32 s4, s1, 64
	s_waitcnt lgkmcnt(0)
	v_mov_b32_e32 v7, s10
	v_mov_b32_e32 v6, s0
	v_mov_b32_e32 v0, s11
	s_mov_b32 s6, 0x3fb8aa3b
	s_mov_b32 s10, 0xc2ce8ed0
	;; [unrolled: 1-line block ×3, first 2 shown]
	v_mov_b32_e32 v5, 0x7f800000
	s_mov_b32 s12, 0xc1a00000
.LBB57_3:                               ; =>This Inner Loop Header: Depth=1
	v_ashrrev_i32_e32 v4, 31, v3
	v_lshlrev_b64 v[9:10], 2, v[3:4]
	s_ashr_i32 s5, s4, 31
	v_add_co_u32_e32 v9, vcc, s8, v9
	v_addc_co_u32_e32 v10, vcc, v0, v10, vcc
	global_load_dword v4, v[9:10], off
	s_lshl_b64 s[0:1], s[4:5], 3
	s_add_u32 s0, s2, s0
	s_addc_u32 s1, s3, s1
	s_load_dwordx2 s[14:15], s[0:1], 0x0
	s_waitcnt vmcnt(1)
	v_mov_b32_e32 v9, v8
	v_max_f32_e32 v8, v6, v6
	v_mov_b32_e32 v10, v7
	s_add_i32 s9, s9, -1
	s_waitcnt lgkmcnt(0)
	v_max_f32_e64 v7, s14, s14
	v_max_f32_e32 v7, v8, v7
	v_sub_f32_e32 v11, s14, v7
	v_sub_f32_e32 v8, v6, v7
	v_mul_f32_e32 v12, 0x3fb8aa3b, v11
	v_mov_b32_e32 v6, v7
	v_mul_f32_e32 v7, 0x3fb8aa3b, v8
	v_fma_f32 v15, v11, s6, -v12
	v_rndne_f32_e32 v16, v12
	v_fma_f32 v13, v8, s6, -v7
	v_rndne_f32_e32 v14, v7
	v_fmac_f32_e32 v15, 0x32a5705f, v11
	v_sub_f32_e32 v12, v12, v16
	v_fmac_f32_e32 v13, 0x32a5705f, v8
	v_sub_f32_e32 v7, v7, v14
	v_add_f32_e32 v12, v12, v15
	v_cvt_i32_f32_e32 v16, v16
	v_add_f32_e32 v7, v7, v13
	v_exp_f32_e32 v12, v12
	v_cvt_i32_f32_e32 v14, v14
	v_exp_f32_e32 v7, v7
	v_cmp_ngt_f32_e32 vcc, s10, v11
	v_ldexp_f32 v12, v12, v16
	v_cmp_ngt_f32_e64 s[0:1], s10, v8
	v_ldexp_f32 v7, v7, v14
	v_cndmask_b32_e32 v12, 0, v12, vcc
	v_cmp_nlt_f32_e32 vcc, s11, v11
	v_cndmask_b32_e64 v7, 0, v7, s[0:1]
	v_cmp_nlt_f32_e64 s[0:1], s11, v8
	v_cndmask_b32_e32 v12, v5, v12, vcc
	v_cmp_le_f32_e32 vcc, s12, v11
	v_cndmask_b32_e64 v7, v5, v7, s[0:1]
	v_cmp_le_f32_e64 s[0:1], s12, v8
	v_cndmask_b32_e32 v8, 0, v12, vcc
	s_sub_i32 s4, s4, 32
	v_cndmask_b32_e64 v11, 0, v7, s[0:1]
	v_mul_f32_e32 v7, s15, v8
	v_add_u32_e32 v3, 0xfffff000, v3
	s_cmp_le_i32 s9, s7
	v_fmac_f32_e32 v7, v10, v11
	s_waitcnt vmcnt(0)
	v_mul_f32_e32 v8, v4, v8
	v_fmac_f32_e32 v8, v9, v11
	s_cbranch_scc0 .LBB57_3
	s_branch .LBB57_5
.LBB57_4:
	s_waitcnt lgkmcnt(0)
	v_mov_b32_e32 v7, s10
.LBB57_5:
	s_waitcnt vmcnt(0)
	v_div_scale_f32 v0, s[0:1], v7, v7, v8
	v_div_scale_f32 v3, vcc, v8, v7, v8
	v_rcp_f32_e32 v4, v0
	v_fma_f32 v5, -v0, v4, 1.0
	v_fmac_f32_e32 v4, v5, v4
	v_mul_f32_e32 v5, v3, v4
	v_fma_f32 v6, -v0, v5, v3
	v_fmac_f32_e32 v5, v6, v4
	v_fma_f32 v0, -v0, v5, v3
	v_div_fmas_f32 v0, v0, v4, v5
	v_div_fixup_f32 v0, v0, v7, v8
	global_store_dword v[1:2], v0, off
.LBB57_6:
	s_endpgm
	.section	.rodata,"a",@progbits
	.p2align	6, 0x0
	.amdhsa_kernel _ZL33flash_attn_stream_k_fixup_uniformILi128ELi32ELi1EEvPfPK15HIP_vector_typeIfLj2EEiiiiiiS1_IjLj3EES5_S5_
		.amdhsa_group_segment_fixed_size 0
		.amdhsa_private_segment_fixed_size 0
		.amdhsa_kernarg_size 76
		.amdhsa_user_sgpr_count 6
		.amdhsa_user_sgpr_private_segment_buffer 1
		.amdhsa_user_sgpr_dispatch_ptr 0
		.amdhsa_user_sgpr_queue_ptr 0
		.amdhsa_user_sgpr_kernarg_segment_ptr 1
		.amdhsa_user_sgpr_dispatch_id 0
		.amdhsa_user_sgpr_flat_scratch_init 0
		.amdhsa_user_sgpr_private_segment_size 0
		.amdhsa_uses_dynamic_stack 0
		.amdhsa_system_sgpr_private_segment_wavefront_offset 0
		.amdhsa_system_sgpr_workgroup_id_x 1
		.amdhsa_system_sgpr_workgroup_id_y 1
		.amdhsa_system_sgpr_workgroup_id_z 1
		.amdhsa_system_sgpr_workgroup_info 0
		.amdhsa_system_vgpr_workitem_id 0
		.amdhsa_next_free_vgpr 17
		.amdhsa_next_free_sgpr 20
		.amdhsa_reserve_vcc 1
		.amdhsa_reserve_flat_scratch 0
		.amdhsa_float_round_mode_32 0
		.amdhsa_float_round_mode_16_64 0
		.amdhsa_float_denorm_mode_32 3
		.amdhsa_float_denorm_mode_16_64 3
		.amdhsa_dx10_clamp 1
		.amdhsa_ieee_mode 1
		.amdhsa_fp16_overflow 0
		.amdhsa_exception_fp_ieee_invalid_op 0
		.amdhsa_exception_fp_denorm_src 0
		.amdhsa_exception_fp_ieee_div_zero 0
		.amdhsa_exception_fp_ieee_overflow 0
		.amdhsa_exception_fp_ieee_underflow 0
		.amdhsa_exception_fp_ieee_inexact 0
		.amdhsa_exception_int_div_zero 0
	.end_amdhsa_kernel
	.section	.text._ZL33flash_attn_stream_k_fixup_uniformILi128ELi32ELi1EEvPfPK15HIP_vector_typeIfLj2EEiiiiiiS1_IjLj3EES5_S5_,"axG",@progbits,_ZL33flash_attn_stream_k_fixup_uniformILi128ELi32ELi1EEvPfPK15HIP_vector_typeIfLj2EEiiiiiiS1_IjLj3EES5_S5_,comdat
.Lfunc_end57:
	.size	_ZL33flash_attn_stream_k_fixup_uniformILi128ELi32ELi1EEvPfPK15HIP_vector_typeIfLj2EEiiiiiiS1_IjLj3EES5_S5_, .Lfunc_end57-_ZL33flash_attn_stream_k_fixup_uniformILi128ELi32ELi1EEvPfPK15HIP_vector_typeIfLj2EEiiiiiiS1_IjLj3EES5_S5_
                                        ; -- End function
	.set _ZL33flash_attn_stream_k_fixup_uniformILi128ELi32ELi1EEvPfPK15HIP_vector_typeIfLj2EEiiiiiiS1_IjLj3EES5_S5_.num_vgpr, 17
	.set _ZL33flash_attn_stream_k_fixup_uniformILi128ELi32ELi1EEvPfPK15HIP_vector_typeIfLj2EEiiiiiiS1_IjLj3EES5_S5_.num_agpr, 0
	.set _ZL33flash_attn_stream_k_fixup_uniformILi128ELi32ELi1EEvPfPK15HIP_vector_typeIfLj2EEiiiiiiS1_IjLj3EES5_S5_.numbered_sgpr, 20
	.set _ZL33flash_attn_stream_k_fixup_uniformILi128ELi32ELi1EEvPfPK15HIP_vector_typeIfLj2EEiiiiiiS1_IjLj3EES5_S5_.num_named_barrier, 0
	.set _ZL33flash_attn_stream_k_fixup_uniformILi128ELi32ELi1EEvPfPK15HIP_vector_typeIfLj2EEiiiiiiS1_IjLj3EES5_S5_.private_seg_size, 0
	.set _ZL33flash_attn_stream_k_fixup_uniformILi128ELi32ELi1EEvPfPK15HIP_vector_typeIfLj2EEiiiiiiS1_IjLj3EES5_S5_.uses_vcc, 1
	.set _ZL33flash_attn_stream_k_fixup_uniformILi128ELi32ELi1EEvPfPK15HIP_vector_typeIfLj2EEiiiiiiS1_IjLj3EES5_S5_.uses_flat_scratch, 0
	.set _ZL33flash_attn_stream_k_fixup_uniformILi128ELi32ELi1EEvPfPK15HIP_vector_typeIfLj2EEiiiiiiS1_IjLj3EES5_S5_.has_dyn_sized_stack, 0
	.set _ZL33flash_attn_stream_k_fixup_uniformILi128ELi32ELi1EEvPfPK15HIP_vector_typeIfLj2EEiiiiiiS1_IjLj3EES5_S5_.has_recursion, 0
	.set _ZL33flash_attn_stream_k_fixup_uniformILi128ELi32ELi1EEvPfPK15HIP_vector_typeIfLj2EEiiiiiiS1_IjLj3EES5_S5_.has_indirect_call, 0
	.section	.AMDGPU.csdata,"",@progbits
; Kernel info:
; codeLenInByte = 836
; TotalNumSgprs: 24
; NumVgprs: 17
; ScratchSize: 0
; MemoryBound: 0
; FloatMode: 240
; IeeeMode: 1
; LDSByteSize: 0 bytes/workgroup (compile time only)
; SGPRBlocks: 2
; VGPRBlocks: 4
; NumSGPRsForWavesPerEU: 24
; NumVGPRsForWavesPerEU: 17
; Occupancy: 10
; WaveLimiterHint : 0
; COMPUTE_PGM_RSRC2:SCRATCH_EN: 0
; COMPUTE_PGM_RSRC2:USER_SGPR: 6
; COMPUTE_PGM_RSRC2:TRAP_HANDLER: 0
; COMPUTE_PGM_RSRC2:TGID_X_EN: 1
; COMPUTE_PGM_RSRC2:TGID_Y_EN: 1
; COMPUTE_PGM_RSRC2:TGID_Z_EN: 1
; COMPUTE_PGM_RSRC2:TIDIG_COMP_CNT: 0
	.section	.text._ZL33flash_attn_stream_k_fixup_generalILi128ELi32ELi1EEvPfPK15HIP_vector_typeIfLj2EEiiiiS1_IjLj3EES5_S5_S5_,"axG",@progbits,_ZL33flash_attn_stream_k_fixup_generalILi128ELi32ELi1EEvPfPK15HIP_vector_typeIfLj2EEiiiiS1_IjLj3EES5_S5_S5_,comdat
	.globl	_ZL33flash_attn_stream_k_fixup_generalILi128ELi32ELi1EEvPfPK15HIP_vector_typeIfLj2EEiiiiS1_IjLj3EES5_S5_S5_ ; -- Begin function _ZL33flash_attn_stream_k_fixup_generalILi128ELi32ELi1EEvPfPK15HIP_vector_typeIfLj2EEiiiiS1_IjLj3EES5_S5_S5_
	.p2align	8
	.type	_ZL33flash_attn_stream_k_fixup_generalILi128ELi32ELi1EEvPfPK15HIP_vector_typeIfLj2EEiiiiS1_IjLj3EES5_S5_S5_,@function
_ZL33flash_attn_stream_k_fixup_generalILi128ELi32ELi1EEvPfPK15HIP_vector_typeIfLj2EEiiiiS1_IjLj3EES5_S5_S5_: ; @_ZL33flash_attn_stream_k_fixup_generalILi128ELi32ELi1EEvPfPK15HIP_vector_typeIfLj2EEiiiiS1_IjLj3EES5_S5_S5_
; %bb.0:
	s_load_dwordx4 s[0:3], s[4:5], 0x10
	s_load_dword s22, s[4:5], 0x50
	s_mov_b32 s12, 0
	s_waitcnt lgkmcnt(0)
	s_mul_hi_i32 s13, s3, s6
	s_cmp_lg_u64 s[12:13], 0
	s_mul_i32 s9, s3, s6
	s_cbranch_scc0 .LBB58_20
; %bb.1:
	s_add_u32 s10, s22, 0
	s_addc_u32 s11, 0, 0
	s_xor_b64 s[10:11], s[10:11], 0
	v_cvt_f32_u32_e32 v1, s10
	v_cvt_f32_u32_e32 v2, s11
	s_sub_u32 s12, 0, s10
	s_subb_u32 s18, 0, s11
	v_madmk_f32 v1, v2, 0x4f800000, v1
	v_rcp_f32_e32 v1, v1
	v_mul_f32_e32 v1, 0x5f7ffffc, v1
	v_mul_f32_e32 v2, 0x2f800000, v1
	v_trunc_f32_e32 v2, v2
	v_madmk_f32 v1, v2, 0xcf800000, v1
	v_cvt_u32_f32_e32 v2, v2
	v_cvt_u32_f32_e32 v1, v1
	v_readfirstlane_b32 s19, v2
	v_readfirstlane_b32 s14, v1
	s_mul_i32 s15, s12, s19
	s_mul_hi_u32 s21, s12, s14
	s_mul_i32 s20, s18, s14
	s_add_i32 s15, s21, s15
	s_add_i32 s15, s15, s20
	s_mul_i32 s23, s12, s14
	s_mul_i32 s21, s14, s15
	s_mul_hi_u32 s24, s14, s23
	s_mul_hi_u32 s20, s14, s15
	s_add_u32 s21, s24, s21
	s_addc_u32 s20, 0, s20
	s_mul_hi_u32 s25, s19, s23
	s_mul_i32 s23, s19, s23
	s_add_u32 s21, s21, s23
	s_mul_hi_u32 s24, s19, s15
	s_addc_u32 s20, s20, s25
	s_addc_u32 s21, s24, 0
	s_mul_i32 s15, s19, s15
	s_add_u32 s15, s20, s15
	s_addc_u32 s20, 0, s21
	s_add_u32 s21, s14, s15
	s_cselect_b64 s[14:15], -1, 0
	s_cmp_lg_u64 s[14:15], 0
	s_addc_u32 s19, s19, s20
	s_mul_i32 s14, s12, s19
	s_mul_hi_u32 s15, s12, s21
	s_add_i32 s14, s15, s14
	s_mul_i32 s18, s18, s21
	s_add_i32 s14, s14, s18
	s_mul_i32 s12, s12, s21
	s_mul_hi_u32 s18, s19, s12
	s_mul_i32 s20, s19, s12
	s_mul_i32 s24, s21, s14
	s_mul_hi_u32 s12, s21, s12
	s_mul_hi_u32 s23, s21, s14
	s_add_u32 s12, s12, s24
	s_addc_u32 s23, 0, s23
	s_add_u32 s12, s12, s20
	s_mul_hi_u32 s15, s19, s14
	s_addc_u32 s12, s23, s18
	s_addc_u32 s15, s15, 0
	s_mul_i32 s14, s19, s14
	s_add_u32 s12, s12, s14
	s_addc_u32 s18, 0, s15
	s_add_u32 s20, s21, s12
	s_cselect_b64 s[14:15], -1, 0
	s_cmp_lg_u64 s[14:15], 0
	s_addc_u32 s18, s19, s18
	s_ashr_i32 s14, s13, 31
	s_add_u32 s12, s9, s14
	s_mov_b32 s15, s14
	s_addc_u32 s13, s13, s14
	s_xor_b64 s[12:13], s[12:13], s[14:15]
	s_mul_i32 s21, s12, s18
	s_mul_hi_u32 s23, s12, s20
	s_mul_hi_u32 s19, s12, s18
	s_add_u32 s21, s23, s21
	s_addc_u32 s19, 0, s19
	s_mul_hi_u32 s24, s13, s20
	s_mul_i32 s20, s13, s20
	s_add_u32 s20, s21, s20
	s_mul_hi_u32 s23, s13, s18
	s_addc_u32 s19, s19, s24
	s_addc_u32 s20, s23, 0
	s_mul_i32 s18, s13, s18
	s_add_u32 s23, s19, s18
	s_addc_u32 s24, 0, s20
	s_mul_i32 s18, s10, s24
	s_mul_hi_u32 s19, s10, s23
	s_add_i32 s18, s19, s18
	s_mul_i32 s19, s11, s23
	s_add_i32 s25, s18, s19
	s_sub_i32 s20, s13, s25
	s_mul_i32 s18, s10, s23
	s_sub_u32 s12, s12, s18
	s_cselect_b64 s[18:19], -1, 0
	s_cmp_lg_u64 s[18:19], 0
	s_subb_u32 s26, s20, s11
	s_sub_u32 s27, s12, s10
	s_cselect_b64 s[20:21], -1, 0
	s_cmp_lg_u64 s[20:21], 0
	s_subb_u32 s20, s26, 0
	s_cmp_ge_u32 s20, s11
	s_cselect_b32 s21, -1, 0
	s_cmp_ge_u32 s27, s10
	s_cselect_b32 s26, -1, 0
	s_cmp_eq_u32 s20, s11
	s_cselect_b32 s20, s26, s21
	s_add_u32 s21, s23, 1
	s_addc_u32 s26, s24, 0
	s_add_u32 s27, s23, 2
	s_addc_u32 s28, s24, 0
	s_cmp_lg_u32 s20, 0
	s_cselect_b32 s20, s27, s21
	s_cselect_b32 s21, s28, s26
	s_cmp_lg_u64 s[18:19], 0
	s_subb_u32 s13, s13, s25
	s_cmp_ge_u32 s13, s11
	s_cselect_b32 s18, -1, 0
	s_cmp_ge_u32 s12, s10
	s_cselect_b32 s10, -1, 0
	s_cmp_eq_u32 s13, s11
	s_cselect_b32 s10, s10, s18
	s_cmp_lg_u32 s10, 0
	s_cselect_b32 s11, s21, s24
	s_cselect_b32 s10, s20, s23
	s_xor_b64 s[12:13], s[14:15], 0
	s_xor_b64 s[10:11], s[10:11], s[12:13]
	s_sub_u32 s10, s10, s12
	s_load_dwordx4 s[12:15], s[4:5], 0x44
	s_cbranch_execnz .LBB58_3
.LBB58_2:
	v_cvt_f32_u32_e32 v1, s22
	s_sub_i32 s10, 0, s22
	v_rcp_iflag_f32_e32 v1, v1
	v_mul_f32_e32 v1, 0x4f7ffffe, v1
	v_cvt_u32_f32_e32 v1, v1
	v_readfirstlane_b32 s11, v1
	s_mul_i32 s10, s10, s11
	s_mul_hi_u32 s10, s11, s10
	s_add_i32 s11, s11, s10
	s_mul_hi_u32 s10, s9, s11
	s_waitcnt lgkmcnt(0)
	s_mul_i32 s15, s10, s22
	s_sub_i32 s9, s9, s15
	s_add_i32 s11, s10, 1
	s_sub_i32 s15, s9, s22
	s_cmp_ge_u32 s9, s22
	s_cselect_b32 s10, s11, s10
	s_cselect_b32 s9, s15, s9
	s_add_i32 s11, s10, 1
	s_cmp_ge_u32 s9, s22
	s_cselect_b32 s10, s11, s10
.LBB58_3:
	s_add_i32 s9, s6, 1
	s_mul_hi_i32 s21, s3, s9
	s_mov_b32 s20, 0
	s_cmp_lg_u64 s[20:21], 0
	s_mul_i32 s9, s3, s9
	s_cbranch_scc0 .LBB58_21
; %bb.4:
	s_add_u32 s16, s22, 0
	s_addc_u32 s17, 0, 0
	s_xor_b64 s[18:19], s[16:17], 0
	v_cvt_f32_u32_e32 v1, s18
	v_cvt_f32_u32_e32 v2, s19
	s_sub_u32 s11, 0, s18
	s_waitcnt lgkmcnt(0)
	s_subb_u32 s15, 0, s19
	v_madmk_f32 v1, v2, 0x4f800000, v1
	v_rcp_f32_e32 v1, v1
	v_mul_f32_e32 v1, 0x5f7ffffc, v1
	v_mul_f32_e32 v2, 0x2f800000, v1
	v_trunc_f32_e32 v2, v2
	v_madmk_f32 v1, v2, 0xcf800000, v1
	v_cvt_u32_f32_e32 v2, v2
	v_cvt_u32_f32_e32 v1, v1
	v_readfirstlane_b32 s20, v2
	v_readfirstlane_b32 s23, v1
	s_mul_i32 s24, s11, s20
	s_mul_hi_u32 s26, s11, s23
	s_mul_i32 s25, s15, s23
	s_add_i32 s24, s26, s24
	s_add_i32 s24, s24, s25
	s_mul_i32 s27, s11, s23
	s_mul_i32 s26, s23, s24
	s_mul_hi_u32 s28, s23, s27
	s_mul_hi_u32 s25, s23, s24
	s_add_u32 s26, s28, s26
	s_addc_u32 s25, 0, s25
	s_mul_hi_u32 s29, s20, s27
	s_mul_i32 s27, s20, s27
	s_add_u32 s26, s26, s27
	s_mul_hi_u32 s28, s20, s24
	s_addc_u32 s25, s25, s29
	s_addc_u32 s26, s28, 0
	s_mul_i32 s24, s20, s24
	s_add_u32 s24, s25, s24
	s_addc_u32 s26, 0, s26
	s_add_u32 s23, s23, s24
	s_cselect_b64 s[24:25], -1, 0
	s_cmp_lg_u64 s[24:25], 0
	s_addc_u32 s20, s20, s26
	s_mul_i32 s24, s11, s20
	s_mul_hi_u32 s25, s11, s23
	s_add_i32 s24, s25, s24
	s_mul_i32 s15, s15, s23
	s_add_i32 s24, s24, s15
	s_mul_i32 s11, s11, s23
	s_mul_hi_u32 s25, s20, s11
	s_mul_i32 s26, s20, s11
	s_mul_i32 s28, s23, s24
	s_mul_hi_u32 s11, s23, s11
	s_mul_hi_u32 s27, s23, s24
	s_add_u32 s11, s11, s28
	s_addc_u32 s27, 0, s27
	s_add_u32 s11, s11, s26
	s_mul_hi_u32 s15, s20, s24
	s_addc_u32 s11, s27, s25
	s_addc_u32 s15, s15, 0
	s_mul_i32 s24, s20, s24
	s_add_u32 s11, s11, s24
	s_addc_u32 s15, 0, s15
	s_add_u32 s11, s23, s11
	s_cselect_b64 s[24:25], -1, 0
	s_cmp_lg_u64 s[24:25], 0
	s_addc_u32 s15, s20, s15
	s_ashr_i32 s24, s21, 31
	s_add_u32 s20, s9, s24
	s_mov_b32 s25, s24
	s_addc_u32 s21, s21, s24
	s_xor_b64 s[20:21], s[20:21], s[24:25]
	s_mul_i32 s26, s20, s15
	s_mul_hi_u32 s27, s20, s11
	s_mul_hi_u32 s23, s20, s15
	s_add_u32 s26, s27, s26
	s_addc_u32 s23, 0, s23
	s_mul_hi_u32 s28, s21, s11
	s_mul_i32 s11, s21, s11
	s_add_u32 s11, s26, s11
	s_mul_hi_u32 s27, s21, s15
	s_addc_u32 s11, s23, s28
	s_addc_u32 s23, s27, 0
	s_mul_i32 s15, s21, s15
	s_add_u32 s11, s11, s15
	s_addc_u32 s15, 0, s23
	s_mul_i32 s23, s18, s15
	s_mul_hi_u32 s26, s18, s11
	s_add_i32 s23, s26, s23
	s_mul_i32 s26, s19, s11
	s_add_i32 s23, s23, s26
	s_sub_i32 s28, s21, s23
	s_mul_i32 s26, s18, s11
	s_sub_u32 s20, s20, s26
	s_cselect_b64 s[26:27], -1, 0
	s_cmp_lg_u64 s[26:27], 0
	s_subb_u32 s30, s28, s19
	s_sub_u32 s31, s20, s18
	s_cselect_b64 s[28:29], -1, 0
	s_cmp_lg_u64 s[28:29], 0
	s_subb_u32 s28, s30, 0
	s_cmp_ge_u32 s28, s19
	s_cselect_b32 s29, -1, 0
	s_cmp_ge_u32 s31, s18
	s_cselect_b32 s30, -1, 0
	s_cmp_eq_u32 s28, s19
	s_cselect_b32 s28, s30, s29
	s_add_u32 s29, s11, 1
	s_addc_u32 s30, s15, 0
	s_add_u32 s31, s11, 2
	s_addc_u32 s33, s15, 0
	s_cmp_lg_u32 s28, 0
	s_cselect_b32 s28, s31, s29
	s_cselect_b32 s29, s33, s30
	s_cmp_lg_u64 s[26:27], 0
	s_subb_u32 s21, s21, s23
	s_cmp_ge_u32 s21, s19
	s_cselect_b32 s23, -1, 0
	s_cmp_ge_u32 s20, s18
	s_cselect_b32 s18, -1, 0
	s_cmp_eq_u32 s21, s19
	s_cselect_b32 s18, s18, s23
	s_cmp_lg_u32 s18, 0
	s_cselect_b32 s19, s29, s15
	s_cselect_b32 s18, s28, s11
	s_xor_b64 s[20:21], s[24:25], 0
	s_xor_b64 s[18:19], s[18:19], s[20:21]
	s_sub_u32 s18, s18, s20
	s_cbranch_execnz .LBB58_6
.LBB58_5:
	v_cvt_f32_u32_e32 v1, s22
	s_sub_i32 s11, 0, s22
	v_rcp_iflag_f32_e32 v1, v1
	v_mul_f32_e32 v1, 0x4f7ffffe, v1
	v_cvt_u32_f32_e32 v1, v1
	s_waitcnt lgkmcnt(0)
	v_readfirstlane_b32 s15, v1
	s_mul_i32 s11, s11, s15
	s_mul_hi_u32 s11, s15, s11
	s_add_i32 s15, s15, s11
	s_mul_hi_u32 s11, s9, s15
	s_mul_i32 s16, s11, s22
	s_sub_i32 s9, s9, s16
	s_add_i32 s15, s11, 1
	s_sub_i32 s16, s9, s22
	s_cmp_ge_u32 s9, s22
	s_cselect_b32 s11, s15, s11
	s_cselect_b32 s9, s16, s9
	s_add_i32 s15, s11, 1
	s_cmp_ge_u32 s9, s22
	s_cselect_b32 s18, s15, s11
.LBB58_6:
	s_cmp_eq_u32 s10, s18
	s_waitcnt lgkmcnt(0)
	s_mul_hi_u32 s9, s10, s12
	s_cselect_b64 s[16:17], -1, 0
	s_add_i32 s9, s9, s10
	s_lshr_b32 s11, s9, s13
	s_mul_i32 s9, s11, s14
	s_cmp_eq_u32 s9, s10
	s_mul_hi_u32 s9, s18, s12
	s_cselect_b64 s[20:21], -1, 0
	s_add_i32 s9, s9, s18
	s_lshr_b32 s9, s9, s13
	s_cmp_eq_u32 s11, s9
	s_mul_i32 s9, s9, s14
	s_cselect_b64 s[24:25], -1, 0
	s_cmp_lg_u32 s9, s18
	s_cselect_b64 s[18:19], -1, 0
	s_and_b64 s[18:19], s[24:25], s[18:19]
	s_or_b64 s[16:17], s[16:17], s[20:21]
	s_or_b64 s[16:17], s[16:17], s[18:19]
	s_and_b64 vcc, exec, s[16:17]
	s_cbranch_vccnz .LBB58_23
; %bb.7:
	s_load_dwordx8 s[24:31], s[4:5], 0x20
	s_load_dword s15, s[4:5], 0x40
	s_waitcnt lgkmcnt(0)
	s_mul_hi_u32 s9, s10, s24
	s_add_i32 s9, s9, s10
	s_lshr_b32 s9, s9, s25
	s_mul_i32 s16, s9, s26
	s_sub_i32 s16, s10, s16
	s_mul_hi_u32 s17, s16, s27
	s_add_i32 s17, s16, s17
	s_lshr_b32 s24, s17, s28
	s_mul_i32 s17, s24, s29
	s_sub_i32 s16, s16, s17
	;; [unrolled: 5-line block ×3, first 2 shown]
	s_mul_hi_u32 s16, s15, s12
	s_add_i32 s15, s15, s16
	s_lshr_b32 s25, s15, s13
	s_lshl_b32 s15, s25, 5
	s_add_i32 s15, s15, s7
	s_cmp_lt_i32 s15, s0
	s_cselect_b64 s[16:17], -1, 0
	s_add_i32 s15, s23, s8
	s_cmp_lt_i32 s15, s2
	s_cselect_b64 s[18:19], -1, 0
	s_and_b64 s[16:17], s[16:17], s[18:19]
	s_andn2_b64 vcc, exec, s[16:17]
	s_cbranch_vccnz .LBB58_23
; %bb.8:
	s_load_dwordx4 s[16:19], s[4:5], 0x0
	s_mov_b32 s4, 0
	s_lshl_b32 s20, s22, 7
	s_mov_b32 s21, s4
	s_add_i32 s15, s7, s8
	s_lshl_b64 s[20:21], s[20:21], 2
	s_waitcnt lgkmcnt(0)
	s_add_u32 s20, s18, s20
	s_mul_i32 s0, s9, s0
	s_addc_u32 s21, s19, s21
	s_add_i32 s0, s0, s7
	s_mul_i32 s0, s0, s1
	s_mul_i32 s24, s24, s2
	s_add_i32 s0, s0, s8
	s_add_i32 s0, s0, s24
	s_mul_i32 s2, s1, s25
	s_add_i32 s0, s0, s23
	s_lshl_b32 s2, s2, 12
	s_lshl_b32 s0, s0, 7
	s_add_i32 s2, s2, s0
	v_or_b32_e32 v1, s2, v0
	v_ashrrev_i32_e32 v2, 31, v1
	v_lshlrev_b64 v[1:2], 2, v[1:2]
	v_mov_b32_e32 v3, s17
	v_add_co_u32_e32 v1, vcc, s16, v1
	v_addc_co_u32_e32 v2, vcc, v3, v2, vcc
	global_load_dword v3, v[1:2], off
	v_cvt_f32_u32_e32 v4, s22
	s_lshl_b32 s0, s6, 5
	s_add_i32 s0, s0, s15
	s_ashr_i32 s1, s0, 31
	s_lshl_b64 s[0:1], s[0:1], 3
	v_rcp_iflag_f32_e32 v4, v4
	s_add_u32 s0, s18, s0
	s_addc_u32 s1, s19, s1
	s_load_dwordx2 s[0:1], s[0:1], 0x0
	v_mul_f32_e32 v4, 0x4f7ffffe, v4
	v_cvt_u32_f32_e32 v4, v4
	s_add_i32 s24, s6, -1
	v_lshl_or_b32 v0, s15, 7, v0
	s_waitcnt lgkmcnt(0)
	v_mov_b32_e32 v6, s1
	v_mov_b32_e32 v7, s0
	s_mov_b32 s2, 0x3fb8aa3b
	s_mov_b32 s16, 0xc2ce8ed0
	;; [unrolled: 1-line block ×4, first 2 shown]
	v_mov_b32_e32 v5, 0x7f800000
	s_mul_hi_i32 s5, s24, s3
	s_cmp_lg_u64 s[4:5], 0
	s_mul_i32 s8, s24, s3
	s_cbranch_scc0 .LBB58_19
.LBB58_9:
	s_add_u32 s0, s22, 0
	s_addc_u32 s1, 0, 0
	s_xor_b64 s[0:1], s[0:1], 0
	v_cvt_f32_u32_e32 v8, s0
	v_cvt_f32_u32_e32 v9, s1
	s_sub_u32 s9, 0, s0
	s_subb_u32 s25, 0, s1
	v_mac_f32_e32 v8, 0x4f800000, v9
	v_rcp_f32_e32 v8, v8
	v_mul_f32_e32 v8, 0x5f7ffffc, v8
	v_mul_f32_e32 v9, 0x2f800000, v8
	v_trunc_f32_e32 v9, v9
	v_mac_f32_e32 v8, 0xcf800000, v9
	v_cvt_u32_f32_e32 v9, v9
	v_cvt_u32_f32_e32 v8, v8
	v_readfirstlane_b32 s26, v9
	v_readfirstlane_b32 s6, v8
	s_mul_i32 s7, s9, s26
	s_mul_hi_u32 s28, s9, s6
	s_mul_i32 s27, s25, s6
	s_add_i32 s7, s28, s7
	s_mul_i32 s29, s9, s6
	s_add_i32 s7, s7, s27
	s_mul_i32 s28, s6, s7
	s_mul_hi_u32 s30, s6, s29
	s_mul_hi_u32 s27, s6, s7
	s_add_u32 s28, s30, s28
	s_addc_u32 s27, 0, s27
	s_mul_hi_u32 s31, s26, s29
	s_mul_i32 s29, s26, s29
	s_add_u32 s28, s28, s29
	s_mul_hi_u32 s30, s26, s7
	s_addc_u32 s27, s27, s31
	s_addc_u32 s28, s30, 0
	s_mul_i32 s7, s26, s7
	s_add_u32 s7, s27, s7
	s_addc_u32 s27, 0, s28
	s_add_u32 s28, s6, s7
	s_cselect_b64 s[6:7], -1, 0
	s_cmp_lg_u64 s[6:7], 0
	s_addc_u32 s26, s26, s27
	s_mul_i32 s6, s9, s26
	s_mul_hi_u32 s7, s9, s28
	s_add_i32 s6, s7, s6
	s_mul_i32 s25, s25, s28
	s_add_i32 s6, s6, s25
	s_mul_i32 s9, s9, s28
	s_mul_hi_u32 s25, s26, s9
	s_mul_i32 s27, s26, s9
	s_mul_i32 s30, s28, s6
	s_mul_hi_u32 s9, s28, s9
	s_mul_hi_u32 s29, s28, s6
	s_add_u32 s9, s9, s30
	s_addc_u32 s29, 0, s29
	s_add_u32 s9, s9, s27
	s_mul_hi_u32 s7, s26, s6
	s_addc_u32 s9, s29, s25
	s_addc_u32 s7, s7, 0
	s_mul_i32 s6, s26, s6
	s_add_u32 s6, s9, s6
	s_addc_u32 s9, 0, s7
	s_add_u32 s25, s28, s6
	s_cselect_b64 s[6:7], -1, 0
	s_cmp_lg_u64 s[6:7], 0
	s_addc_u32 s9, s26, s9
	s_ashr_i32 s6, s5, 31
	s_add_u32 s26, s8, s6
	s_mov_b32 s7, s6
	s_addc_u32 s27, s5, s6
	s_xor_b64 s[26:27], s[26:27], s[6:7]
	s_mul_i32 s28, s26, s9
	s_mul_hi_u32 s29, s26, s25
	s_mul_hi_u32 s5, s26, s9
	s_add_u32 s28, s29, s28
	s_addc_u32 s5, 0, s5
	s_mul_hi_u32 s30, s27, s25
	s_mul_i32 s25, s27, s25
	s_add_u32 s25, s28, s25
	s_mul_hi_u32 s29, s27, s9
	s_addc_u32 s5, s5, s30
	s_addc_u32 s25, s29, 0
	s_mul_i32 s9, s27, s9
	s_add_u32 s5, s5, s9
	s_addc_u32 s9, 0, s25
	s_mul_i32 s25, s0, s9
	s_mul_hi_u32 s28, s0, s5
	s_add_i32 s25, s28, s25
	s_mul_i32 s28, s1, s5
	s_add_i32 s25, s25, s28
	s_sub_i32 s30, s27, s25
	s_mul_i32 s28, s0, s5
	s_sub_u32 s26, s26, s28
	s_cselect_b64 s[28:29], -1, 0
	s_cmp_lg_u64 s[28:29], 0
	s_subb_u32 s33, s30, s1
	s_sub_u32 s34, s26, s0
	s_cselect_b64 s[30:31], -1, 0
	s_cmp_lg_u64 s[30:31], 0
	s_subb_u32 s30, s33, 0
	s_cmp_ge_u32 s30, s1
	s_cselect_b32 s31, -1, 0
	s_cmp_ge_u32 s34, s0
	s_cselect_b32 s33, -1, 0
	s_cmp_eq_u32 s30, s1
	s_cselect_b32 s30, s33, s31
	s_add_u32 s31, s5, 1
	s_addc_u32 s33, s9, 0
	s_add_u32 s34, s5, 2
	s_addc_u32 s35, s9, 0
	s_cmp_lg_u32 s30, 0
	s_cselect_b32 s30, s34, s31
	s_cselect_b32 s31, s35, s33
	s_cmp_lg_u64 s[28:29], 0
	s_subb_u32 s25, s27, s25
	s_cmp_ge_u32 s25, s1
	s_cselect_b32 s27, -1, 0
	s_cmp_ge_u32 s26, s0
	s_cselect_b32 s0, -1, 0
	s_cmp_eq_u32 s25, s1
	s_cselect_b32 s0, s0, s27
	s_cmp_lg_u32 s0, 0
	s_cselect_b32 s1, s31, s9
	s_cselect_b32 s0, s30, s5
	s_xor_b64 s[6:7], s[6:7], 0
	s_xor_b64 s[0:1], s[0:1], s[6:7]
	s_sub_u32 s6, s0, s6
	s_cbranch_execnz .LBB58_11
.LBB58_10:
	s_sub_i32 s0, 0, s22
	v_readfirstlane_b32 s1, v4
	s_mul_i32 s0, s0, s1
	s_mul_hi_u32 s0, s1, s0
	s_add_i32 s1, s1, s0
	s_mul_hi_u32 s0, s8, s1
	s_mul_i32 s5, s0, s22
	s_sub_i32 s5, s8, s5
	s_add_i32 s1, s0, 1
	s_sub_i32 s6, s5, s22
	s_cmp_ge_u32 s5, s22
	s_cselect_b32 s0, s1, s0
	s_cselect_b32 s5, s6, s5
	s_add_i32 s1, s0, 1
	s_cmp_ge_u32 s5, s22
	s_cselect_b32 s6, s1, s0
.LBB58_11:
	s_cmp_lg_u32 s10, s6
	s_mov_b64 s[8:9], -1
                                        ; implicit-def: $sgpr0_sgpr1
                                        ; implicit-def: $vgpr10
                                        ; implicit-def: $vgpr8
                                        ; implicit-def: $vgpr9
                                        ; implicit-def: $sgpr5
                                        ; implicit-def: $sgpr7
	s_cbranch_scc1 .LBB58_14
; %bb.12:
	s_andn2_b64 vcc, exec, s[8:9]
	s_cbranch_vccz .LBB58_17
.LBB58_13:
	s_andn2_b64 vcc, exec, s[0:1]
	s_cbranch_vccnz .LBB58_18
	s_branch .LBB58_22
.LBB58_14:
	s_add_i32 s0, s24, s22
	s_lshl_b32 s0, s0, 5
	s_add_i32 s0, s0, s15
	s_mov_b32 s1, s4
	s_lshl_b64 s[0:1], s[0:1], 3
	s_add_u32 s8, s18, s0
	s_mul_hi_u32 s0, s6, s12
	s_addc_u32 s9, s19, s1
	s_add_i32 s0, s0, s6
	s_lshr_b32 s5, s0, s13
	s_mul_i32 s0, s5, s14
	s_cmp_eq_u32 s0, s6
	s_cselect_b64 s[0:1], -1, 0
	s_cmp_lt_u32 s5, s11
	s_cselect_b64 s[26:27], -1, 0
	s_or_b64 s[26:27], s[26:27], s[0:1]
	s_mov_b64 s[0:1], -1
	s_and_b64 vcc, exec, s[26:27]
	s_mov_b32 s5, s24
	s_mov_b32 s7, s10
	s_cbranch_vccnz .LBB58_16
; %bb.15:
	s_add_i32 s5, s24, -1
	s_mov_b64 s[0:1], 0
	s_mov_b32 s7, s6
.LBB58_16:
	v_lshl_add_u32 v8, s24, 12, v0
	v_ashrrev_i32_e32 v9, 31, v8
	v_lshlrev_b64 v[8:9], 2, v[8:9]
	v_mov_b32_e32 v10, s21
	v_add_co_u32_e32 v8, vcc, s20, v8
	v_addc_co_u32_e32 v9, vcc, v10, v9, vcc
	global_load_dword v10, v[8:9], off
	s_load_dwordx2 s[8:9], s[8:9], 0x0
	v_max_f32_e32 v8, v7, v7
	s_waitcnt lgkmcnt(0)
	v_max_f32_e64 v9, s8, s8
	v_max_f32_e32 v8, v8, v9
	v_sub_f32_e32 v9, v7, v8
	v_sub_f32_e32 v11, s8, v8
	v_mul_f32_e32 v12, 0x3fb8aa3b, v9
	v_mul_f32_e32 v13, 0x3fb8aa3b, v11
	v_fma_f32 v14, v9, s2, -v12
	v_rndne_f32_e32 v15, v12
	v_fma_f32 v16, v11, s2, -v13
	v_rndne_f32_e32 v17, v13
	v_fmac_f32_e32 v14, 0x32a5705f, v9
	v_sub_f32_e32 v12, v12, v15
	v_fmac_f32_e32 v16, 0x32a5705f, v11
	v_sub_f32_e32 v13, v13, v17
	v_add_f32_e32 v12, v12, v14
	v_cvt_i32_f32_e32 v15, v15
	v_add_f32_e32 v13, v13, v16
	v_exp_f32_e32 v12, v12
	v_cvt_i32_f32_e32 v17, v17
	v_exp_f32_e32 v13, v13
	v_cmp_ngt_f32_e32 vcc, s16, v9
	v_ldexp_f32 v12, v12, v15
	v_cndmask_b32_e32 v12, 0, v12, vcc
	v_ldexp_f32 v13, v13, v17
	v_cmp_ngt_f32_e32 vcc, s16, v11
	v_cndmask_b32_e32 v13, 0, v13, vcc
	v_cmp_nlt_f32_e32 vcc, s17, v9
	v_cndmask_b32_e32 v12, v5, v12, vcc
	v_cmp_nlt_f32_e32 vcc, s17, v11
	v_cndmask_b32_e32 v13, v5, v13, vcc
	v_cmp_le_f32_e32 vcc, s23, v9
	v_cndmask_b32_e32 v12, 0, v12, vcc
	v_cmp_le_f32_e32 vcc, s23, v11
	v_cndmask_b32_e32 v11, 0, v13, vcc
	v_mul_f32_e32 v9, s9, v11
	v_fmac_f32_e32 v9, v6, v12
	s_waitcnt vmcnt(0)
	v_mul_f32_e32 v10, v10, v11
	v_fmac_f32_e32 v10, v3, v12
	s_cbranch_execnz .LBB58_13
.LBB58_17:
	s_add_i32 s5, s24, -1
	s_mov_b32 s7, s10
	v_mov_b32_e32 v9, v6
	v_mov_b32_e32 v8, v7
	s_waitcnt vmcnt(0)
	v_mov_b32_e32 v10, v3
	s_cbranch_execz .LBB58_22
.LBB58_18:
	s_mov_b32 s10, s7
	s_mov_b32 s24, s5
	v_mov_b32_e32 v6, v9
	v_mov_b32_e32 v7, v8
	s_waitcnt vmcnt(0)
	v_mov_b32_e32 v3, v10
	s_mul_hi_i32 s5, s24, s3
	s_cmp_lg_u64 s[4:5], 0
	s_mul_i32 s8, s24, s3
	s_cbranch_scc1 .LBB58_9
.LBB58_19:
                                        ; implicit-def: $sgpr6_sgpr7
	s_branch .LBB58_10
.LBB58_20:
                                        ; implicit-def: $sgpr10_sgpr11
	s_load_dwordx4 s[12:15], s[4:5], 0x44
	s_branch .LBB58_2
.LBB58_21:
                                        ; implicit-def: $sgpr18_sgpr19
	s_branch .LBB58_5
.LBB58_22:
	v_div_scale_f32 v0, s[0:1], v9, v9, v10
	s_waitcnt vmcnt(0)
	v_div_scale_f32 v3, vcc, v10, v9, v10
	v_rcp_f32_e32 v4, v0
	v_fma_f32 v5, -v0, v4, 1.0
	v_fmac_f32_e32 v4, v5, v4
	v_mul_f32_e32 v5, v3, v4
	v_fma_f32 v6, -v0, v5, v3
	v_fmac_f32_e32 v5, v6, v4
	v_fma_f32 v0, -v0, v5, v3
	v_div_fmas_f32 v0, v0, v4, v5
	v_div_fixup_f32 v0, v0, v9, v10
	global_store_dword v[1:2], v0, off
.LBB58_23:
	s_endpgm
	.section	.rodata,"a",@progbits
	.p2align	6, 0x0
	.amdhsa_kernel _ZL33flash_attn_stream_k_fixup_generalILi128ELi32ELi1EEvPfPK15HIP_vector_typeIfLj2EEiiiiS1_IjLj3EES5_S5_S5_
		.amdhsa_group_segment_fixed_size 0
		.amdhsa_private_segment_fixed_size 0
		.amdhsa_kernarg_size 336
		.amdhsa_user_sgpr_count 6
		.amdhsa_user_sgpr_private_segment_buffer 1
		.amdhsa_user_sgpr_dispatch_ptr 0
		.amdhsa_user_sgpr_queue_ptr 0
		.amdhsa_user_sgpr_kernarg_segment_ptr 1
		.amdhsa_user_sgpr_dispatch_id 0
		.amdhsa_user_sgpr_flat_scratch_init 0
		.amdhsa_user_sgpr_private_segment_size 0
		.amdhsa_uses_dynamic_stack 0
		.amdhsa_system_sgpr_private_segment_wavefront_offset 0
		.amdhsa_system_sgpr_workgroup_id_x 1
		.amdhsa_system_sgpr_workgroup_id_y 1
		.amdhsa_system_sgpr_workgroup_id_z 1
		.amdhsa_system_sgpr_workgroup_info 0
		.amdhsa_system_vgpr_workitem_id 0
		.amdhsa_next_free_vgpr 18
		.amdhsa_next_free_sgpr 36
		.amdhsa_reserve_vcc 1
		.amdhsa_reserve_flat_scratch 0
		.amdhsa_float_round_mode_32 0
		.amdhsa_float_round_mode_16_64 0
		.amdhsa_float_denorm_mode_32 3
		.amdhsa_float_denorm_mode_16_64 3
		.amdhsa_dx10_clamp 1
		.amdhsa_ieee_mode 1
		.amdhsa_fp16_overflow 0
		.amdhsa_exception_fp_ieee_invalid_op 0
		.amdhsa_exception_fp_denorm_src 0
		.amdhsa_exception_fp_ieee_div_zero 0
		.amdhsa_exception_fp_ieee_overflow 0
		.amdhsa_exception_fp_ieee_underflow 0
		.amdhsa_exception_fp_ieee_inexact 0
		.amdhsa_exception_int_div_zero 0
	.end_amdhsa_kernel
	.section	.text._ZL33flash_attn_stream_k_fixup_generalILi128ELi32ELi1EEvPfPK15HIP_vector_typeIfLj2EEiiiiS1_IjLj3EES5_S5_S5_,"axG",@progbits,_ZL33flash_attn_stream_k_fixup_generalILi128ELi32ELi1EEvPfPK15HIP_vector_typeIfLj2EEiiiiS1_IjLj3EES5_S5_S5_,comdat
.Lfunc_end58:
	.size	_ZL33flash_attn_stream_k_fixup_generalILi128ELi32ELi1EEvPfPK15HIP_vector_typeIfLj2EEiiiiS1_IjLj3EES5_S5_S5_, .Lfunc_end58-_ZL33flash_attn_stream_k_fixup_generalILi128ELi32ELi1EEvPfPK15HIP_vector_typeIfLj2EEiiiiS1_IjLj3EES5_S5_S5_
                                        ; -- End function
	.set _ZL33flash_attn_stream_k_fixup_generalILi128ELi32ELi1EEvPfPK15HIP_vector_typeIfLj2EEiiiiS1_IjLj3EES5_S5_S5_.num_vgpr, 18
	.set _ZL33flash_attn_stream_k_fixup_generalILi128ELi32ELi1EEvPfPK15HIP_vector_typeIfLj2EEiiiiS1_IjLj3EES5_S5_S5_.num_agpr, 0
	.set _ZL33flash_attn_stream_k_fixup_generalILi128ELi32ELi1EEvPfPK15HIP_vector_typeIfLj2EEiiiiS1_IjLj3EES5_S5_S5_.numbered_sgpr, 36
	.set _ZL33flash_attn_stream_k_fixup_generalILi128ELi32ELi1EEvPfPK15HIP_vector_typeIfLj2EEiiiiS1_IjLj3EES5_S5_S5_.num_named_barrier, 0
	.set _ZL33flash_attn_stream_k_fixup_generalILi128ELi32ELi1EEvPfPK15HIP_vector_typeIfLj2EEiiiiS1_IjLj3EES5_S5_S5_.private_seg_size, 0
	.set _ZL33flash_attn_stream_k_fixup_generalILi128ELi32ELi1EEvPfPK15HIP_vector_typeIfLj2EEiiiiS1_IjLj3EES5_S5_S5_.uses_vcc, 1
	.set _ZL33flash_attn_stream_k_fixup_generalILi128ELi32ELi1EEvPfPK15HIP_vector_typeIfLj2EEiiiiS1_IjLj3EES5_S5_S5_.uses_flat_scratch, 0
	.set _ZL33flash_attn_stream_k_fixup_generalILi128ELi32ELi1EEvPfPK15HIP_vector_typeIfLj2EEiiiiS1_IjLj3EES5_S5_S5_.has_dyn_sized_stack, 0
	.set _ZL33flash_attn_stream_k_fixup_generalILi128ELi32ELi1EEvPfPK15HIP_vector_typeIfLj2EEiiiiS1_IjLj3EES5_S5_S5_.has_recursion, 0
	.set _ZL33flash_attn_stream_k_fixup_generalILi128ELi32ELi1EEvPfPK15HIP_vector_typeIfLj2EEiiiiS1_IjLj3EES5_S5_S5_.has_indirect_call, 0
	.section	.AMDGPU.csdata,"",@progbits
; Kernel info:
; codeLenInByte = 2932
; TotalNumSgprs: 40
; NumVgprs: 18
; ScratchSize: 0
; MemoryBound: 0
; FloatMode: 240
; IeeeMode: 1
; LDSByteSize: 0 bytes/workgroup (compile time only)
; SGPRBlocks: 4
; VGPRBlocks: 4
; NumSGPRsForWavesPerEU: 40
; NumVGPRsForWavesPerEU: 18
; Occupancy: 10
; WaveLimiterHint : 0
; COMPUTE_PGM_RSRC2:SCRATCH_EN: 0
; COMPUTE_PGM_RSRC2:USER_SGPR: 6
; COMPUTE_PGM_RSRC2:TRAP_HANDLER: 0
; COMPUTE_PGM_RSRC2:TGID_X_EN: 1
; COMPUTE_PGM_RSRC2:TGID_Y_EN: 1
; COMPUTE_PGM_RSRC2:TGID_Z_EN: 1
; COMPUTE_PGM_RSRC2:TIDIG_COMP_CNT: 0
	.section	.text._ZL15flash_attn_tileILi128ELi128ELi16ELi1ELb0EEvPKcS1_S1_S1_S1_PKiPfP15HIP_vector_typeIfLj2EEffffjfiS5_IjLj3EEiiiiiiiiiiiliiliiiiil,"axG",@progbits,_ZL15flash_attn_tileILi128ELi128ELi16ELi1ELb0EEvPKcS1_S1_S1_S1_PKiPfP15HIP_vector_typeIfLj2EEffffjfiS5_IjLj3EEiiiiiiiiiiiliiliiiiil,comdat
	.globl	_ZL15flash_attn_tileILi128ELi128ELi16ELi1ELb0EEvPKcS1_S1_S1_S1_PKiPfP15HIP_vector_typeIfLj2EEffffjfiS5_IjLj3EEiiiiiiiiiiiliiliiiiil ; -- Begin function _ZL15flash_attn_tileILi128ELi128ELi16ELi1ELb0EEvPKcS1_S1_S1_S1_PKiPfP15HIP_vector_typeIfLj2EEffffjfiS5_IjLj3EEiiiiiiiiiiiliiliiiiil
	.p2align	8
	.type	_ZL15flash_attn_tileILi128ELi128ELi16ELi1ELb0EEvPKcS1_S1_S1_S1_PKiPfP15HIP_vector_typeIfLj2EEffffjfiS5_IjLj3EEiiiiiiiiiiiliiliiiiil,@function
_ZL15flash_attn_tileILi128ELi128ELi16ELi1ELb0EEvPKcS1_S1_S1_S1_PKiPfP15HIP_vector_typeIfLj2EEffffjfiS5_IjLj3EEiiiiiiiiiiiliiliiiiil: ; @_ZL15flash_attn_tileILi128ELi128ELi16ELi1ELb0EEvPKcS1_S1_S1_S1_PKiPfP15HIP_vector_typeIfLj2EEffffjfiS5_IjLj3EEiiiiiiiiiiiliiliiiiil
; %bb.0:
	s_load_dwordx4 s[36:39], s[4:5], 0x5c
	s_load_dwordx2 s[46:47], s[4:5], 0x80
	s_add_u32 flat_scratch_lo, s6, s11
	s_addc_u32 flat_scratch_hi, s7, 0
	s_add_u32 s0, s0, s11
	s_waitcnt lgkmcnt(0)
	v_cvt_f32_u32_e32 v2, s39
	s_addc_u32 s1, s1, 0
	s_sub_i32 s6, 0, s39
	s_load_dwordx16 s[16:31], s[4:5], 0x0
	v_rcp_iflag_f32_e32 v2, v2
	s_load_dwordx2 s[48:49], s[4:5], 0xb8
	s_mov_b64 s[44:45], 0
	v_mul_f32_e32 v2, 0x4f7ffffe, v2
	v_cvt_u32_f32_e32 v2, v2
	v_readfirstlane_b32 s7, v2
	s_mul_i32 s6, s6, s7
	s_mul_hi_u32 s6, s7, s6
	s_add_i32 s7, s7, s6
	s_mul_hi_u32 s6, s10, s7
	s_mul_i32 s7, s6, s39
	s_sub_i32 s7, s10, s7
	s_add_i32 s11, s6, 1
	s_sub_i32 s12, s7, s39
	s_cmp_ge_u32 s7, s39
	s_cselect_b32 s6, s11, s6
	s_cselect_b32 s7, s12, s7
	s_add_i32 s11, s6, 1
	s_cmp_ge_u32 s7, s39
	s_cselect_b32 s33, s11, s6
	s_abs_i32 s6, s47
	v_cvt_f32_u32_e32 v2, s6
	s_mul_i32 s12, s33, s39
	s_sub_i32 s13, 0, s6
	s_sub_i32 s34, s10, s12
	v_rcp_iflag_f32_e32 v2, v2
	s_abs_i32 s11, s39
	s_xor_b32 s7, s39, s47
	s_ashr_i32 s7, s7, 31
	v_mul_f32_e32 v2, 0x4f7ffffe, v2
	v_cvt_u32_f32_e32 v2, v2
	v_readfirstlane_b32 s10, v2
	s_mul_i32 s13, s13, s10
	s_mul_hi_u32 s12, s10, s13
	s_add_i32 s10, s10, s12
	s_mul_hi_u32 s10, s11, s10
	s_mul_i32 s12, s10, s6
	s_sub_i32 s11, s11, s12
	s_add_i32 s13, s10, 1
	s_sub_i32 s12, s11, s6
	s_cmp_ge_u32 s11, s6
	s_cselect_b32 s10, s13, s10
	s_cselect_b32 s11, s12, s11
	s_add_i32 s12, s10, 1
	s_cmp_ge_u32 s11, s6
	s_cselect_b32 s6, s12, s10
	s_xor_b32 s6, s6, s7
	s_sub_i32 s51, s6, s7
	s_abs_i32 s47, s51
	v_cvt_f32_u32_e32 v2, s47
	s_sub_i32 s6, 0, s47
	s_abs_i32 s50, s34
	v_rcp_iflag_f32_e32 v2, v2
	v_mul_f32_e32 v2, 0x4f7ffffe, v2
	v_cvt_u32_f32_e32 v2, v2
	v_readfirstlane_b32 s7, v2
	s_mul_i32 s6, s6, s7
	s_mul_hi_u32 s6, s7, s6
	s_add_i32 s6, s7, s6
	s_waitcnt lgkmcnt(0)
	s_cmp_eq_u64 s[22:23], 0
	s_cbranch_scc1 .LBB59_2
; %bb.1:
	s_abs_i32 s7, s48
	v_cvt_f32_u32_e32 v2, s7
	s_sub_i32 s14, 0, s7
	s_abs_i32 s13, s33
	s_ashr_i32 s12, s33, 31
	v_rcp_iflag_f32_e32 v2, v2
	s_load_dwordx2 s[10:11], s[4:5], 0xc8
	v_mul_f32_e32 v2, 0x4f7ffffe, v2
	v_cvt_u32_f32_e32 v2, v2
	v_readfirstlane_b32 s15, v2
	s_mul_i32 s14, s14, s15
	s_mul_hi_u32 s14, s15, s14
	s_add_i32 s15, s15, s14
	s_mul_hi_u32 s14, s13, s15
	s_mul_i32 s14, s14, s7
	s_sub_i32 s13, s13, s14
	s_sub_i32 s14, s13, s7
	s_cmp_ge_u32 s13, s7
	s_cselect_b32 s13, s14, s13
	s_sub_i32 s14, s13, s7
	s_cmp_ge_u32 s13, s7
	s_cselect_b32 s7, s14, s13
	s_xor_b32 s7, s7, s12
	s_sub_i32 s7, s7, s12
	s_ashr_i32 s12, s7, 31
	s_waitcnt lgkmcnt(0)
	s_mul_hi_u32 s13, s10, s7
	s_mul_i32 s12, s10, s12
	s_mul_i32 s11, s11, s7
	s_add_i32 s12, s13, s12
	s_add_i32 s12, s12, s11
	s_mul_i32 s7, s10, s7
	s_add_u32 s44, s22, s7
	s_addc_u32 s45, s23, s12
.LBB59_2:
	s_load_dwordx4 s[12:15], s[4:5], 0x40
	s_mul_hi_u32 s22, s50, s6
	s_load_dword s6, s[4:5], 0x50
	v_mov_b32_e32 v28, 1.0
	s_waitcnt lgkmcnt(0)
	v_cmp_le_f32_e64 s[10:11], s13, 0
	s_and_b64 vcc, exec, s[10:11]
	s_cbranch_vccnz .LBB59_4
; %bb.3:
	v_mov_b32_e32 v2, s6
	v_sub_co_u32_e32 v2, vcc, s34, v2
	v_mov_b32_e32 v3, s15
	v_mov_b32_e32 v4, s14
	s_add_i32 s6, s34, 1
	v_lshlrev_b32_e32 v2, 1, v2
	v_cndmask_b32_e32 v3, v3, v4, vcc
	v_or_b32_e32 v2, 1, v2
	v_mov_b32_e32 v4, s6
	v_cndmask_b32_e32 v2, v2, v4, vcc
	v_cvt_f32_i32_e32 v2, v2
	v_cmp_neq_f32_e32 vcc, 1.0, v3
	s_mov_b32 s6, 0x3f2aaaab
	s_movk_i32 s10, 0x204
	v_cndmask_b32_e32 v4, 1.0, v2, vcc
	v_cmp_neq_f32_e32 vcc, 0, v4
	v_cndmask_b32_e32 v5, 1.0, v3, vcc
	v_frexp_mant_f32_e64 v2, |v5|
	v_cmp_gt_f32_e32 vcc, s6, v2
	v_cndmask_b32_e64 v3, 1.0, 2.0, vcc
	v_mul_f32_e32 v2, v2, v3
	v_add_f32_e32 v3, 1.0, v2
	v_rcp_f32_e32 v6, v3
	v_add_f32_e32 v7, -1.0, v2
	v_add_f32_e32 v8, -1.0, v3
	v_sub_f32_e32 v2, v2, v8
	v_mul_f32_e32 v8, v7, v6
	v_mul_f32_e32 v9, v3, v8
	v_fma_f32 v3, v8, v3, -v9
	v_fmac_f32_e32 v3, v8, v2
	v_add_f32_e32 v2, v9, v3
	v_sub_f32_e32 v10, v7, v2
	v_sub_f32_e32 v9, v2, v9
	;; [unrolled: 1-line block ×5, first 2 shown]
	v_add_f32_e32 v2, v3, v2
	v_add_f32_e32 v2, v10, v2
	v_mul_f32_e32 v2, v6, v2
	v_add_f32_e32 v6, v8, v2
	v_sub_f32_e32 v3, v6, v8
	v_sub_f32_e32 v7, v2, v3
	v_mul_f32_e32 v2, v6, v6
	v_fma_f32 v3, v6, v6, -v2
	v_add_f32_e32 v8, v7, v7
	v_fmac_f32_e32 v3, v6, v8
	v_add_f32_e32 v8, v2, v3
	v_mov_b32_e32 v9, 0x3e91f4c4
	v_sub_f32_e32 v2, v8, v2
	v_fmac_f32_e32 v9, 0x3e76c4e1, v8
	v_mov_b32_e32 v10, 0x3ecccdef
	v_sub_f32_e32 v2, v3, v2
	v_mul_f32_e32 v3, v6, v8
	v_fmac_f32_e32 v10, v8, v9
	v_fma_f32 v9, v8, v6, -v3
	v_fmac_f32_e32 v9, v8, v7
	v_fmac_f32_e32 v9, v2, v6
	v_add_f32_e32 v11, v3, v9
	v_sub_f32_e32 v3, v11, v3
	v_sub_f32_e32 v9, v9, v3
	v_mul_f32_e32 v3, v8, v10
	v_fma_f32 v8, v8, v10, -v3
	v_fmac_f32_e32 v8, v2, v10
	v_add_f32_e32 v10, v3, v8
	v_sub_f32_e32 v2, v10, v3
	v_sub_f32_e32 v8, v8, v2
	v_cvt_f64_f32_e64 v[2:3], |v5|
	v_add_f32_e32 v12, 0x3f2aaaaa, v10
	v_add_f32_e32 v13, 0xbf2aaaaa, v12
	;; [unrolled: 1-line block ×3, first 2 shown]
	v_frexp_exp_i32_f64_e32 v2, v[2:3]
	v_sub_f32_e32 v10, v10, v13
	v_add_f32_e32 v3, v8, v10
	v_add_f32_e32 v8, v12, v3
	v_sub_f32_e32 v10, v12, v8
	v_add_f32_e32 v3, v3, v10
	v_mul_f32_e32 v10, v11, v8
	v_fma_f32 v12, v11, v8, -v10
	v_subbrev_co_u32_e32 v2, vcc, 0, v2, vcc
	v_cvt_f32_i32_e32 v2, v2
	v_fmac_f32_e32 v12, v11, v3
	s_mov_b32 s6, 0x3f317218
	v_fmac_f32_e32 v12, v9, v8
	v_mul_f32_e32 v3, 0x3f317218, v2
	v_fma_f32 v8, v2, s6, -v3
	v_fmac_f32_e32 v8, 0xb102e308, v2
	v_ldexp_f32 v2, v7, 1
	v_add_f32_e32 v7, v3, v8
	v_sub_f32_e32 v3, v7, v3
	v_ldexp_f32 v6, v6, 1
	v_sub_f32_e32 v3, v8, v3
	v_add_f32_e32 v8, v10, v12
	v_sub_f32_e32 v9, v8, v10
	v_add_f32_e32 v10, v6, v8
	v_sub_f32_e32 v9, v12, v9
	v_sub_f32_e32 v6, v10, v6
	;; [unrolled: 1-line block ×3, first 2 shown]
	v_add_f32_e32 v2, v2, v9
	v_add_f32_e32 v2, v2, v6
	;; [unrolled: 1-line block ×3, first 2 shown]
	v_sub_f32_e32 v8, v6, v10
	v_sub_f32_e32 v2, v2, v8
	v_add_f32_e32 v8, v7, v6
	v_sub_f32_e32 v9, v8, v7
	v_sub_f32_e32 v10, v8, v9
	;; [unrolled: 1-line block ×4, first 2 shown]
	v_add_f32_e32 v6, v6, v7
	v_add_f32_e32 v7, v3, v2
	v_sub_f32_e32 v9, v7, v3
	v_sub_f32_e32 v10, v7, v9
	;; [unrolled: 1-line block ×4, first 2 shown]
	v_add_f32_e32 v2, v2, v3
	v_add_f32_e32 v3, v7, v6
	;; [unrolled: 1-line block ×3, first 2 shown]
	v_sub_f32_e32 v7, v6, v8
	v_sub_f32_e32 v3, v3, v7
	v_add_f32_e32 v2, v2, v3
	v_add_f32_e32 v3, v6, v2
	v_sub_f32_e32 v6, v3, v6
	v_sub_f32_e32 v2, v2, v6
	v_mul_f32_e32 v6, v4, v3
	v_fma_f32 v3, v4, v3, -v6
	v_fmac_f32_e32 v3, v4, v2
	v_add_f32_e32 v2, v6, v3
	v_cmp_class_f32_e64 vcc, v6, s10
	v_sub_f32_e32 v7, v2, v6
	v_cndmask_b32_e32 v2, v2, v6, vcc
	s_mov_b32 s7, 0x42b17218
	v_mov_b32_e32 v6, 0x37000000
	v_cmp_eq_f32_e32 vcc, s7, v2
	v_cndmask_b32_e32 v6, 0, v6, vcc
	v_sub_f32_e32 v3, v3, v7
	v_sub_f32_e32 v7, v2, v6
	s_mov_b32 s11, 0x3fb8aa3b
	v_mul_f32_e32 v8, 0x3fb8aa3b, v7
	v_fma_f32 v9, v7, s11, -v8
	v_rndne_f32_e32 v10, v8
	v_fmac_f32_e32 v9, 0x32a5705f, v7
	v_sub_f32_e32 v8, v8, v10
	v_add_f32_e32 v8, v8, v9
	v_exp_f32_e32 v8, v8
	v_cvt_i32_f32_e32 v9, v10
	s_mov_b32 s6, 0x7f800000
	v_cmp_neq_f32_e64 vcc, |v2|, s6
	s_mov_b32 s6, 0xc2ce8ed0
	v_cndmask_b32_e32 v2, 0, v3, vcc
	v_ldexp_f32 v3, v8, v9
	v_cmp_ngt_f32_e32 vcc, s6, v7
	v_add_f32_e32 v2, v6, v2
	v_cndmask_b32_e32 v3, 0, v3, vcc
	v_mov_b32_e32 v6, 0x7f800000
	v_cmp_nlt_f32_e32 vcc, s7, v7
	v_cndmask_b32_e32 v3, v6, v3, vcc
	v_fma_f32 v2, v3, v2, v3
	v_cmp_class_f32_e64 vcc, v3, s10
	v_cndmask_b32_e32 v2, v2, v3, vcc
	v_trunc_f32_e32 v3, v4
	v_cmp_eq_f32_e32 vcc, v3, v4
	v_mul_f32_e32 v3, 0.5, v4
	v_trunc_f32_e32 v8, v3
	v_cmp_neq_f32_e64 s[6:7], v8, v3
	s_and_b64 s[6:7], vcc, s[6:7]
	v_cndmask_b32_e64 v3, 1.0, v5, s[6:7]
	s_brev_b32 s13, -2
	v_mov_b32_e32 v7, 0x7fc00000
	v_bfi_b32 v2, s13, v2, v3
	v_cndmask_b32_e32 v3, v7, v2, vcc
	v_cmp_gt_f32_e32 vcc, 0, v5
	v_cndmask_b32_e32 v2, v2, v3, vcc
	v_cmp_class_f32_e64 s[14:15], v5, s10
	v_cmp_eq_f32_e32 vcc, 0, v5
	v_cmp_gt_f32_e64 s[10:11], 0, v4
	s_xor_b64 s[10:11], s[10:11], vcc
	v_cndmask_b32_e64 v3, v6, 0, s[10:11]
	v_cndmask_b32_e64 v4, 0, v5, s[6:7]
	v_bfi_b32 v3, s13, v3, v4
	s_or_b64 vcc, vcc, s[14:15]
	v_cndmask_b32_e32 v2, v2, v3, vcc
	v_cmp_o_f32_e32 vcc, v5, v5
	v_cndmask_b32_e32 v28, v7, v2, vcc
.LBB59_4:
	s_load_dwordx4 s[40:43], s[4:5], 0x70
	s_waitcnt lgkmcnt(0)
	s_lshl_b32 s43, s8, 4
	v_lshlrev_b32_e32 v22, 1, v1
	v_add_u32_e32 v24, s43, v22
	v_or_b32_e32 v20, 1, v22
	v_mul_hi_u32 v2, v24, s36
	v_add_u32_e32 v21, s43, v20
	v_mul_hi_u32 v5, v21, s36
	s_mul_i32 s7, s33, s42
	v_add_u32_e32 v2, v24, v2
	s_ashr_i32 s35, s34, 31
	s_ashr_i32 s6, s51, 31
	;; [unrolled: 1-line block ×3, first 2 shown]
	v_lshrrev_b32_e32 v2, s37, v2
	v_add_u32_e32 v5, v21, v5
	s_add_u32 s7, s16, s7
	s_mul_i32 s11, s34, s41
	v_mul_lo_u32 v2, v2, s38
	v_lshrrev_b32_e32 v5, s37, v5
	s_addc_u32 s10, s17, s10
	s_ashr_i32 s13, s11, 31
	v_mul_lo_u32 v7, v5, s38
	s_add_u32 s7, s7, s11
	s_addc_u32 s13, s10, s13
	s_ashr_i32 s41, s40, 31
	s_lshr_b64 s[10:11], s[40:41], 2
	v_sub_u32_e32 v2, v24, v2
	v_mad_u64_u32 v[3:4], s[14:15], s10, v2, 0
	v_sub_u32_e32 v10, v21, v7
	v_mad_u64_u32 v[7:8], s[10:11], s10, v10, 0
	v_mov_b32_e32 v9, s13
	s_lshr_b32 s13, s41, 2
	v_lshlrev_b32_e32 v6, 4, v0
	v_mad_u64_u32 v[4:5], s[14:15], s13, v2, v[4:5]
	v_add_co_u32_e32 v11, vcc, s7, v6
	v_mov_b32_e32 v5, v8
	v_addc_co_u32_e32 v12, vcc, 0, v9, vcc
	v_mad_u64_u32 v[8:9], s[10:11], s13, v10, v[5:6]
	v_lshlrev_b64 v[3:4], 2, v[3:4]
	v_lshlrev_b32_e32 v25, 3, v0
	v_add_co_u32_e32 v3, vcc, v11, v3
	v_lshlrev_b64 v[7:8], 2, v[7:8]
	v_addc_co_u32_e32 v4, vcc, v12, v4, vcc
	v_add_co_u32_e32 v7, vcc, v11, v7
	global_load_dwordx4 v[3:6], v[3:4], off
	v_addc_co_u32_e32 v8, vcc, v12, v8, vcc
	global_load_dwordx4 v[7:10], v[7:8], off
	v_lshlrev_b32_e32 v31, 9, v1
	v_add_u32_e32 v11, 0x4400, v25
	v_add_u32_e32 v12, v11, v31
	v_mov_b32_e32 v35, 0
	v_lshl_add_u32 v11, v20, 8, v11
	s_cmp_eq_u64 s[26:27], 0
	s_waitcnt vmcnt(1)
	v_fma_mixlo_f16 v3, s12, v3, 0
	v_fma_mixlo_f16 v4, s12, v4, 0
	;; [unrolled: 1-line block ×4, first 2 shown]
	v_lshlrev_b32_e32 v4, 16, v4
	v_and_b32_e32 v3, 0xffff, v3
	v_lshlrev_b32_e32 v6, 16, v6
	v_and_b32_e32 v5, 0xffff, v5
	s_waitcnt vmcnt(0)
	v_fma_mixlo_f16 v7, s12, v7, 0
	v_fma_mixlo_f16 v8, s12, v8, 0
	;; [unrolled: 1-line block ×4, first 2 shown]
	v_or_b32_e32 v3, v4, v3
	v_or3_b32 v4, v6, v5, 0
	v_lshlrev_b32_e32 v5, 16, v8
	v_and_b32_e32 v6, 0xffff, v7
	v_lshlrev_b32_e32 v7, 16, v10
	v_and_b32_e32 v8, 0xffff, v9
	v_or3_b32 v3, 0, 0, v3
	v_or_b32_e32 v6, v5, v6
	v_or3_b32 v5, v7, v8, 0
	ds_write_b64 v12, v[3:4]
	v_or3_b32 v4, 0, 0, v6
	ds_write_b64 v11, v[4:5]
	s_waitcnt lgkmcnt(0)
	s_barrier
	s_cbranch_scc1 .LBB59_6
; %bb.5:
	s_load_dword s7, s[4:5], 0xd0
	s_mov_b32 s11, 0
	s_waitcnt lgkmcnt(0)
	s_mul_i32 s7, s7, s33
	s_add_i32 s10, s7, s8
	s_lshl_b64 s[10:11], s[10:11], 2
	s_add_u32 s10, s26, s10
	s_addc_u32 s11, s27, s11
	s_load_dword s46, s[10:11], 0x0
.LBB59_6:
	s_nop 0
	s_load_dwordx2 s[10:11], s[4:5], 0x8c
	s_load_dwordx4 s[52:55], s[4:5], 0x98
	s_ashr_i32 s7, s33, 31
	s_ashr_i32 s41, s49, 1
	s_mul_i32 s14, s22, s47
	s_waitcnt lgkmcnt(0)
	s_ashr_i32 s12, s10, 2
	s_mul_hi_u32 s10, s52, s33
	s_mul_i32 s13, s52, s7
	s_add_i32 s10, s10, s13
	s_mul_i32 s13, s53, s33
	s_ashr_i32 s8, s54, 2
	s_add_i32 s10, s10, s13
	s_mul_i32 s13, s52, s33
	s_add_u32 s13, s18, s13
	s_addc_u32 s10, s19, s10
	s_sub_i32 s14, s50, s14
	s_xor_b32 s6, s35, s6
	s_add_i32 s15, s22, 1
	s_sub_i32 s18, s14, s47
	s_cmp_ge_u32 s14, s47
	s_cselect_b32 s15, s15, s22
	s_cselect_b32 s14, s18, s14
	s_add_i32 s18, s15, 1
	s_cmp_ge_u32 s14, s47
	s_cselect_b32 s14, s18, s15
	s_load_dwordx2 s[16:17], s[4:5], 0xa8
	s_xor_b32 s14, s14, s6
	s_sub_i32 s6, s14, s6
	s_mul_i32 s11, s6, s11
	s_ashr_i32 s15, s11, 31
	s_add_u32 s14, s13, s11
	s_addc_u32 s13, s10, s15
	s_waitcnt lgkmcnt(0)
	s_mul_hi_u32 s10, s16, s33
	s_mul_i32 s7, s16, s7
	s_add_i32 s7, s10, s7
	s_mul_i32 s10, s17, s33
	s_add_i32 s7, s7, s10
	s_mul_i32 s10, s16, s33
	s_add_u32 s10, s20, s10
	s_mul_i32 s6, s6, s55
	s_addc_u32 s7, s21, s7
	s_ashr_i32 s11, s6, 31
	v_mul_lo_u32 v33, v2, s41
	s_add_u32 s26, s10, s6
	v_lshlrev_b32_e32 v23, 2, v0
	s_addc_u32 s27, s7, s11
	s_lshl_b32 s40, s9, 6
	s_sub_i32 s15, s46, 64
	s_cmp_ge_i32 s40, s15
	v_lshrrev_b32_e32 v38, 4, v0
	v_and_b32_e32 v37, 60, v23
	v_or_b32_e32 v29, 1, v24
	v_mbcnt_lo_u32_b32 v32, -1, 0
	s_cbranch_scc1 .LBB59_19
; %bb.7:
	v_mul_hi_u32 v12, s36, v29
	v_add_u32_e32 v4, v38, v22
	v_mul_lo_u32 v2, s12, v4
	v_lshlrev_b32_e32 v5, 2, v37
	v_add_u32_e32 v12, v29, v12
	v_lshrrev_b32_e32 v12, s37, v12
	v_mul_lo_u32 v12, v12, s38
	s_movk_i32 s6, 0x110
	v_mad_u32_u24 v39, v4, s6, v5
	s_lshl_b32 s6, s12, 4
	v_sub_u32_e32 v12, v29, v12
	v_mul_lo_u32 v45, v12, s41
	v_mul_lo_u32 v12, s8, v4
	v_add_u32_e32 v6, s6, v2
	v_add_u32_e32 v8, s6, v6
	s_cmp_lg_u64 s[44:45], 0
	v_add_u32_e32 v10, s6, v8
	s_cselect_b64 s[6:7], -1, 0
	s_lshl_b32 s10, s8, 4
	v_add_u32_e32 v14, s10, v12
	v_add_u32_e32 v16, s10, v14
	v_mov_b32_e32 v13, 0x5400
	v_add_u32_e32 v18, s10, v16
	v_ashrrev_i32_e32 v3, 31, v2
	v_ashrrev_i32_e32 v7, 31, v6
	;; [unrolled: 1-line block ×4, first 2 shown]
	v_lshl_add_u32 v46, v1, 8, v13
	v_ashrrev_i32_e32 v13, 31, v12
	v_ashrrev_i32_e32 v15, 31, v14
	;; [unrolled: 1-line block ×4, first 2 shown]
	v_lshl_or_b32 v47, v4, 8, v5
	s_add_u32 s10, s4, 0xd0
	v_lshlrev_b64 v[4:5], 2, v[2:3]
	v_lshlrev_b64 v[6:7], 2, v[6:7]
	;; [unrolled: 1-line block ×4, first 2 shown]
	v_cndmask_b32_e64 v2, 0, 1, s[6:7]
	v_lshlrev_b64 v[12:13], 2, v[12:13]
	v_lshlrev_b64 v[14:15], 2, v[14:15]
	;; [unrolled: 1-line block ×4, first 2 shown]
	v_mov_b32_e32 v30, 0
	v_add_u32_e32 v40, 0x1100, v39
	v_add_u32_e32 v41, 0x2200, v39
	;; [unrolled: 1-line block ×4, first 2 shown]
	v_mul_u32_u24_e32 v44, 0x110, v0
	v_add_u32_e32 v48, 0x1000, v47
	v_add_u32_e32 v49, 0x2000, v47
	;; [unrolled: 1-line block ×3, first 2 shown]
	s_addc_u32 s11, s5, 0
	v_mov_b32_e32 v57, 0xfeffffff
	v_lshlrev_b32_e32 v51, 2, v37
	s_mov_b32 s16, 0x3fb8aa3b
	s_mov_b32 s17, 0xc2ce8ed0
	;; [unrolled: 1-line block ×4, first 2 shown]
	v_cmp_ne_u32_e64 s[6:7], 1, v2
	v_mbcnt_hi_u32_b32 v52, -1, v32
	v_mov_b32_e32 v53, 0x7f800000
	v_mov_b32_e32 v26, 0
	;; [unrolled: 1-line block ×7, first 2 shown]
.LBB59_8:                               ; =>This Inner Loop Header: Depth=1
	s_mul_hi_i32 s21, s40, s12
	s_mul_i32 s20, s40, s12
	s_lshl_b64 s[20:21], s[20:21], 2
	s_add_u32 s20, s14, s20
	s_addc_u32 s21, s13, s21
	v_mov_b32_e32 v2, s21
	v_add_co_u32_e32 v3, vcc, s20, v4
	v_addc_co_u32_e32 v35, vcc, v2, v5, vcc
	v_add_co_u32_e32 v2, vcc, v3, v51
	v_addc_co_u32_e32 v3, vcc, 0, v35, vcc
	v_mov_b32_e32 v35, s21
	v_add_co_u32_e32 v36, vcc, s20, v6
	v_addc_co_u32_e32 v58, vcc, v35, v7, vcc
	v_add_co_u32_e32 v35, vcc, v36, v51
	v_addc_co_u32_e32 v36, vcc, 0, v58, vcc
	global_load_dwordx4 v[59:62], v[2:3], off
	global_load_dwordx4 v[63:66], v[35:36], off
	v_mov_b32_e32 v2, s21
	v_add_co_u32_e32 v3, vcc, s20, v8
	v_addc_co_u32_e32 v35, vcc, v2, v9, vcc
	v_add_co_u32_e32 v2, vcc, v3, v51
	v_addc_co_u32_e32 v3, vcc, 0, v35, vcc
	v_mov_b32_e32 v35, s21
	v_add_co_u32_e32 v36, vcc, s20, v10
	v_addc_co_u32_e32 v58, vcc, v35, v11, vcc
	v_add_co_u32_e32 v35, vcc, v36, v51
	v_addc_co_u32_e32 v36, vcc, 0, v58, vcc
	global_load_dwordx4 v[67:70], v[2:3], off
	global_load_dwordx4 v[71:74], v[35:36], off
	v_mov_b32_e32 v58, 0
	v_mov_b32_e32 v35, 0
	;; [unrolled: 1-line block ×3, first 2 shown]
	s_and_b64 vcc, exec, s[6:7]
	s_waitcnt vmcnt(3)
	ds_write_b128 v39, v[59:62]
	s_waitcnt vmcnt(2)
	ds_write_b128 v40, v[63:66]
	;; [unrolled: 2-line block ×4, first 2 shown]
	s_waitcnt lgkmcnt(0)
	s_barrier
	ds_read_b128 v[60:63], v44
	ds_read_b128 v[64:67], v43
	ds_read_b128 v[68:71], v44 offset:8704
	ds_read_b128 v[72:75], v43 offset:256
	s_waitcnt lgkmcnt(2)
	;;#ASMSTART
	v_dot2_f32_f16 v58, v60, v64, v58
	;;#ASMEND
	;;#ASMSTART
	v_dot2_f32_f16 v58, v61, v65, v58
	;;#ASMEND
	;; [unrolled: 3-line block ×4, first 2 shown]
	s_waitcnt lgkmcnt(0)
	;;#ASMSTART
	v_dot2_f32_f16 v35, v60, v72, v35
	;;#ASMEND
	;;#ASMSTART
	v_dot2_f32_f16 v35, v61, v73, v35
	;;#ASMEND
	v_mov_b32_e32 v59, 0
	;;#ASMSTART
	v_dot2_f32_f16 v35, v62, v74, v35
	;;#ASMEND
	;;#ASMSTART
	v_dot2_f32_f16 v35, v63, v75, v35
	;;#ASMEND
	;;#ASMSTART
	v_dot2_f32_f16 v59, v68, v64, v59
	;;#ASMEND
	;;#ASMSTART
	v_dot2_f32_f16 v59, v69, v65, v59
	;;#ASMEND
	;;#ASMSTART
	v_dot2_f32_f16 v59, v70, v66, v59
	;;#ASMEND
	;;#ASMSTART
	v_dot2_f32_f16 v59, v71, v67, v59
	;;#ASMEND
	;;#ASMSTART
	v_dot2_f32_f16 v36, v68, v72, v36
	;;#ASMEND
	;;#ASMSTART
	v_dot2_f32_f16 v36, v69, v73, v36
	;;#ASMEND
	;;#ASMSTART
	v_dot2_f32_f16 v36, v70, v74, v36
	;;#ASMEND
	;;#ASMSTART
	v_dot2_f32_f16 v36, v71, v75, v36
	;;#ASMEND
	ds_read_b128 v[60:63], v43 offset:16
	ds_read_b128 v[64:67], v44 offset:16
	ds_read_b128 v[68:71], v44 offset:8720
	ds_read_b128 v[72:75], v43 offset:272
	s_waitcnt lgkmcnt(2)
	;;#ASMSTART
	v_dot2_f32_f16 v58, v64, v60, v58
	;;#ASMEND
	;;#ASMSTART
	v_dot2_f32_f16 v58, v65, v61, v58
	;;#ASMEND
	;;#ASMSTART
	v_dot2_f32_f16 v58, v66, v62, v58
	;;#ASMEND
	;;#ASMSTART
	v_dot2_f32_f16 v58, v67, v63, v58
	;;#ASMEND
	s_waitcnt lgkmcnt(0)
	;;#ASMSTART
	v_dot2_f32_f16 v35, v64, v72, v35
	;;#ASMEND
	;;#ASMSTART
	v_dot2_f32_f16 v35, v65, v73, v35
	;;#ASMEND
	;;#ASMSTART
	v_dot2_f32_f16 v35, v66, v74, v35
	;;#ASMEND
	;;#ASMSTART
	v_dot2_f32_f16 v35, v67, v75, v35
	;;#ASMEND
	;;#ASMSTART
	v_dot2_f32_f16 v59, v68, v60, v59
	;;#ASMEND
	;;#ASMSTART
	v_dot2_f32_f16 v59, v69, v61, v59
	;;#ASMEND
	;;#ASMSTART
	v_dot2_f32_f16 v59, v70, v62, v59
	;;#ASMEND
	;;#ASMSTART
	v_dot2_f32_f16 v59, v71, v63, v59
	;;#ASMEND
	;;#ASMSTART
	v_dot2_f32_f16 v36, v68, v72, v36
	;;#ASMEND
	;;#ASMSTART
	v_dot2_f32_f16 v36, v69, v73, v36
	;;#ASMEND
	;;#ASMSTART
	v_dot2_f32_f16 v36, v70, v74, v36
	;;#ASMEND
	;;#ASMSTART
	v_dot2_f32_f16 v36, v71, v75, v36
	;;#ASMEND
	ds_read_b128 v[60:63], v43 offset:32
	ds_read_b128 v[64:67], v44 offset:32
	ds_read_b128 v[68:71], v44 offset:8736
	ds_read_b128 v[72:75], v43 offset:288
	s_waitcnt lgkmcnt(2)
	;;#ASMSTART
	v_dot2_f32_f16 v58, v64, v60, v58
	;;#ASMEND
	;;#ASMSTART
	v_dot2_f32_f16 v58, v65, v61, v58
	;;#ASMEND
	;;#ASMSTART
	v_dot2_f32_f16 v58, v66, v62, v58
	;;#ASMEND
	;;#ASMSTART
	v_dot2_f32_f16 v58, v67, v63, v58
	;;#ASMEND
	s_waitcnt lgkmcnt(0)
	;;#ASMSTART
	v_dot2_f32_f16 v35, v64, v72, v35
	;;#ASMEND
	;;#ASMSTART
	v_dot2_f32_f16 v35, v65, v73, v35
	;;#ASMEND
	;; [unrolled: 54-line block ×15, first 2 shown]
	;;#ASMSTART
	v_dot2_f32_f16 v35, v66, v74, v35
	;;#ASMEND
	;;#ASMSTART
	v_dot2_f32_f16 v35, v67, v75, v35
	;;#ASMEND
	;; [unrolled: 3-line block ×7, first 2 shown]
	v_add_u32_e32 v63, s40, v0
	;;#ASMSTART
	v_dot2_f32_f16 v36, v69, v73, v36
	;;#ASMEND
	v_add_u32_e32 v2, v63, v33
	;;#ASMSTART
	v_dot2_f32_f16 v36, v70, v74, v36
	;;#ASMEND
	v_ashrrev_i32_e32 v3, 31, v2
	v_mov_b32_e32 v60, 0
	;;#ASMSTART
	v_dot2_f32_f16 v36, v71, v75, v36
	;;#ASMEND
	s_cbranch_vccnz .LBB59_10
; %bb.9:                                ;   in Loop: Header=BB59_8 Depth=1
	v_lshlrev_b64 v[60:61], 1, v[2:3]
	v_mov_b32_e32 v62, s45
	v_add_co_u32_e32 v60, vcc, s44, v60
	v_addc_co_u32_e32 v61, vcc, v62, v61, vcc
	global_load_ushort v60, v[60:61], off
	s_waitcnt vmcnt(0)
	v_cvt_f32_f16_e32 v60, v60
	v_mul_f32_e32 v60, v28, v60
.LBB59_10:                              ;   in Loop: Header=BB59_8 Depth=1
	v_mov_b32_e32 v61, 0
	s_and_b64 vcc, exec, s[6:7]
	v_mov_b32_e32 v64, 0
	s_cbranch_vccnz .LBB59_12
; %bb.11:                               ;   in Loop: Header=BB59_8 Depth=1
	v_lshlrev_b64 v[2:3], 1, v[2:3]
	v_mov_b32_e32 v62, s45
	v_add_co_u32_e32 v2, vcc, s44, v2
	v_addc_co_u32_e32 v3, vcc, v62, v3, vcc
	global_load_ushort v2, v[2:3], off offset:64
	s_waitcnt vmcnt(0)
	v_cvt_f32_f16_e32 v2, v2
	v_mul_f32_e32 v64, v28, v2
.LBB59_12:                              ;   in Loop: Header=BB59_8 Depth=1
	v_and_b32_e32 v3, 0x60, v52
	v_add_f32_e32 v60, v58, v60
	v_add_u32_e32 v3, 32, v3
	v_xor_b32_e32 v58, 16, v52
	v_cmp_lt_i32_e32 vcc, v58, v3
	v_cndmask_b32_e32 v58, v52, v58, vcc
	v_lshlrev_b32_e32 v62, 2, v58
	v_add_f32_e32 v58, v59, v64
	v_add_f32_e32 v2, 0x40051340, v60
	;; [unrolled: 1-line block ×3, first 2 shown]
	v_max3_f32 v2, v57, v2, v59
	ds_bpermute_b32 v59, v62, v2
	v_xor_b32_e32 v64, 8, v52
	v_cmp_lt_i32_e32 vcc, v64, v3
	v_cndmask_b32_e32 v64, v52, v64, vcc
	v_lshlrev_b32_e32 v66, 2, v64
	s_waitcnt lgkmcnt(0)
	v_max_f32_e32 v59, v59, v59
	v_max_f32_e32 v2, v2, v59
	ds_bpermute_b32 v59, v66, v2
	v_xor_b32_e32 v64, 4, v52
	v_cmp_lt_i32_e32 vcc, v64, v3
	v_cndmask_b32_e32 v64, v52, v64, vcc
	v_lshlrev_b32_e32 v65, 2, v64
	s_waitcnt lgkmcnt(0)
	v_max_f32_e32 v59, v59, v59
	v_max_f32_e32 v2, v2, v59
	;; [unrolled: 8-line block ×4, first 2 shown]
	ds_bpermute_b32 v68, v59, v67
	v_add_u32_e32 v2, v63, v45
	s_and_b64 vcc, exec, s[6:7]
	v_ashrrev_i32_e32 v3, 31, v2
	s_cbranch_vccnz .LBB59_14
; %bb.13:                               ;   in Loop: Header=BB59_8 Depth=1
	v_lshlrev_b64 v[69:70], 1, v[2:3]
	v_mov_b32_e32 v61, s45
	v_add_co_u32_e32 v69, vcc, s44, v69
	v_addc_co_u32_e32 v70, vcc, v61, v70, vcc
	global_load_ushort v61, v[69:70], off
	s_waitcnt vmcnt(0)
	v_cvt_f32_f16_e32 v61, v61
	v_mul_f32_e32 v61, v28, v61
.LBB59_14:                              ;   in Loop: Header=BB59_8 Depth=1
	s_and_b64 vcc, exec, s[6:7]
	s_cbranch_vccnz .LBB59_16
; %bb.15:                               ;   in Loop: Header=BB59_8 Depth=1
	v_lshlrev_b64 v[2:3], 1, v[2:3]
	v_mov_b32_e32 v63, s45
	v_add_co_u32_e32 v2, vcc, s44, v2
	v_addc_co_u32_e32 v3, vcc, v63, v3, vcc
	global_load_ushort v2, v[2:3], off offset:64
	s_waitcnt vmcnt(0)
	v_cvt_f32_f16_e32 v2, v2
	v_mul_f32_e32 v2, v28, v2
	s_branch .LBB59_17
.LBB59_16:                              ;   in Loop: Header=BB59_8 Depth=1
	v_mov_b32_e32 v2, 0
.LBB59_17:                              ;   in Loop: Header=BB59_8 Depth=1
	v_add_f32_e32 v73, v35, v61
	v_add_f32_e32 v74, v36, v2
	;; [unrolled: 1-line block ×4, first 2 shown]
	v_max3_f32 v2, v55, v3, v2
	ds_bpermute_b32 v3, v62, v2
	s_waitcnt lgkmcnt(1)
	v_max_f32_e32 v35, v68, v68
	s_mul_hi_i32 s21, s40, s8
	s_mul_i32 s20, s40, s8
	s_lshl_b64 s[20:21], s[20:21], 2
	s_waitcnt lgkmcnt(0)
	v_max_f32_e32 v3, v3, v3
	v_max_f32_e32 v3, v2, v3
	ds_bpermute_b32 v36, v66, v3
	v_max_f32_e32 v2, v67, v67
	v_max_f32_e32 v2, v2, v35
	v_sub_f32_e32 v35, v60, v2
	v_mul_f32_e32 v60, 0x3fb8aa3b, v35
	s_waitcnt lgkmcnt(0)
	v_max_f32_e32 v36, v36, v36
	v_max_f32_e32 v3, v3, v36
	ds_bpermute_b32 v36, v65, v3
	v_fma_f32 v61, v35, s16, -v60
	v_rndne_f32_e32 v62, v60
	v_fmac_f32_e32 v61, 0x32a5705f, v35
	v_sub_f32_e32 v60, v60, v62
	s_waitcnt lgkmcnt(0)
	v_max_f32_e32 v36, v36, v36
	v_max_f32_e32 v3, v3, v36
	ds_bpermute_b32 v36, v64, v3
	v_add_f32_e32 v60, v60, v61
	v_cvt_i32_f32_e32 v62, v62
	v_exp_f32_e32 v60, v60
	v_sub_f32_e32 v75, v57, v2
	s_waitcnt lgkmcnt(0)
	v_max_f32_e32 v36, v36, v36
	v_max_f32_e32 v3, v3, v36
	ds_bpermute_b32 v36, v59, v3
	v_ldexp_f32 v57, v60, v62
	v_cmp_ngt_f32_e32 vcc, s17, v35
	v_sub_f32_e32 v76, v58, v2
	s_add_u32 s20, s26, s20
	s_waitcnt lgkmcnt(0)
	v_max_f32_e32 v36, v36, v36
	v_max_f32_e32 v3, v3, v36
	v_cndmask_b32_e32 v36, 0, v57, vcc
	v_mul_f32_e32 v57, 0x3fb8aa3b, v76
	v_fma_f32 v58, v76, s16, -v57
	v_rndne_f32_e32 v59, v57
	v_fmac_f32_e32 v58, 0x32a5705f, v76
	v_sub_f32_e32 v57, v57, v59
	v_add_f32_e32 v57, v57, v58
	v_exp_f32_e32 v57, v57
	v_cvt_i32_f32_e32 v58, v59
	v_cmp_nlt_f32_e32 vcc, s18, v35
	s_addc_u32 s21, s27, s21
	v_cndmask_b32_e32 v77, v53, v36, vcc
	v_mov_b32_e32 v35, s21
	v_add_co_u32_e32 v36, vcc, s20, v12
	v_ldexp_f32 v79, v57, v58
	v_addc_co_u32_e32 v57, vcc, v35, v13, vcc
	v_add_co_u32_e32 v35, vcc, v36, v51
	v_addc_co_u32_e32 v36, vcc, 0, v57, vcc
	v_mov_b32_e32 v57, s21
	v_add_co_u32_e32 v58, vcc, s20, v14
	v_addc_co_u32_e32 v57, vcc, v57, v15, vcc
	v_add_co_u32_e32 v61, vcc, v58, v51
	v_addc_co_u32_e32 v62, vcc, 0, v57, vcc
	v_mov_b32_e32 v57, s21
	v_add_co_u32_e32 v58, vcc, s20, v16
	;; [unrolled: 5-line block ×3, first 2 shown]
	v_addc_co_u32_e32 v57, vcc, v57, v19, vcc
	v_add_co_u32_e32 v69, vcc, v58, v51
	v_addc_co_u32_e32 v70, vcc, 0, v57, vcc
	s_barrier
	global_load_dwordx4 v[57:60], v[35:36], off
	s_nop 0
	global_load_dwordx4 v[61:64], v[61:62], off
	s_nop 0
	;; [unrolled: 2-line block ×3, first 2 shown]
	global_load_dwordx4 v[69:72], v[69:70], off
	v_cmp_ngt_f32_e32 vcc, s17, v76
	v_mul_f32_e32 v36, 0x3fb8aa3b, v75
	v_cndmask_b32_e32 v35, 0, v79, vcc
	v_fma_f32 v79, v75, s16, -v36
	v_rndne_f32_e32 v80, v36
	v_fmac_f32_e32 v79, 0x32a5705f, v75
	v_sub_f32_e32 v36, v36, v80
	v_add_f32_e32 v36, v36, v79
	v_exp_f32_e32 v79, v36
	v_cvt_i32_f32_e32 v80, v80
	v_cmp_nlt_f32_e32 vcc, s18, v76
	v_cndmask_b32_e32 v35, v53, v35, vcc
	v_add_f32_e32 v36, v77, v35
	v_cvt_f16_f32_e32 v76, v35
	v_ldexp_f32 v35, v79, v80
	v_cmp_ngt_f32_e32 vcc, s17, v75
	v_cndmask_b32_e32 v35, 0, v35, vcc
	v_cmp_nlt_f32_e32 vcc, s18, v75
	v_cndmask_b32_e32 v35, v53, v35, vcc
	v_fmac_f32_e32 v36, v56, v35
	v_sub_f32_e32 v56, v73, v3
	v_mul_f32_e32 v73, 0x3fb8aa3b, v56
	v_cvt_f16_f32_e32 v78, v77
	v_fma_f32 v75, v56, s16, -v73
	v_rndne_f32_e32 v77, v73
	v_fmac_f32_e32 v75, 0x32a5705f, v56
	v_sub_f32_e32 v73, v73, v77
	v_add_f32_e32 v73, v73, v75
	v_cvt_f16_f32_e32 v35, v35
	v_exp_f32_e32 v73, v73
	v_cvt_i32_f32_e32 v75, v77
	v_cmp_ngt_f32_e32 vcc, s17, v56
	v_mul_u32_u24_e32 v77, 0x10001, v35
	v_sub_f32_e32 v35, v55, v3
	v_ldexp_f32 v55, v73, v75
	v_sub_f32_e32 v73, v74, v3
	v_mul_f32_e32 v74, 0x3fb8aa3b, v73
	v_fma_f32 v75, v73, s16, -v74
	v_rndne_f32_e32 v79, v74
	v_fmac_f32_e32 v75, 0x32a5705f, v73
	v_sub_f32_e32 v74, v74, v79
	v_add_f32_e32 v74, v74, v75
	v_exp_f32_e32 v74, v74
	v_cvt_i32_f32_e32 v75, v79
	v_cndmask_b32_e32 v55, 0, v55, vcc
	v_cmp_nlt_f32_e32 vcc, s18, v56
	v_cndmask_b32_e32 v55, v53, v55, vcc
	v_ldexp_f32 v74, v74, v75
	v_mul_f32_e32 v75, 0x3fb8aa3b, v35
	v_fma_f32 v79, v35, s16, -v75
	v_rndne_f32_e32 v80, v75
	v_fmac_f32_e32 v79, 0x32a5705f, v35
	v_sub_f32_e32 v75, v75, v80
	v_add_f32_e32 v75, v75, v79
	v_exp_f32_e32 v75, v75
	v_cvt_i32_f32_e32 v79, v80
	v_cmp_ngt_f32_e32 vcc, s17, v73
	v_cndmask_b32_e32 v74, 0, v74, vcc
	v_cmp_nlt_f32_e32 vcc, s18, v73
	v_cndmask_b32_e32 v73, v53, v74, vcc
	v_ldexp_f32 v74, v75, v79
	v_cmp_ngt_f32_e32 vcc, s17, v35
	v_cvt_f16_f32_e32 v56, v55
	v_cndmask_b32_e32 v74, 0, v74, vcc
	v_cmp_nlt_f32_e32 vcc, s18, v35
	v_add_f32_e32 v35, v55, v73
	v_cvt_f16_f32_e32 v55, v73
	v_cndmask_b32_e32 v74, v53, v74, vcc
	v_cvt_f16_f32_e32 v75, v74
	v_fmac_f32_e32 v35, v54, v74
	v_add_u32_e32 v54, v46, v23
	v_pack_b32_f16 v56, v78, v56
	v_pack_b32_f16 v55, v76, v55
	ds_write2_b32 v54, v56, v55 offset1:32
	s_waitcnt vmcnt(3)
	ds_write_b128 v47, v[57:60]
	s_waitcnt vmcnt(2)
	ds_write_b128 v48, v[61:64]
	;; [unrolled: 2-line block ×4, first 2 shown]
	s_waitcnt lgkmcnt(0)
	s_barrier
	ds_read_b128 v[54:57], v46
	ds_read2_b64 v[58:61], v25 offset1:32
	ds_read_b128 v[62:65], v46 offset:16
	ds_read_b128 v[66:69], v46 offset:32
	;; [unrolled: 1-line block ×3, first 2 shown]
	v_mul_u32_u24_e32 v74, 0x10001, v75
	s_waitcnt lgkmcnt(4)
	v_mul_u32_u24_sdwa v75, v54, s19 dst_sel:DWORD dst_unused:UNUSED_PAD src0_sel:WORD_0 src1_sel:DWORD
	v_mul_u32_u24_sdwa v54, v54, s19 dst_sel:DWORD dst_unused:UNUSED_PAD src0_sel:WORD_1 src1_sel:DWORD
	v_pk_mul_f16 v34, v34, v77
	s_waitcnt lgkmcnt(3)
	v_pk_mul_f16 v76, v58, v75
	v_pk_mul_f16 v58, v58, v54
	;; [unrolled: 1-line block ×3, first 2 shown]
	v_pk_fma_f16 v27, v27, v77, v76
	v_pk_fma_f16 v26, v26, v74, v58
	;; [unrolled: 1-line block ×3, first 2 shown]
	ds_read2_b64 v[74:77], v25 offset0:64 offset1:96
	v_pk_fma_f16 v30, v59, v54, v30
	v_mul_u32_u24_sdwa v54, v55, s19 dst_sel:DWORD dst_unused:UNUSED_PAD src0_sel:WORD_0 src1_sel:DWORD
	v_mul_u32_u24_sdwa v55, v55, s19 dst_sel:DWORD dst_unused:UNUSED_PAD src0_sel:WORD_1 src1_sel:DWORD
	v_pk_fma_f16 v27, v60, v54, v27
	v_pk_fma_f16 v26, v60, v55, v26
	;; [unrolled: 1-line block ×4, first 2 shown]
	v_mul_u32_u24_sdwa v54, v56, s19 dst_sel:DWORD dst_unused:UNUSED_PAD src0_sel:WORD_0 src1_sel:DWORD
	v_mul_u32_u24_sdwa v55, v56, s19 dst_sel:DWORD dst_unused:UNUSED_PAD src0_sel:WORD_1 src1_sel:DWORD
	s_waitcnt lgkmcnt(0)
	v_pk_fma_f16 v27, v74, v54, v27
	v_pk_fma_f16 v26, v74, v55, v26
	;; [unrolled: 1-line block ×4, first 2 shown]
	v_mul_u32_u24_sdwa v58, v57, s19 dst_sel:DWORD dst_unused:UNUSED_PAD src0_sel:WORD_0 src1_sel:DWORD
	v_mul_u32_u24_sdwa v59, v57, s19 dst_sel:DWORD dst_unused:UNUSED_PAD src0_sel:WORD_1 src1_sel:DWORD
	ds_read2_b64 v[54:57], v25 offset0:128 offset1:160
	v_pk_fma_f16 v27, v76, v58, v27
	v_pk_fma_f16 v26, v76, v59, v26
	;; [unrolled: 1-line block ×4, first 2 shown]
	v_mul_u32_u24_sdwa v58, v62, s19 dst_sel:DWORD dst_unused:UNUSED_PAD src0_sel:WORD_0 src1_sel:DWORD
	v_mul_u32_u24_sdwa v59, v62, s19 dst_sel:DWORD dst_unused:UNUSED_PAD src0_sel:WORD_1 src1_sel:DWORD
	s_waitcnt lgkmcnt(0)
	v_pk_fma_f16 v27, v54, v58, v27
	v_pk_fma_f16 v26, v54, v59, v26
	;; [unrolled: 1-line block ×4, first 2 shown]
	ds_read2_b64 v[58:61], v25 offset0:192 offset1:224
	v_mul_u32_u24_sdwa v54, v63, s19 dst_sel:DWORD dst_unused:UNUSED_PAD src0_sel:WORD_0 src1_sel:DWORD
	v_mul_u32_u24_sdwa v55, v63, s19 dst_sel:DWORD dst_unused:UNUSED_PAD src0_sel:WORD_1 src1_sel:DWORD
	v_pk_fma_f16 v27, v56, v54, v27
	v_pk_fma_f16 v26, v56, v55, v26
	;; [unrolled: 1-line block ×4, first 2 shown]
	v_mul_u32_u24_sdwa v54, v64, s19 dst_sel:DWORD dst_unused:UNUSED_PAD src0_sel:WORD_0 src1_sel:DWORD
	v_mul_u32_u24_sdwa v55, v64, s19 dst_sel:DWORD dst_unused:UNUSED_PAD src0_sel:WORD_1 src1_sel:DWORD
	v_add_u32_e32 v62, 0x800, v25
	s_waitcnt lgkmcnt(0)
	v_pk_fma_f16 v27, v58, v54, v27
	v_pk_fma_f16 v26, v58, v55, v26
	;; [unrolled: 1-line block ×4, first 2 shown]
	ds_read2_b64 v[54:57], v62 offset1:32
	v_mul_u32_u24_sdwa v58, v65, s19 dst_sel:DWORD dst_unused:UNUSED_PAD src0_sel:WORD_0 src1_sel:DWORD
	v_mul_u32_u24_sdwa v59, v65, s19 dst_sel:DWORD dst_unused:UNUSED_PAD src0_sel:WORD_1 src1_sel:DWORD
	v_pk_fma_f16 v27, v60, v58, v27
	v_pk_fma_f16 v26, v60, v59, v26
	v_pk_fma_f16 v34, v61, v58, v34
	v_pk_fma_f16 v30, v61, v59, v30
	v_mul_u32_u24_sdwa v58, v66, s19 dst_sel:DWORD dst_unused:UNUSED_PAD src0_sel:WORD_0 src1_sel:DWORD
	v_mul_u32_u24_sdwa v59, v66, s19 dst_sel:DWORD dst_unused:UNUSED_PAD src0_sel:WORD_1 src1_sel:DWORD
	s_waitcnt lgkmcnt(0)
	v_pk_fma_f16 v27, v54, v58, v27
	v_pk_fma_f16 v26, v54, v59, v26
	v_pk_fma_f16 v34, v55, v58, v34
	v_pk_fma_f16 v30, v55, v59, v30
	ds_read2_b64 v[58:61], v62 offset0:64 offset1:96
	v_mul_u32_u24_sdwa v54, v67, s19 dst_sel:DWORD dst_unused:UNUSED_PAD src0_sel:WORD_0 src1_sel:DWORD
	v_mul_u32_u24_sdwa v55, v67, s19 dst_sel:DWORD dst_unused:UNUSED_PAD src0_sel:WORD_1 src1_sel:DWORD
	v_pk_fma_f16 v27, v56, v54, v27
	v_pk_fma_f16 v26, v56, v55, v26
	v_pk_fma_f16 v34, v57, v54, v34
	v_pk_fma_f16 v30, v57, v55, v30
	v_mul_u32_u24_sdwa v54, v68, s19 dst_sel:DWORD dst_unused:UNUSED_PAD src0_sel:WORD_0 src1_sel:DWORD
	v_mul_u32_u24_sdwa v55, v68, s19 dst_sel:DWORD dst_unused:UNUSED_PAD src0_sel:WORD_1 src1_sel:DWORD
	s_waitcnt lgkmcnt(0)
	v_pk_fma_f16 v27, v58, v54, v27
	v_pk_fma_f16 v26, v58, v55, v26
	v_pk_fma_f16 v34, v59, v54, v34
	v_pk_fma_f16 v30, v59, v55, v30
	ds_read2_b64 v[54:57], v62 offset0:128 offset1:160
	;; [unrolled: 14-line block ×3, first 2 shown]
	v_mul_u32_u24_sdwa v54, v71, s19 dst_sel:DWORD dst_unused:UNUSED_PAD src0_sel:WORD_0 src1_sel:DWORD
	v_mul_u32_u24_sdwa v55, v71, s19 dst_sel:DWORD dst_unused:UNUSED_PAD src0_sel:WORD_1 src1_sel:DWORD
	v_pk_fma_f16 v27, v56, v54, v27
	v_pk_fma_f16 v34, v57, v54, v34
	v_mul_u32_u24_sdwa v54, v72, s19 dst_sel:DWORD dst_unused:UNUSED_PAD src0_sel:WORD_0 src1_sel:DWORD
	v_pk_fma_f16 v26, v56, v55, v26
	v_pk_fma_f16 v30, v57, v55, v30
	v_mul_u32_u24_sdwa v55, v72, s19 dst_sel:DWORD dst_unused:UNUSED_PAD src0_sel:WORD_1 src1_sel:DWORD
	s_waitcnt lgkmcnt(0)
	v_pk_fma_f16 v27, v58, v54, v27
	v_pk_fma_f16 v34, v59, v54, v34
	v_mul_u32_u24_sdwa v54, v73, s19 dst_sel:DWORD dst_unused:UNUSED_PAD src0_sel:WORD_0 src1_sel:DWORD
	v_pk_fma_f16 v26, v58, v55, v26
	v_pk_fma_f16 v30, v59, v55, v30
	;; [unrolled: 1-line block ×4, first 2 shown]
	ds_read_b128 v[54:57], v46 offset:64
	v_add_u32_e32 v70, 0x1000, v25
	ds_read2_b64 v[62:65], v70 offset1:32
	v_mul_u32_u24_sdwa v58, v73, s19 dst_sel:DWORD dst_unused:UNUSED_PAD src0_sel:WORD_1 src1_sel:DWORD
	v_pk_fma_f16 v26, v60, v58, v26
	v_pk_fma_f16 v30, v61, v58, v30
	ds_read_b128 v[58:61], v46 offset:80
	s_waitcnt lgkmcnt(2)
	v_mul_u32_u24_sdwa v66, v54, s19 dst_sel:DWORD dst_unused:UNUSED_PAD src0_sel:WORD_0 src1_sel:DWORD
	s_waitcnt lgkmcnt(1)
	v_pk_fma_f16 v27, v62, v66, v27
	v_pk_fma_f16 v34, v63, v66, v34
	ds_read2_b64 v[66:69], v70 offset0:64 offset1:96
	v_mul_u32_u24_sdwa v54, v54, s19 dst_sel:DWORD dst_unused:UNUSED_PAD src0_sel:WORD_1 src1_sel:DWORD
	v_pk_fma_f16 v26, v62, v54, v26
	v_pk_fma_f16 v30, v63, v54, v30
	v_mul_u32_u24_sdwa v54, v55, s19 dst_sel:DWORD dst_unused:UNUSED_PAD src0_sel:WORD_0 src1_sel:DWORD
	v_mul_u32_u24_sdwa v55, v55, s19 dst_sel:DWORD dst_unused:UNUSED_PAD src0_sel:WORD_1 src1_sel:DWORD
	v_pk_fma_f16 v27, v64, v54, v27
	v_pk_fma_f16 v26, v64, v55, v26
	;; [unrolled: 1-line block ×4, first 2 shown]
	v_mul_u32_u24_sdwa v54, v56, s19 dst_sel:DWORD dst_unused:UNUSED_PAD src0_sel:WORD_0 src1_sel:DWORD
	v_mul_u32_u24_sdwa v55, v56, s19 dst_sel:DWORD dst_unused:UNUSED_PAD src0_sel:WORD_1 src1_sel:DWORD
	s_waitcnt lgkmcnt(0)
	v_pk_fma_f16 v27, v66, v54, v27
	v_pk_fma_f16 v26, v66, v55, v26
	;; [unrolled: 1-line block ×4, first 2 shown]
	v_mul_u32_u24_sdwa v62, v57, s19 dst_sel:DWORD dst_unused:UNUSED_PAD src0_sel:WORD_0 src1_sel:DWORD
	v_mul_u32_u24_sdwa v63, v57, s19 dst_sel:DWORD dst_unused:UNUSED_PAD src0_sel:WORD_1 src1_sel:DWORD
	ds_read2_b64 v[54:57], v70 offset0:128 offset1:160
	v_pk_fma_f16 v27, v68, v62, v27
	v_pk_fma_f16 v34, v69, v62, v34
	v_mul_u32_u24_sdwa v62, v58, s19 dst_sel:DWORD dst_unused:UNUSED_PAD src0_sel:WORD_0 src1_sel:DWORD
	v_pk_fma_f16 v26, v68, v63, v26
	v_pk_fma_f16 v30, v69, v63, v30
	s_waitcnt lgkmcnt(0)
	v_pk_fma_f16 v27, v54, v62, v27
	v_pk_fma_f16 v34, v55, v62, v34
	ds_read2_b64 v[62:65], v70 offset0:192 offset1:224
	v_mul_u32_u24_sdwa v58, v58, s19 dst_sel:DWORD dst_unused:UNUSED_PAD src0_sel:WORD_1 src1_sel:DWORD
	v_pk_fma_f16 v26, v54, v58, v26
	v_mul_u32_u24_sdwa v54, v59, s19 dst_sel:DWORD dst_unused:UNUSED_PAD src0_sel:WORD_0 src1_sel:DWORD
	v_pk_fma_f16 v30, v55, v58, v30
	v_mul_u32_u24_sdwa v55, v59, s19 dst_sel:DWORD dst_unused:UNUSED_PAD src0_sel:WORD_1 src1_sel:DWORD
	v_pk_fma_f16 v27, v56, v54, v27
	v_pk_fma_f16 v34, v57, v54, v34
	v_mul_u32_u24_sdwa v54, v60, s19 dst_sel:DWORD dst_unused:UNUSED_PAD src0_sel:WORD_0 src1_sel:DWORD
	v_pk_fma_f16 v26, v56, v55, v26
	v_pk_fma_f16 v30, v57, v55, v30
	v_mul_u32_u24_sdwa v55, v60, s19 dst_sel:DWORD dst_unused:UNUSED_PAD src0_sel:WORD_1 src1_sel:DWORD
	s_waitcnt lgkmcnt(0)
	v_pk_fma_f16 v27, v62, v54, v27
	v_pk_fma_f16 v34, v63, v54, v34
	v_mul_u32_u24_sdwa v54, v61, s19 dst_sel:DWORD dst_unused:UNUSED_PAD src0_sel:WORD_0 src1_sel:DWORD
	v_pk_fma_f16 v26, v62, v55, v26
	v_pk_fma_f16 v30, v63, v55, v30
	;; [unrolled: 1-line block ×4, first 2 shown]
	ds_read_b128 v[54:57], v46 offset:96
	v_add_u32_e32 v70, 0x1800, v25
	v_mul_u32_u24_sdwa v62, v61, s19 dst_sel:DWORD dst_unused:UNUSED_PAD src0_sel:WORD_1 src1_sel:DWORD
	ds_read2_b64 v[58:61], v70 offset1:32
	v_pk_fma_f16 v26, v64, v62, v26
	v_pk_fma_f16 v30, v65, v62, v30
	ds_read_b128 v[62:65], v46 offset:112
	s_waitcnt lgkmcnt(2)
	v_mul_u32_u24_sdwa v66, v54, s19 dst_sel:DWORD dst_unused:UNUSED_PAD src0_sel:WORD_0 src1_sel:DWORD
	s_waitcnt lgkmcnt(1)
	v_pk_fma_f16 v27, v58, v66, v27
	v_pk_fma_f16 v34, v59, v66, v34
	ds_read2_b64 v[66:69], v70 offset0:64 offset1:96
	v_mul_u32_u24_sdwa v54, v54, s19 dst_sel:DWORD dst_unused:UNUSED_PAD src0_sel:WORD_1 src1_sel:DWORD
	v_pk_fma_f16 v26, v58, v54, v26
	v_pk_fma_f16 v30, v59, v54, v30
	v_mul_u32_u24_sdwa v54, v55, s19 dst_sel:DWORD dst_unused:UNUSED_PAD src0_sel:WORD_0 src1_sel:DWORD
	v_mul_u32_u24_sdwa v55, v55, s19 dst_sel:DWORD dst_unused:UNUSED_PAD src0_sel:WORD_1 src1_sel:DWORD
	v_pk_fma_f16 v27, v60, v54, v27
	v_pk_fma_f16 v26, v60, v55, v26
	;; [unrolled: 1-line block ×4, first 2 shown]
	v_mul_u32_u24_sdwa v54, v56, s19 dst_sel:DWORD dst_unused:UNUSED_PAD src0_sel:WORD_0 src1_sel:DWORD
	v_mul_u32_u24_sdwa v55, v56, s19 dst_sel:DWORD dst_unused:UNUSED_PAD src0_sel:WORD_1 src1_sel:DWORD
	s_waitcnt lgkmcnt(0)
	v_pk_fma_f16 v27, v66, v54, v27
	v_pk_fma_f16 v26, v66, v55, v26
	;; [unrolled: 1-line block ×4, first 2 shown]
	v_mul_u32_u24_sdwa v58, v57, s19 dst_sel:DWORD dst_unused:UNUSED_PAD src0_sel:WORD_0 src1_sel:DWORD
	v_mul_u32_u24_sdwa v59, v57, s19 dst_sel:DWORD dst_unused:UNUSED_PAD src0_sel:WORD_1 src1_sel:DWORD
	ds_read2_b64 v[54:57], v70 offset0:128 offset1:160
	v_pk_fma_f16 v27, v68, v58, v27
	v_pk_fma_f16 v26, v68, v59, v26
	;; [unrolled: 1-line block ×4, first 2 shown]
	v_mul_u32_u24_sdwa v58, v62, s19 dst_sel:DWORD dst_unused:UNUSED_PAD src0_sel:WORD_0 src1_sel:DWORD
	v_mul_u32_u24_sdwa v59, v62, s19 dst_sel:DWORD dst_unused:UNUSED_PAD src0_sel:WORD_1 src1_sel:DWORD
	s_waitcnt lgkmcnt(0)
	v_pk_fma_f16 v27, v54, v58, v27
	v_pk_fma_f16 v26, v54, v59, v26
	;; [unrolled: 1-line block ×4, first 2 shown]
	ds_read2_b64 v[58:61], v70 offset0:192 offset1:224
	v_mul_u32_u24_sdwa v54, v63, s19 dst_sel:DWORD dst_unused:UNUSED_PAD src0_sel:WORD_0 src1_sel:DWORD
	v_mul_u32_u24_sdwa v55, v63, s19 dst_sel:DWORD dst_unused:UNUSED_PAD src0_sel:WORD_1 src1_sel:DWORD
	v_pk_fma_f16 v27, v56, v54, v27
	v_pk_fma_f16 v34, v57, v54, v34
	v_mul_u32_u24_sdwa v54, v64, s19 dst_sel:DWORD dst_unused:UNUSED_PAD src0_sel:WORD_0 src1_sel:DWORD
	v_pk_fma_f16 v26, v56, v55, v26
	v_pk_fma_f16 v30, v57, v55, v30
	v_mul_u32_u24_sdwa v55, v64, s19 dst_sel:DWORD dst_unused:UNUSED_PAD src0_sel:WORD_1 src1_sel:DWORD
	s_waitcnt lgkmcnt(0)
	v_pk_fma_f16 v27, v58, v54, v27
	v_pk_fma_f16 v34, v59, v54, v34
	v_mul_u32_u24_sdwa v54, v65, s19 dst_sel:DWORD dst_unused:UNUSED_PAD src0_sel:WORD_0 src1_sel:DWORD
	v_pk_fma_f16 v26, v58, v55, v26
	v_pk_fma_f16 v30, v59, v55, v30
	;; [unrolled: 1-line block ×4, first 2 shown]
	ds_read_b128 v[54:57], v46 offset:128
	v_add_u32_e32 v70, 0x2000, v25
	v_mul_u32_u24_sdwa v58, v65, s19 dst_sel:DWORD dst_unused:UNUSED_PAD src0_sel:WORD_1 src1_sel:DWORD
	ds_read2_b64 v[62:65], v70 offset1:32
	v_pk_fma_f16 v26, v60, v58, v26
	v_pk_fma_f16 v30, v61, v58, v30
	ds_read_b128 v[58:61], v46 offset:144
	s_waitcnt lgkmcnt(2)
	v_mul_u32_u24_sdwa v66, v54, s19 dst_sel:DWORD dst_unused:UNUSED_PAD src0_sel:WORD_0 src1_sel:DWORD
	s_waitcnt lgkmcnt(1)
	v_pk_fma_f16 v27, v62, v66, v27
	v_pk_fma_f16 v34, v63, v66, v34
	ds_read2_b64 v[66:69], v70 offset0:64 offset1:96
	v_mul_u32_u24_sdwa v54, v54, s19 dst_sel:DWORD dst_unused:UNUSED_PAD src0_sel:WORD_1 src1_sel:DWORD
	v_pk_fma_f16 v26, v62, v54, v26
	v_pk_fma_f16 v30, v63, v54, v30
	v_mul_u32_u24_sdwa v54, v55, s19 dst_sel:DWORD dst_unused:UNUSED_PAD src0_sel:WORD_0 src1_sel:DWORD
	v_mul_u32_u24_sdwa v55, v55, s19 dst_sel:DWORD dst_unused:UNUSED_PAD src0_sel:WORD_1 src1_sel:DWORD
	v_pk_fma_f16 v27, v64, v54, v27
	v_pk_fma_f16 v26, v64, v55, v26
	;; [unrolled: 1-line block ×4, first 2 shown]
	v_mul_u32_u24_sdwa v54, v56, s19 dst_sel:DWORD dst_unused:UNUSED_PAD src0_sel:WORD_0 src1_sel:DWORD
	v_mul_u32_u24_sdwa v55, v56, s19 dst_sel:DWORD dst_unused:UNUSED_PAD src0_sel:WORD_1 src1_sel:DWORD
	s_waitcnt lgkmcnt(0)
	v_pk_fma_f16 v27, v66, v54, v27
	v_pk_fma_f16 v26, v66, v55, v26
	;; [unrolled: 1-line block ×4, first 2 shown]
	v_mul_u32_u24_sdwa v62, v57, s19 dst_sel:DWORD dst_unused:UNUSED_PAD src0_sel:WORD_0 src1_sel:DWORD
	v_mul_u32_u24_sdwa v63, v57, s19 dst_sel:DWORD dst_unused:UNUSED_PAD src0_sel:WORD_1 src1_sel:DWORD
	ds_read2_b64 v[54:57], v70 offset0:128 offset1:160
	v_pk_fma_f16 v27, v68, v62, v27
	v_pk_fma_f16 v34, v69, v62, v34
	v_mul_u32_u24_sdwa v62, v58, s19 dst_sel:DWORD dst_unused:UNUSED_PAD src0_sel:WORD_0 src1_sel:DWORD
	v_pk_fma_f16 v26, v68, v63, v26
	v_pk_fma_f16 v30, v69, v63, v30
	s_waitcnt lgkmcnt(0)
	v_pk_fma_f16 v27, v54, v62, v27
	v_pk_fma_f16 v34, v55, v62, v34
	ds_read2_b64 v[62:65], v70 offset0:192 offset1:224
	v_mul_u32_u24_sdwa v58, v58, s19 dst_sel:DWORD dst_unused:UNUSED_PAD src0_sel:WORD_1 src1_sel:DWORD
	v_pk_fma_f16 v26, v54, v58, v26
	v_mul_u32_u24_sdwa v54, v59, s19 dst_sel:DWORD dst_unused:UNUSED_PAD src0_sel:WORD_0 src1_sel:DWORD
	v_pk_fma_f16 v30, v55, v58, v30
	v_mul_u32_u24_sdwa v55, v59, s19 dst_sel:DWORD dst_unused:UNUSED_PAD src0_sel:WORD_1 src1_sel:DWORD
	v_pk_fma_f16 v27, v56, v54, v27
	v_pk_fma_f16 v34, v57, v54, v34
	v_mul_u32_u24_sdwa v54, v60, s19 dst_sel:DWORD dst_unused:UNUSED_PAD src0_sel:WORD_0 src1_sel:DWORD
	v_pk_fma_f16 v26, v56, v55, v26
	v_pk_fma_f16 v30, v57, v55, v30
	v_mul_u32_u24_sdwa v55, v60, s19 dst_sel:DWORD dst_unused:UNUSED_PAD src0_sel:WORD_1 src1_sel:DWORD
	s_waitcnt lgkmcnt(0)
	v_pk_fma_f16 v27, v62, v54, v27
	v_pk_fma_f16 v34, v63, v54, v34
	v_mul_u32_u24_sdwa v54, v61, s19 dst_sel:DWORD dst_unused:UNUSED_PAD src0_sel:WORD_0 src1_sel:DWORD
	v_pk_fma_f16 v26, v62, v55, v26
	v_pk_fma_f16 v30, v63, v55, v30
	v_pk_fma_f16 v27, v64, v54, v27
	v_pk_fma_f16 v34, v65, v54, v34
	ds_read_b128 v[54:57], v46 offset:160
	v_add_u32_e32 v70, 0x2800, v25
	v_mul_u32_u24_sdwa v62, v61, s19 dst_sel:DWORD dst_unused:UNUSED_PAD src0_sel:WORD_1 src1_sel:DWORD
	ds_read2_b64 v[58:61], v70 offset1:32
	v_pk_fma_f16 v26, v64, v62, v26
	v_pk_fma_f16 v30, v65, v62, v30
	ds_read_b128 v[62:65], v46 offset:176
	s_waitcnt lgkmcnt(2)
	v_mul_u32_u24_sdwa v66, v54, s19 dst_sel:DWORD dst_unused:UNUSED_PAD src0_sel:WORD_0 src1_sel:DWORD
	s_waitcnt lgkmcnt(1)
	v_pk_fma_f16 v27, v58, v66, v27
	v_pk_fma_f16 v34, v59, v66, v34
	ds_read2_b64 v[66:69], v70 offset0:64 offset1:96
	v_mul_u32_u24_sdwa v54, v54, s19 dst_sel:DWORD dst_unused:UNUSED_PAD src0_sel:WORD_1 src1_sel:DWORD
	v_pk_fma_f16 v26, v58, v54, v26
	v_pk_fma_f16 v30, v59, v54, v30
	v_mul_u32_u24_sdwa v54, v55, s19 dst_sel:DWORD dst_unused:UNUSED_PAD src0_sel:WORD_0 src1_sel:DWORD
	v_mul_u32_u24_sdwa v55, v55, s19 dst_sel:DWORD dst_unused:UNUSED_PAD src0_sel:WORD_1 src1_sel:DWORD
	v_pk_fma_f16 v27, v60, v54, v27
	v_pk_fma_f16 v26, v60, v55, v26
	;; [unrolled: 1-line block ×4, first 2 shown]
	v_mul_u32_u24_sdwa v54, v56, s19 dst_sel:DWORD dst_unused:UNUSED_PAD src0_sel:WORD_0 src1_sel:DWORD
	v_mul_u32_u24_sdwa v55, v56, s19 dst_sel:DWORD dst_unused:UNUSED_PAD src0_sel:WORD_1 src1_sel:DWORD
	s_waitcnt lgkmcnt(0)
	v_pk_fma_f16 v27, v66, v54, v27
	v_pk_fma_f16 v26, v66, v55, v26
	;; [unrolled: 1-line block ×4, first 2 shown]
	v_mul_u32_u24_sdwa v58, v57, s19 dst_sel:DWORD dst_unused:UNUSED_PAD src0_sel:WORD_0 src1_sel:DWORD
	v_mul_u32_u24_sdwa v59, v57, s19 dst_sel:DWORD dst_unused:UNUSED_PAD src0_sel:WORD_1 src1_sel:DWORD
	ds_read2_b64 v[54:57], v70 offset0:128 offset1:160
	v_pk_fma_f16 v27, v68, v58, v27
	v_pk_fma_f16 v26, v68, v59, v26
	;; [unrolled: 1-line block ×4, first 2 shown]
	v_mul_u32_u24_sdwa v58, v62, s19 dst_sel:DWORD dst_unused:UNUSED_PAD src0_sel:WORD_0 src1_sel:DWORD
	v_mul_u32_u24_sdwa v59, v62, s19 dst_sel:DWORD dst_unused:UNUSED_PAD src0_sel:WORD_1 src1_sel:DWORD
	s_waitcnt lgkmcnt(0)
	v_pk_fma_f16 v27, v54, v58, v27
	v_pk_fma_f16 v26, v54, v59, v26
	;; [unrolled: 1-line block ×4, first 2 shown]
	ds_read2_b64 v[58:61], v70 offset0:192 offset1:224
	v_mul_u32_u24_sdwa v54, v63, s19 dst_sel:DWORD dst_unused:UNUSED_PAD src0_sel:WORD_0 src1_sel:DWORD
	v_mul_u32_u24_sdwa v55, v63, s19 dst_sel:DWORD dst_unused:UNUSED_PAD src0_sel:WORD_1 src1_sel:DWORD
	v_pk_fma_f16 v27, v56, v54, v27
	v_pk_fma_f16 v34, v57, v54, v34
	v_mul_u32_u24_sdwa v54, v64, s19 dst_sel:DWORD dst_unused:UNUSED_PAD src0_sel:WORD_0 src1_sel:DWORD
	v_pk_fma_f16 v26, v56, v55, v26
	v_pk_fma_f16 v30, v57, v55, v30
	v_mul_u32_u24_sdwa v55, v64, s19 dst_sel:DWORD dst_unused:UNUSED_PAD src0_sel:WORD_1 src1_sel:DWORD
	s_waitcnt lgkmcnt(0)
	v_pk_fma_f16 v27, v58, v54, v27
	v_pk_fma_f16 v34, v59, v54, v34
	v_mul_u32_u24_sdwa v54, v65, s19 dst_sel:DWORD dst_unused:UNUSED_PAD src0_sel:WORD_0 src1_sel:DWORD
	v_pk_fma_f16 v26, v58, v55, v26
	v_pk_fma_f16 v30, v59, v55, v30
	;; [unrolled: 1-line block ×4, first 2 shown]
	ds_read_b128 v[54:57], v46 offset:192
	v_add_u32_e32 v70, 0x3000, v25
	v_mul_u32_u24_sdwa v58, v65, s19 dst_sel:DWORD dst_unused:UNUSED_PAD src0_sel:WORD_1 src1_sel:DWORD
	ds_read2_b64 v[62:65], v70 offset1:32
	v_pk_fma_f16 v26, v60, v58, v26
	v_pk_fma_f16 v30, v61, v58, v30
	ds_read_b128 v[58:61], v46 offset:208
	s_waitcnt lgkmcnt(2)
	v_mul_u32_u24_sdwa v66, v54, s19 dst_sel:DWORD dst_unused:UNUSED_PAD src0_sel:WORD_0 src1_sel:DWORD
	s_waitcnt lgkmcnt(1)
	v_pk_fma_f16 v27, v62, v66, v27
	v_pk_fma_f16 v34, v63, v66, v34
	ds_read2_b64 v[66:69], v70 offset0:64 offset1:96
	v_mul_u32_u24_sdwa v54, v54, s19 dst_sel:DWORD dst_unused:UNUSED_PAD src0_sel:WORD_1 src1_sel:DWORD
	v_pk_fma_f16 v26, v62, v54, v26
	v_pk_fma_f16 v30, v63, v54, v30
	v_mul_u32_u24_sdwa v54, v55, s19 dst_sel:DWORD dst_unused:UNUSED_PAD src0_sel:WORD_0 src1_sel:DWORD
	v_mul_u32_u24_sdwa v55, v55, s19 dst_sel:DWORD dst_unused:UNUSED_PAD src0_sel:WORD_1 src1_sel:DWORD
	v_pk_fma_f16 v27, v64, v54, v27
	v_pk_fma_f16 v26, v64, v55, v26
	;; [unrolled: 1-line block ×4, first 2 shown]
	v_mul_u32_u24_sdwa v54, v56, s19 dst_sel:DWORD dst_unused:UNUSED_PAD src0_sel:WORD_0 src1_sel:DWORD
	v_mul_u32_u24_sdwa v55, v56, s19 dst_sel:DWORD dst_unused:UNUSED_PAD src0_sel:WORD_1 src1_sel:DWORD
	s_waitcnt lgkmcnt(0)
	v_pk_fma_f16 v27, v66, v54, v27
	v_pk_fma_f16 v26, v66, v55, v26
	v_pk_fma_f16 v34, v67, v54, v34
	v_pk_fma_f16 v30, v67, v55, v30
	v_mul_u32_u24_sdwa v62, v57, s19 dst_sel:DWORD dst_unused:UNUSED_PAD src0_sel:WORD_0 src1_sel:DWORD
	v_mul_u32_u24_sdwa v63, v57, s19 dst_sel:DWORD dst_unused:UNUSED_PAD src0_sel:WORD_1 src1_sel:DWORD
	ds_read2_b64 v[54:57], v70 offset0:128 offset1:160
	v_pk_fma_f16 v27, v68, v62, v27
	v_pk_fma_f16 v34, v69, v62, v34
	v_mul_u32_u24_sdwa v62, v58, s19 dst_sel:DWORD dst_unused:UNUSED_PAD src0_sel:WORD_0 src1_sel:DWORD
	v_pk_fma_f16 v26, v68, v63, v26
	v_pk_fma_f16 v30, v69, v63, v30
	s_waitcnt lgkmcnt(0)
	v_pk_fma_f16 v27, v54, v62, v27
	v_pk_fma_f16 v34, v55, v62, v34
	ds_read2_b64 v[62:65], v70 offset0:192 offset1:224
	v_mul_u32_u24_sdwa v58, v58, s19 dst_sel:DWORD dst_unused:UNUSED_PAD src0_sel:WORD_1 src1_sel:DWORD
	v_pk_fma_f16 v26, v54, v58, v26
	v_mul_u32_u24_sdwa v54, v59, s19 dst_sel:DWORD dst_unused:UNUSED_PAD src0_sel:WORD_0 src1_sel:DWORD
	v_pk_fma_f16 v30, v55, v58, v30
	v_mul_u32_u24_sdwa v55, v59, s19 dst_sel:DWORD dst_unused:UNUSED_PAD src0_sel:WORD_1 src1_sel:DWORD
	v_pk_fma_f16 v27, v56, v54, v27
	v_pk_fma_f16 v34, v57, v54, v34
	v_mul_u32_u24_sdwa v54, v60, s19 dst_sel:DWORD dst_unused:UNUSED_PAD src0_sel:WORD_0 src1_sel:DWORD
	v_pk_fma_f16 v26, v56, v55, v26
	v_pk_fma_f16 v30, v57, v55, v30
	v_mul_u32_u24_sdwa v55, v60, s19 dst_sel:DWORD dst_unused:UNUSED_PAD src0_sel:WORD_1 src1_sel:DWORD
	s_waitcnt lgkmcnt(0)
	v_pk_fma_f16 v27, v62, v54, v27
	v_pk_fma_f16 v34, v63, v54, v34
	v_mul_u32_u24_sdwa v54, v61, s19 dst_sel:DWORD dst_unused:UNUSED_PAD src0_sel:WORD_0 src1_sel:DWORD
	v_pk_fma_f16 v26, v62, v55, v26
	v_pk_fma_f16 v30, v63, v55, v30
	;; [unrolled: 1-line block ×4, first 2 shown]
	ds_read_b128 v[54:57], v46 offset:224
	v_add_u32_e32 v70, 0x3800, v25
	v_mul_u32_u24_sdwa v62, v61, s19 dst_sel:DWORD dst_unused:UNUSED_PAD src0_sel:WORD_1 src1_sel:DWORD
	ds_read2_b64 v[58:61], v70 offset1:32
	v_pk_fma_f16 v26, v64, v62, v26
	v_pk_fma_f16 v30, v65, v62, v30
	ds_read_b128 v[62:65], v46 offset:240
	s_waitcnt lgkmcnt(2)
	v_mul_u32_u24_sdwa v66, v54, s19 dst_sel:DWORD dst_unused:UNUSED_PAD src0_sel:WORD_0 src1_sel:DWORD
	s_waitcnt lgkmcnt(1)
	v_pk_fma_f16 v27, v58, v66, v27
	v_pk_fma_f16 v34, v59, v66, v34
	ds_read2_b64 v[66:69], v70 offset0:64 offset1:96
	v_mul_u32_u24_sdwa v54, v54, s19 dst_sel:DWORD dst_unused:UNUSED_PAD src0_sel:WORD_1 src1_sel:DWORD
	v_pk_fma_f16 v26, v58, v54, v26
	v_pk_fma_f16 v30, v59, v54, v30
	v_mul_u32_u24_sdwa v54, v55, s19 dst_sel:DWORD dst_unused:UNUSED_PAD src0_sel:WORD_0 src1_sel:DWORD
	v_mul_u32_u24_sdwa v55, v55, s19 dst_sel:DWORD dst_unused:UNUSED_PAD src0_sel:WORD_1 src1_sel:DWORD
	v_pk_fma_f16 v27, v60, v54, v27
	v_pk_fma_f16 v26, v60, v55, v26
	;; [unrolled: 1-line block ×4, first 2 shown]
	v_mul_u32_u24_sdwa v54, v56, s19 dst_sel:DWORD dst_unused:UNUSED_PAD src0_sel:WORD_0 src1_sel:DWORD
	v_mul_u32_u24_sdwa v55, v56, s19 dst_sel:DWORD dst_unused:UNUSED_PAD src0_sel:WORD_1 src1_sel:DWORD
	s_waitcnt lgkmcnt(0)
	v_pk_fma_f16 v27, v66, v54, v27
	v_pk_fma_f16 v26, v66, v55, v26
	;; [unrolled: 1-line block ×4, first 2 shown]
	v_mul_u32_u24_sdwa v58, v57, s19 dst_sel:DWORD dst_unused:UNUSED_PAD src0_sel:WORD_0 src1_sel:DWORD
	v_mul_u32_u24_sdwa v59, v57, s19 dst_sel:DWORD dst_unused:UNUSED_PAD src0_sel:WORD_1 src1_sel:DWORD
	ds_read2_b64 v[54:57], v70 offset0:128 offset1:160
	v_pk_fma_f16 v27, v68, v58, v27
	v_pk_fma_f16 v26, v68, v59, v26
	v_pk_fma_f16 v34, v69, v58, v34
	v_pk_fma_f16 v30, v69, v59, v30
	v_mul_u32_u24_sdwa v58, v62, s19 dst_sel:DWORD dst_unused:UNUSED_PAD src0_sel:WORD_0 src1_sel:DWORD
	v_mul_u32_u24_sdwa v59, v62, s19 dst_sel:DWORD dst_unused:UNUSED_PAD src0_sel:WORD_1 src1_sel:DWORD
	s_waitcnt lgkmcnt(0)
	v_pk_fma_f16 v27, v54, v58, v27
	v_pk_fma_f16 v26, v54, v59, v26
	;; [unrolled: 1-line block ×4, first 2 shown]
	ds_read2_b64 v[58:61], v70 offset0:192 offset1:224
	s_waitcnt lgkmcnt(0)
	s_barrier
	s_load_dword s20, s[10:11], 0x4
	v_mul_u32_u24_sdwa v54, v63, s19 dst_sel:DWORD dst_unused:UNUSED_PAD src0_sel:WORD_0 src1_sel:DWORD
	v_mul_u32_u24_sdwa v55, v63, s19 dst_sel:DWORD dst_unused:UNUSED_PAD src0_sel:WORD_1 src1_sel:DWORD
	v_pk_fma_f16 v27, v56, v54, v27
	v_pk_fma_f16 v26, v56, v55, v26
	v_pk_fma_f16 v34, v57, v54, v34
	v_pk_fma_f16 v30, v57, v55, v30
	v_mul_u32_u24_sdwa v54, v64, s19 dst_sel:DWORD dst_unused:UNUSED_PAD src0_sel:WORD_0 src1_sel:DWORD
	v_mul_u32_u24_sdwa v55, v64, s19 dst_sel:DWORD dst_unused:UNUSED_PAD src0_sel:WORD_1 src1_sel:DWORD
	s_waitcnt lgkmcnt(0)
	s_lshl_b32 s20, s20, 6
	v_pk_fma_f16 v27, v58, v54, v27
	v_pk_fma_f16 v26, v58, v55, v26
	;; [unrolled: 1-line block ×4, first 2 shown]
	v_mul_u32_u24_sdwa v54, v65, s19 dst_sel:DWORD dst_unused:UNUSED_PAD src0_sel:WORD_0 src1_sel:DWORD
	v_mul_u32_u24_sdwa v55, v65, s19 dst_sel:DWORD dst_unused:UNUSED_PAD src0_sel:WORD_1 src1_sel:DWORD
	s_add_i32 s40, s20, s40
	v_pk_fma_f16 v27, v60, v54, v27
	v_pk_fma_f16 v26, v60, v55, v26
	;; [unrolled: 1-line block ×3, first 2 shown]
	s_cmp_lt_i32 s40, s15
	v_pk_fma_f16 v30, v61, v55, v30
	s_cbranch_scc0 .LBB59_20
; %bb.18:                               ;   in Loop: Header=BB59_8 Depth=1
	v_mov_b32_e32 v57, v2
	v_mov_b32_e32 v55, v3
	;; [unrolled: 1-line block ×4, first 2 shown]
	s_branch .LBB59_8
.LBB59_19:
	v_mov_b32_e32 v2, 0xfeffffff
	v_mov_b32_e32 v3, v2
	;; [unrolled: 1-line block ×7, first 2 shown]
.LBB59_20:
	s_cmp_gt_i32 s46, s40
	s_cbranch_scc1 .LBB59_22
; %bb.21:
	v_mbcnt_hi_u32_b32 v7, -1, v32
	v_and_b32_e32 v4, 0x60, v7
	v_add_u32_e32 v8, 32, v4
	v_xor_b32_e32 v12, 16, v7
	v_xor_b32_e32 v9, 8, v7
	;; [unrolled: 1-line block ×5, first 2 shown]
	s_cbranch_execz .LBB59_23
	s_branch .LBB59_43
.LBB59_22:
                                        ; implicit-def: $vgpr7
                                        ; implicit-def: $vgpr8
                                        ; implicit-def: $vgpr12
                                        ; implicit-def: $vgpr9
                                        ; implicit-def: $vgpr10
                                        ; implicit-def: $vgpr11
                                        ; implicit-def: $vgpr13
.LBB59_23:
	v_add_u32_e32 v17, v38, v22
	v_mul_lo_u32 v5, s12, v17
	s_mul_hi_i32 s11, s40, s12
	s_mul_i32 s10, s40, s12
	s_mov_b64 s[6:7], src_private_base
	s_sub_i32 s42, s46, s40
	s_lshl_b64 s[10:11], s[10:11], 2
	v_ashrrev_i32_e32 v6, 31, v5
	s_add_u32 s6, s14, s10
	v_lshlrev_b64 v[8:9], 2, v[5:6]
	s_addc_u32 s14, s13, s11
	v_mov_b32_e32 v6, s14
	v_add_co_u32_e32 v8, vcc, s6, v8
	v_lshlrev_b32_e32 v4, 2, v37
	v_addc_co_u32_e32 v6, vcc, v6, v9, vcc
	v_add_co_u32_e32 v8, vcc, v8, v4
	v_mov_b32_e32 v7, 0
	v_addc_co_u32_e32 v6, vcc, 0, v6, vcc
	v_mov_b32_e32 v14, s7
	v_cmp_gt_i32_e64 s[10:11], s42, v17
	v_mov_b32_e32 v15, 0
	buffer_store_dword v7, off, s[0:3], 0
	buffer_store_dword v7, off, s[0:3], 0 offset:4
	buffer_store_dword v7, off, s[0:3], 0 offset:8
	;; [unrolled: 1-line block ×3, first 2 shown]
	v_cndmask_b32_e64 v9, v14, v6, s[10:11]
	v_cndmask_b32_e64 v8, v15, v8, s[10:11]
	flat_load_dwordx4 v[8:11], v[8:9]
	s_movk_i32 s7, 0x110
	v_mad_u32_u24 v38, v17, s7, v4
	s_lshl_b32 s7, s12, 4
	v_add_u32_e32 v5, s7, v5
	v_ashrrev_i32_e32 v6, 31, v5
	v_lshlrev_b64 v[12:13], 2, v[5:6]
	v_mov_b32_e32 v16, s14
	v_add_co_u32_e32 v6, vcc, s6, v12
	v_addc_co_u32_e32 v12, vcc, v16, v13, vcc
	v_add_u32_e32 v18, 16, v17
	v_add_co_u32_e32 v6, vcc, v6, v4
	v_addc_co_u32_e32 v12, vcc, 0, v12, vcc
	v_cmp_gt_i32_e64 s[12:13], s42, v18
	buffer_store_dword v7, off, s[0:3], 0
	buffer_store_dword v7, off, s[0:3], 0 offset:4
	buffer_store_dword v7, off, s[0:3], 0 offset:8
	buffer_store_dword v7, off, s[0:3], 0 offset:12
	v_cndmask_b32_e64 v13, v14, v12, s[12:13]
	v_cndmask_b32_e64 v12, v15, v6, s[12:13]
	v_add_u32_e32 v5, s7, v5
	v_ashrrev_i32_e32 v6, 31, v5
	v_add_u32_e32 v19, 32, v17
	v_cmp_gt_i32_e64 s[20:21], s42, v19
	v_add_u32_e32 v37, 48, v17
	v_mov_b32_e32 v39, 0
	s_cmp_lg_u64 s[44:45], 0
	v_cmp_gt_i32_e64 s[16:17], s42, v0
	s_waitcnt vmcnt(0) lgkmcnt(0)
	ds_write_b128 v38, v[8:11]
	flat_load_dwordx4 v[8:11], v[12:13]
	v_lshlrev_b64 v[12:13], 2, v[5:6]
	buffer_store_dword v7, off, s[0:3], 0
	buffer_store_dword v7, off, s[0:3], 0 offset:4
	buffer_store_dword v7, off, s[0:3], 0 offset:8
	;; [unrolled: 1-line block ×3, first 2 shown]
	v_add_co_u32_e32 v6, vcc, s6, v12
	v_addc_co_u32_e32 v12, vcc, v16, v13, vcc
	v_add_co_u32_e32 v6, vcc, v6, v4
	v_addc_co_u32_e32 v12, vcc, 0, v12, vcc
	v_cndmask_b32_e64 v13, v14, v12, s[20:21]
	v_cndmask_b32_e64 v12, v15, v6, s[20:21]
	v_add_u32_e32 v5, s7, v5
	v_ashrrev_i32_e32 v6, 31, v5
	v_lshlrev_b64 v[5:6], 2, v[5:6]
	v_mov_b32_e32 v16, 0
	v_add_co_u32_e32 v5, vcc, s6, v5
	v_cmp_gt_i32_e64 s[6:7], s42, v37
	s_waitcnt vmcnt(0) lgkmcnt(0)
	ds_write_b128 v38, v[8:11] offset:4352
	flat_load_dwordx4 v[8:11], v[12:13]
	v_mov_b32_e32 v12, s14
	v_addc_co_u32_e32 v6, vcc, v12, v6, vcc
	v_add_co_u32_e32 v5, vcc, v5, v4
	v_addc_co_u32_e32 v6, vcc, 0, v6, vcc
	v_cndmask_b32_e64 v6, v14, v6, s[6:7]
	v_cndmask_b32_e64 v5, v15, v5, s[6:7]
	buffer_store_dword v7, off, s[0:3], 0
	buffer_store_dword v7, off, s[0:3], 0 offset:4
	buffer_store_dword v7, off, s[0:3], 0 offset:8
	;; [unrolled: 1-line block ×3, first 2 shown]
	v_mov_b32_e32 v14, 0
	s_cselect_b64 s[14:15], -1, 0
	s_waitcnt vmcnt(0) lgkmcnt(0)
	ds_write_b128 v38, v[8:11] offset:8704
	flat_load_dwordx4 v[8:11], v[5:6]
	v_mul_u32_u24_e32 v5, 0x110, v0
	v_cndmask_b32_e64 v6, 0, 1, s[14:15]
	v_cmp_ne_u32_e64 s[14:15], 1, v6
	s_waitcnt vmcnt(0) lgkmcnt(0)
	ds_write_b128 v38, v[8:11] offset:13056
	s_waitcnt lgkmcnt(0)
	s_barrier
	ds_read_b128 v[8:11], v5
	ds_read_b128 v[40:43], v31 offset:17408
	ds_read_b128 v[44:47], v5 offset:8704
	;; [unrolled: 1-line block ×3, first 2 shown]
	s_waitcnt lgkmcnt(2)
	;;#ASMSTART
	v_dot2_f32_f16 v14, v8, v40, v14
	;;#ASMEND
	;;#ASMSTART
	v_dot2_f32_f16 v14, v9, v41, v14
	;;#ASMEND
	;; [unrolled: 3-line block ×4, first 2 shown]
	s_waitcnt lgkmcnt(0)
	;;#ASMSTART
	v_dot2_f32_f16 v16, v8, v48, v16
	;;#ASMEND
	;;#ASMSTART
	v_dot2_f32_f16 v16, v9, v49, v16
	;;#ASMEND
	;; [unrolled: 3-line block ×6, first 2 shown]
	v_mov_b32_e32 v38, 0
	;;#ASMSTART
	v_dot2_f32_f16 v39, v46, v42, v39
	;;#ASMEND
	;;#ASMSTART
	v_dot2_f32_f16 v39, v47, v43, v39
	;;#ASMEND
	;;#ASMSTART
	v_dot2_f32_f16 v38, v44, v48, v38
	;;#ASMEND
	;;#ASMSTART
	v_dot2_f32_f16 v38, v45, v49, v38
	;;#ASMEND
	;;#ASMSTART
	v_dot2_f32_f16 v38, v46, v50, v38
	;;#ASMEND
	;;#ASMSTART
	v_dot2_f32_f16 v38, v47, v51, v38
	;;#ASMEND
	ds_read_b128 v[8:11], v31 offset:17424
	ds_read_b128 v[40:43], v5 offset:16
	ds_read_b128 v[44:47], v5 offset:8720
	ds_read_b128 v[48:51], v31 offset:17680
	s_waitcnt lgkmcnt(2)
	;;#ASMSTART
	v_dot2_f32_f16 v14, v40, v8, v14
	;;#ASMEND
	;;#ASMSTART
	v_dot2_f32_f16 v14, v41, v9, v14
	;;#ASMEND
	;;#ASMSTART
	v_dot2_f32_f16 v14, v42, v10, v14
	;;#ASMEND
	;;#ASMSTART
	v_dot2_f32_f16 v14, v43, v11, v14
	;;#ASMEND
	s_waitcnt lgkmcnt(0)
	;;#ASMSTART
	v_dot2_f32_f16 v16, v40, v48, v16
	;;#ASMEND
	;;#ASMSTART
	v_dot2_f32_f16 v16, v41, v49, v16
	;;#ASMEND
	;;#ASMSTART
	v_dot2_f32_f16 v16, v42, v50, v16
	;;#ASMEND
	;;#ASMSTART
	v_dot2_f32_f16 v16, v43, v51, v16
	;;#ASMEND
	;;#ASMSTART
	v_dot2_f32_f16 v39, v44, v8, v39
	;;#ASMEND
	;;#ASMSTART
	v_dot2_f32_f16 v39, v45, v9, v39
	;;#ASMEND
	;;#ASMSTART
	v_dot2_f32_f16 v39, v46, v10, v39
	;;#ASMEND
	;;#ASMSTART
	v_dot2_f32_f16 v39, v47, v11, v39
	;;#ASMEND
	;;#ASMSTART
	v_dot2_f32_f16 v38, v44, v48, v38
	;;#ASMEND
	;;#ASMSTART
	v_dot2_f32_f16 v38, v45, v49, v38
	;;#ASMEND
	;;#ASMSTART
	v_dot2_f32_f16 v38, v46, v50, v38
	;;#ASMEND
	;;#ASMSTART
	v_dot2_f32_f16 v38, v47, v51, v38
	;;#ASMEND
	ds_read_b128 v[8:11], v31 offset:17440
	ds_read_b128 v[40:43], v5 offset:32
	ds_read_b128 v[44:47], v5 offset:8736
	ds_read_b128 v[48:51], v31 offset:17696
	s_waitcnt lgkmcnt(2)
	;;#ASMSTART
	v_dot2_f32_f16 v14, v40, v8, v14
	;;#ASMEND
	;;#ASMSTART
	v_dot2_f32_f16 v14, v41, v9, v14
	;;#ASMEND
	;;#ASMSTART
	v_dot2_f32_f16 v14, v42, v10, v14
	;;#ASMEND
	;;#ASMSTART
	v_dot2_f32_f16 v14, v43, v11, v14
	;;#ASMEND
	s_waitcnt lgkmcnt(0)
	;;#ASMSTART
	v_dot2_f32_f16 v16, v40, v48, v16
	;;#ASMEND
	;;#ASMSTART
	v_dot2_f32_f16 v16, v41, v49, v16
	;;#ASMEND
	;;#ASMSTART
	v_dot2_f32_f16 v16, v42, v50, v16
	;;#ASMEND
	;;#ASMSTART
	v_dot2_f32_f16 v16, v43, v51, v16
	;;#ASMEND
	;;#ASMSTART
	v_dot2_f32_f16 v39, v44, v8, v39
	;;#ASMEND
	;;#ASMSTART
	v_dot2_f32_f16 v39, v45, v9, v39
	;;#ASMEND
	;; [unrolled: 54-line block ×15, first 2 shown]
	;;#ASMSTART
	v_dot2_f32_f16 v39, v46, v42, v39
	;;#ASMEND
	;;#ASMSTART
	v_dot2_f32_f16 v39, v47, v43, v39
	;;#ASMEND
	;;#ASMSTART
	v_dot2_f32_f16 v38, v44, v48, v38
	;;#ASMEND
	;;#ASMSTART
	v_dot2_f32_f16 v38, v45, v49, v38
	;;#ASMEND
	v_mov_b32_e32 v6, v3
	v_add_u32_e32 v8, s40, v33
	;;#ASMSTART
	v_dot2_f32_f16 v38, v46, v50, v38
	;;#ASMEND
	v_mov_b32_e32 v5, v2
	;;#ASMSTART
	v_dot2_f32_f16 v38, v47, v51, v38
	;;#ASMEND
	s_and_saveexec_b64 s[18:19], s[16:17]
	s_cbranch_execz .LBB59_27
; %bb.24:
	s_and_b64 vcc, exec, s[14:15]
	s_cbranch_vccnz .LBB59_26
; %bb.25:
	v_add_u32_e32 v5, v8, v0
	v_ashrrev_i32_e32 v6, 31, v5
	v_lshlrev_b64 v[5:6], 1, v[5:6]
	v_mov_b32_e32 v7, s45
	v_add_co_u32_e32 v5, vcc, s44, v5
	v_addc_co_u32_e32 v6, vcc, v7, v6, vcc
	global_load_ushort v5, v[5:6], off
	s_waitcnt vmcnt(0)
	v_cvt_f32_f16_e32 v5, v5
	v_mul_f32_e32 v7, v28, v5
.LBB59_26:
	v_add_f32_e32 v14, v14, v7
	v_add_f32_e32 v5, 0x40051340, v14
	v_max_f32_e32 v6, v2, v2
	v_max_f32_e32 v5, v6, v5
	v_mov_b32_e32 v6, v3
.LBB59_27:
	s_or_b64 exec, exec, s[18:19]
	v_add_u32_e32 v31, 32, v0
	v_cmp_gt_i32_e64 s[18:19], s42, v31
	s_and_saveexec_b64 s[22:23], s[18:19]
	s_cbranch_execz .LBB59_32
; %bb.28:
	s_and_b64 vcc, exec, s[14:15]
	s_cbranch_vccnz .LBB59_30
; %bb.29:
	v_ashrrev_i32_e32 v9, 31, v8
	v_add_co_u32_e32 v7, vcc, v8, v0
	v_addc_co_u32_e32 v8, vcc, 0, v9, vcc
	v_lshlrev_b64 v[7:8], 1, v[7:8]
	v_mov_b32_e32 v9, s45
	v_add_co_u32_e32 v7, vcc, s44, v7
	v_addc_co_u32_e32 v8, vcc, v9, v8, vcc
	global_load_ushort v7, v[7:8], off offset:64
	s_waitcnt vmcnt(0)
	v_cvt_f32_f16_e32 v7, v7
	v_mul_f32_e32 v7, v28, v7
	s_branch .LBB59_31
.LBB59_30:
	v_mov_b32_e32 v7, 0
.LBB59_31:
	v_add_f32_e32 v39, v39, v7
	v_add_f32_e32 v7, 0x40051340, v39
	v_max_f32_e32 v5, v5, v5
	v_max_f32_e32 v5, v5, v7
.LBB59_32:
	s_or_b64 exec, exec, s[22:23]
	v_mbcnt_hi_u32_b32 v7, -1, v32
	v_and_b32_e32 v8, 0x60, v7
	v_add_u32_e32 v8, 32, v8
	v_xor_b32_e32 v12, 16, v7
	v_cmp_lt_i32_e32 vcc, v12, v8
	v_cndmask_b32_e32 v9, v7, v12, vcc
	v_lshlrev_b32_e32 v15, 2, v9
	ds_bpermute_b32 v11, v15, v5
	v_xor_b32_e32 v9, 8, v7
	v_cmp_lt_i32_e32 vcc, v9, v8
	v_cndmask_b32_e32 v10, v7, v9, vcc
	v_max_f32_e32 v5, v5, v5
	s_waitcnt lgkmcnt(0)
	v_max_f32_e32 v11, v11, v11
	v_lshlrev_b32_e32 v32, 2, v10
	v_max_f32_e32 v5, v5, v11
	ds_bpermute_b32 v13, v32, v5
	v_xor_b32_e32 v10, 4, v7
	v_cmp_lt_i32_e32 vcc, v10, v8
	v_cndmask_b32_e32 v11, v7, v10, vcc
	v_lshlrev_b32_e32 v33, 2, v11
	s_waitcnt lgkmcnt(0)
	v_max_f32_e32 v13, v13, v13
	v_max_f32_e32 v5, v5, v13
	ds_bpermute_b32 v41, v33, v5
	v_xor_b32_e32 v11, 2, v7
	v_cmp_lt_i32_e32 vcc, v11, v8
	v_cndmask_b32_e32 v13, v7, v11, vcc
	v_mul_hi_u32 v43, s36, v29
	s_waitcnt lgkmcnt(0)
	v_max_f32_e32 v41, v41, v41
	v_lshlrev_b32_e32 v40, 2, v13
	v_max_f32_e32 v5, v5, v41
	ds_bpermute_b32 v42, v40, v5
	v_add_u32_e32 v43, v29, v43
	v_xor_b32_e32 v13, 1, v7
	v_lshrrev_b32_e32 v43, s37, v43
	v_cmp_lt_i32_e32 vcc, v13, v8
	v_mul_lo_u32 v43, v43, s38
	v_cndmask_b32_e32 v41, v7, v13, vcc
	s_waitcnt lgkmcnt(0)
	v_max_f32_e32 v42, v42, v42
	v_lshlrev_b32_e32 v41, 2, v41
	v_max_f32_e32 v5, v5, v42
	ds_bpermute_b32 v42, v41, v5
	v_sub_u32_e32 v29, v29, v43
	v_mul_lo_u32 v29, v29, s41
	s_waitcnt lgkmcnt(0)
	v_max_f32_e32 v42, v42, v42
	v_max_f32_e32 v5, v5, v42
	v_add_u32_e32 v29, s40, v29
	s_and_saveexec_b64 s[22:23], s[16:17]
	s_cbranch_execz .LBB59_37
; %bb.33:
	s_and_b64 vcc, exec, s[14:15]
	s_cbranch_vccnz .LBB59_35
; %bb.34:
	v_add_u32_e32 v42, v29, v0
	v_ashrrev_i32_e32 v43, 31, v42
	v_lshlrev_b64 v[42:43], 1, v[42:43]
	v_mov_b32_e32 v44, s45
	v_add_co_u32_e32 v42, vcc, s44, v42
	v_addc_co_u32_e32 v43, vcc, v44, v43, vcc
	global_load_ushort v42, v[42:43], off
	s_waitcnt vmcnt(0)
	v_cvt_f32_f16_e32 v42, v42
	v_mul_f32_e32 v42, v28, v42
	s_branch .LBB59_36
.LBB59_35:
	v_mov_b32_e32 v42, 0
.LBB59_36:
	v_add_f32_e32 v16, v16, v42
	v_add_f32_e32 v42, 0x40051340, v16
	v_max_f32_e32 v6, v6, v6
	v_max_f32_e32 v6, v6, v42
.LBB59_37:
	s_or_b64 exec, exec, s[22:23]
	s_and_saveexec_b64 s[16:17], s[18:19]
	s_cbranch_execz .LBB59_42
; %bb.38:
	s_and_b64 vcc, exec, s[14:15]
	s_cbranch_vccnz .LBB59_40
; %bb.39:
	v_ashrrev_i32_e32 v43, 31, v29
	v_add_co_u32_e32 v42, vcc, v29, v0
	v_addc_co_u32_e32 v43, vcc, 0, v43, vcc
	v_lshlrev_b64 v[42:43], 1, v[42:43]
	v_mov_b32_e32 v29, s45
	v_add_co_u32_e32 v42, vcc, s44, v42
	v_addc_co_u32_e32 v43, vcc, v29, v43, vcc
	global_load_ushort v29, v[42:43], off offset:64
	s_waitcnt vmcnt(0)
	v_cvt_f32_f16_e32 v29, v29
	v_mul_f32_e32 v28, v28, v29
	s_branch .LBB59_41
.LBB59_40:
	v_mov_b32_e32 v28, 0
.LBB59_41:
	v_add_f32_e32 v38, v38, v28
	v_add_f32_e32 v28, 0x40051340, v38
	v_max_f32_e32 v6, v6, v6
	v_max_f32_e32 v6, v6, v28
.LBB59_42:
	s_or_b64 exec, exec, s[16:17]
	ds_bpermute_b32 v15, v15, v6
	v_max_f32_e32 v6, v6, v6
	s_mov_b32 s19, 0x3fb8aa3b
	s_mov_b32 s22, 0xc2ce8ed0
	;; [unrolled: 1-line block ×3, first 2 shown]
	s_waitcnt lgkmcnt(0)
	v_max_f32_e32 v15, v15, v15
	v_max_f32_e32 v6, v6, v15
	ds_bpermute_b32 v15, v32, v6
	v_cmp_gt_u32_e32 vcc, s42, v0
	s_waitcnt lgkmcnt(0)
	s_barrier
	v_max_f32_e32 v15, v15, v15
	v_max_f32_e32 v6, v6, v15
	ds_bpermute_b32 v15, v33, v6
	v_mov_b32_e32 v43, 0
	s_mov_b32 s18, 0x10001
	s_waitcnt lgkmcnt(0)
	v_max_f32_e32 v15, v15, v15
	v_max_f32_e32 v6, v6, v15
	ds_bpermute_b32 v15, v40, v6
	s_waitcnt lgkmcnt(0)
	v_max_f32_e32 v15, v15, v15
	v_max_f32_e32 v6, v6, v15
	ds_bpermute_b32 v15, v41, v6
	s_waitcnt lgkmcnt(0)
	v_max_f32_e32 v15, v15, v15
	v_max_f32_e32 v6, v6, v15
	v_lshlrev_b32_e32 v15, 8, v1
	v_sub_f32_e32 v1, v2, v5
	v_sub_f32_e32 v2, v14, v5
	v_mul_f32_e32 v14, 0x3fb8aa3b, v2
	v_fma_f32 v28, v2, s19, -v14
	v_rndne_f32_e32 v29, v14
	v_fmac_f32_e32 v28, 0x32a5705f, v2
	v_sub_f32_e32 v14, v14, v29
	v_add_f32_e32 v14, v14, v28
	v_exp_f32_e32 v14, v14
	v_cvt_i32_f32_e32 v28, v29
	v_cmp_ngt_f32_e64 s[14:15], s22, v2
	v_sub_f32_e32 v16, v16, v6
	v_sub_f32_e32 v3, v3, v6
	v_ldexp_f32 v14, v14, v28
	v_cndmask_b32_e64 v14, 0, v14, s[14:15]
	v_cmp_nlt_f32_e64 s[14:15], s23, v2
	v_mov_b32_e32 v28, 0x7f800000
	v_cndmask_b32_e64 v2, v28, v14, s[14:15]
	v_sub_f32_e32 v14, v39, v5
	v_mul_f32_e32 v32, 0x3fb8aa3b, v14
	v_fma_f32 v33, v14, s19, -v32
	v_rndne_f32_e32 v39, v32
	v_fmac_f32_e32 v33, 0x32a5705f, v14
	v_sub_f32_e32 v32, v32, v39
	v_add_f32_e32 v32, v32, v33
	v_exp_f32_e32 v32, v32
	v_cvt_i32_f32_e32 v33, v39
	v_cmp_ngt_f32_e64 s[16:17], s22, v14
	v_cmp_gt_u32_e64 s[14:15], s42, v31
	v_cndmask_b32_e32 v2, 0, v2, vcc
	v_ldexp_f32 v32, v32, v33
	v_cndmask_b32_e64 v32, 0, v32, s[16:17]
	v_cmp_nlt_f32_e64 s[16:17], s23, v14
	v_cndmask_b32_e64 v14, v28, v32, s[16:17]
	v_cndmask_b32_e64 v32, 0, v14, s[14:15]
	v_cvt_f16_f32_e32 v29, v2
	v_add_f32_e32 v14, v2, v32
	v_mul_f32_e32 v2, 0x3fb8aa3b, v1
	v_fma_f32 v33, v1, s19, -v2
	v_rndne_f32_e32 v39, v2
	v_fmac_f32_e32 v33, 0x32a5705f, v1
	v_sub_f32_e32 v2, v2, v39
	v_add_f32_e32 v2, v2, v33
	v_exp_f32_e32 v2, v2
	v_cvt_i32_f32_e32 v33, v39
	v_cmp_ngt_f32_e64 s[16:17], s22, v1
	v_cvt_f16_f32_e32 v32, v32
	v_ldexp_f32 v2, v2, v33
	v_cndmask_b32_e64 v2, 0, v2, s[16:17]
	v_cmp_nlt_f32_e64 s[16:17], s23, v1
	v_cndmask_b32_e64 v1, v28, v2, s[16:17]
	v_fmac_f32_e32 v14, v36, v1
	v_cvt_f16_f32_e32 v1, v1
	v_mul_f32_e32 v33, 0x3fb8aa3b, v16
	v_rndne_f32_e32 v36, v33
	v_cmp_ngt_f32_e64 s[16:17], s22, v16
	v_mul_u32_u24_e32 v2, 0x10001, v1
	v_pk_mul_f16 v1, v34, v2
	v_fma_f32 v34, v16, s19, -v33
	v_fmac_f32_e32 v34, 0x32a5705f, v16
	v_sub_f32_e32 v33, v33, v36
	v_add_f32_e32 v33, v33, v34
	v_exp_f32_e32 v33, v33
	v_cvt_i32_f32_e32 v34, v36
	v_ldexp_f32 v33, v33, v34
	v_sub_f32_e32 v34, v38, v6
	v_mul_f32_e32 v36, 0x3fb8aa3b, v34
	v_fma_f32 v38, v34, s19, -v36
	v_rndne_f32_e32 v39, v36
	v_fmac_f32_e32 v38, 0x32a5705f, v34
	v_sub_f32_e32 v36, v36, v39
	v_add_f32_e32 v36, v36, v38
	v_exp_f32_e32 v36, v36
	v_cvt_i32_f32_e32 v38, v39
	v_cndmask_b32_e64 v33, 0, v33, s[16:17]
	v_cmp_nlt_f32_e64 s[16:17], s23, v16
	v_cndmask_b32_e64 v16, v28, v33, s[16:17]
	v_cndmask_b32_e32 v16, 0, v16, vcc
	v_ldexp_f32 v36, v36, v38
	v_cmp_ngt_f32_e32 vcc, s22, v34
	v_cndmask_b32_e32 v36, 0, v36, vcc
	v_cmp_nlt_f32_e32 vcc, s23, v34
	v_cndmask_b32_e32 v34, v28, v36, vcc
	v_mul_f32_e32 v36, 0x3fb8aa3b, v3
	v_fma_f32 v38, v3, s19, -v36
	v_rndne_f32_e32 v39, v36
	v_fmac_f32_e32 v38, 0x32a5705f, v3
	v_sub_f32_e32 v36, v36, v39
	v_add_f32_e32 v36, v36, v38
	v_exp_f32_e32 v36, v36
	v_cvt_i32_f32_e32 v38, v39
	v_cmp_ngt_f32_e32 vcc, s22, v3
	v_cndmask_b32_e64 v34, 0, v34, s[14:15]
	v_cvt_f16_f32_e32 v33, v16
	v_ldexp_f32 v36, v36, v38
	v_cndmask_b32_e32 v36, 0, v36, vcc
	v_cmp_nlt_f32_e32 vcc, s23, v3
	v_add_f32_e32 v16, v16, v34
	v_cndmask_b32_e32 v3, v28, v36, vcc
	v_fmac_f32_e32 v16, v35, v3
	v_cvt_f16_f32_e32 v3, v3
	v_cvt_f16_f32_e32 v34, v34
	v_pack_b32_f16 v29, v29, v33
	s_mul_hi_i32 s15, s40, s8
	v_mul_u32_u24_e32 v28, 0x10001, v3
	v_pk_mul_f16 v3, v30, v28
	v_add_u32_e32 v30, 0x5400, v15
	v_add_u32_e32 v35, v30, v23
	ds_write_b32 v35, v29
	v_lshl_add_u32 v29, v31, 2, v30
	v_pack_b32_f16 v30, v32, v34
	ds_write_b32 v29, v30
	v_mul_lo_u32 v30, s8, v17
	s_mul_i32 s14, s40, s8
	s_lshl_b64 s[14:15], s[14:15], 2
	s_add_u32 s16, s26, s14
	v_ashrrev_i32_e32 v31, 31, v30
	v_lshlrev_b64 v[31:32], 2, v[30:31]
	s_addc_u32 s17, s27, s15
	v_lshl_or_b32 v29, v17, 8, v4
	v_add_co_u32_e32 v17, vcc, s16, v31
	v_mov_b32_e32 v31, s17
	v_addc_co_u32_e32 v31, vcc, v31, v32, vcc
	s_lshl_b32 s8, s8, 4
	v_add_co_u32_e32 v32, vcc, v17, v4
	v_add_u32_e32 v17, s8, v30
	v_lshl_or_b32 v35, v18, 8, v4
	v_ashrrev_i32_e32 v18, 31, v17
	v_addc_co_u32_e32 v33, vcc, 0, v31, vcc
	v_lshlrev_b64 v[30:31], 2, v[17:18]
	v_add_u32_e32 v17, s8, v17
	v_add_co_u32_e32 v18, vcc, s16, v30
	v_mov_b32_e32 v30, s17
	v_addc_co_u32_e32 v30, vcc, v30, v31, vcc
	v_add_co_u32_e32 v36, vcc, v18, v4
	v_ashrrev_i32_e32 v18, 31, v17
	v_lshl_or_b32 v39, v19, 8, v4
	v_lshlrev_b64 v[18:19], 2, v[17:18]
	v_addc_co_u32_e32 v38, vcc, 0, v30, vcc
	v_add_co_u32_e32 v18, vcc, s16, v18
	v_mov_b32_e32 v30, s17
	v_addc_co_u32_e32 v19, vcc, v30, v19, vcc
	v_add_u32_e32 v17, s8, v17
	v_add_co_u32_e32 v40, vcc, v18, v4
	v_ashrrev_i32_e32 v18, 31, v17
	v_lshlrev_b64 v[17:18], 2, v[17:18]
	v_addc_co_u32_e32 v19, vcc, 0, v19, vcc
	v_add_co_u32_e32 v17, vcc, s16, v17
	s_mov_b64 s[14:15], src_private_base
	v_addc_co_u32_e32 v18, vcc, v30, v18, vcc
	v_mov_b32_e32 v34, 0
	v_add_co_u32_e32 v41, vcc, v17, v4
	v_lshl_or_b32 v4, v37, 8, v4
	v_mov_b32_e32 v37, s15
	v_addc_co_u32_e32 v42, vcc, 0, v18, vcc
	buffer_store_dword v34, off, s[0:3], 0
	buffer_store_dword v34, off, s[0:3], 0 offset:4
	buffer_store_dword v34, off, s[0:3], 0 offset:8
	;; [unrolled: 1-line block ×3, first 2 shown]
	v_cndmask_b32_e64 v18, v37, v33, s[10:11]
	v_cndmask_b32_e64 v17, v43, v32, s[10:11]
	flat_load_dwordx4 v[30:33], v[17:18]
	v_cndmask_b32_e64 v18, v37, v38, s[12:13]
	v_cndmask_b32_e64 v17, v43, v36, s[12:13]
	s_waitcnt vmcnt(0) lgkmcnt(0)
	ds_write_b128 v29, v[30:33]
	buffer_store_dword v34, off, s[0:3], 0
	buffer_store_dword v34, off, s[0:3], 0 offset:4
	buffer_store_dword v34, off, s[0:3], 0 offset:8
	buffer_store_dword v34, off, s[0:3], 0 offset:12
	flat_load_dwordx4 v[29:32], v[17:18]
	v_cndmask_b32_e64 v18, v37, v19, s[20:21]
	v_cndmask_b32_e64 v17, v43, v40, s[20:21]
	s_waitcnt vmcnt(0) lgkmcnt(0)
	ds_write_b128 v35, v[29:32]
	buffer_store_dword v34, off, s[0:3], 0
	buffer_store_dword v34, off, s[0:3], 0 offset:4
	buffer_store_dword v34, off, s[0:3], 0 offset:8
	buffer_store_dword v34, off, s[0:3], 0 offset:12
	;; [unrolled: 9-line block ×3, first 2 shown]
	flat_load_dwordx4 v[29:32], v[17:18]
	s_waitcnt vmcnt(0) lgkmcnt(0)
	ds_write_b128 v4, v[29:32]
	s_waitcnt lgkmcnt(0)
	s_barrier
	ds_read2_b64 v[29:32], v25 offset1:32
	ds_read_b128 v[33:36], v15 offset:21504
	ds_read_b128 v[37:40], v15 offset:21520
	;; [unrolled: 1-line block ×4, first 2 shown]
	s_waitcnt lgkmcnt(3)
	v_mul_u32_u24_sdwa v4, v33, s18 dst_sel:DWORD dst_unused:UNUSED_PAD src0_sel:WORD_0 src1_sel:DWORD
	v_mul_u32_u24_sdwa v17, v33, s18 dst_sel:DWORD dst_unused:UNUSED_PAD src0_sel:WORD_1 src1_sel:DWORD
	v_pk_mul_f16 v18, v29, v4
	v_pk_fma_f16 v2, v27, v2, v18
	v_pk_mul_f16 v18, v29, v17
	v_pk_fma_f16 v18, v26, v28, v18
	v_pk_fma_f16 v1, v30, v4, v1
	;; [unrolled: 1-line block ×3, first 2 shown]
	v_mul_u32_u24_sdwa v4, v34, s18 dst_sel:DWORD dst_unused:UNUSED_PAD src0_sel:WORD_0 src1_sel:DWORD
	v_mul_u32_u24_sdwa v17, v34, s18 dst_sel:DWORD dst_unused:UNUSED_PAD src0_sel:WORD_1 src1_sel:DWORD
	v_pk_fma_f16 v19, v31, v4, v2
	v_pk_fma_f16 v18, v31, v17, v18
	;; [unrolled: 1-line block ×4, first 2 shown]
	ds_read2_b64 v[1:4], v25 offset0:64 offset1:96
	v_mul_u32_u24_sdwa v27, v35, s18 dst_sel:DWORD dst_unused:UNUSED_PAD src0_sel:WORD_0 src1_sel:DWORD
	v_mul_u32_u24_sdwa v28, v35, s18 dst_sel:DWORD dst_unused:UNUSED_PAD src0_sel:WORD_1 src1_sel:DWORD
	s_waitcnt lgkmcnt(2)
	v_mul_u32_u24_sdwa v29, v41, s18 dst_sel:DWORD dst_unused:UNUSED_PAD src0_sel:WORD_1 src1_sel:DWORD
	v_add_u32_e32 v31, 0x1000, v25
	s_waitcnt lgkmcnt(0)
	v_pk_fma_f16 v19, v1, v27, v19
	v_pk_fma_f16 v1, v1, v28, v18
	v_pk_fma_f16 v18, v2, v27, v26
	v_pk_fma_f16 v2, v2, v28, v17
	v_mul_u32_u24_sdwa v17, v36, s18 dst_sel:DWORD dst_unused:UNUSED_PAD src0_sel:WORD_0 src1_sel:DWORD
	v_mul_u32_u24_sdwa v26, v36, s18 dst_sel:DWORD dst_unused:UNUSED_PAD src0_sel:WORD_1 src1_sel:DWORD
	v_pk_fma_f16 v19, v3, v17, v19
	v_pk_fma_f16 v27, v3, v26, v1
	;; [unrolled: 1-line block ×4, first 2 shown]
	ds_read2_b64 v[1:4], v25 offset0:128 offset1:160
	v_mul_u32_u24_sdwa v26, v37, s18 dst_sel:DWORD dst_unused:UNUSED_PAD src0_sel:WORD_0 src1_sel:DWORD
	v_mul_u32_u24_sdwa v28, v37, s18 dst_sel:DWORD dst_unused:UNUSED_PAD src0_sel:WORD_1 src1_sel:DWORD
	v_mov_b32_e32 v35, v16
	v_mov_b32_e32 v36, v14
	s_waitcnt lgkmcnt(0)
	v_pk_fma_f16 v19, v1, v26, v19
	v_pk_fma_f16 v1, v1, v28, v27
	;; [unrolled: 1-line block ×4, first 2 shown]
	v_mul_u32_u24_sdwa v18, v38, s18 dst_sel:DWORD dst_unused:UNUSED_PAD src0_sel:WORD_0 src1_sel:DWORD
	v_mul_u32_u24_sdwa v26, v38, s18 dst_sel:DWORD dst_unused:UNUSED_PAD src0_sel:WORD_1 src1_sel:DWORD
	v_pk_fma_f16 v19, v3, v18, v19
	v_pk_fma_f16 v27, v3, v26, v1
	;; [unrolled: 1-line block ×4, first 2 shown]
	ds_read2_b64 v[1:4], v25 offset0:192 offset1:224
	v_mul_u32_u24_sdwa v26, v39, s18 dst_sel:DWORD dst_unused:UNUSED_PAD src0_sel:WORD_0 src1_sel:DWORD
	v_mul_u32_u24_sdwa v28, v39, s18 dst_sel:DWORD dst_unused:UNUSED_PAD src0_sel:WORD_1 src1_sel:DWORD
	s_waitcnt lgkmcnt(0)
	v_pk_fma_f16 v19, v1, v26, v19
	v_pk_fma_f16 v1, v1, v28, v27
	;; [unrolled: 1-line block ×4, first 2 shown]
	v_mul_u32_u24_sdwa v18, v40, s18 dst_sel:DWORD dst_unused:UNUSED_PAD src0_sel:WORD_0 src1_sel:DWORD
	v_mul_u32_u24_sdwa v26, v40, s18 dst_sel:DWORD dst_unused:UNUSED_PAD src0_sel:WORD_1 src1_sel:DWORD
	v_pk_fma_f16 v19, v3, v18, v19
	v_pk_fma_f16 v27, v3, v26, v1
	v_pk_fma_f16 v17, v4, v18, v17
	v_pk_fma_f16 v18, v4, v26, v2
	v_add_u32_e32 v26, 0x800, v25
	ds_read2_b64 v[1:4], v26 offset1:32
	v_mul_u32_u24_sdwa v28, v41, s18 dst_sel:DWORD dst_unused:UNUSED_PAD src0_sel:WORD_0 src1_sel:DWORD
	s_waitcnt lgkmcnt(0)
	v_pk_fma_f16 v19, v1, v28, v19
	v_pk_fma_f16 v1, v1, v29, v27
	v_pk_fma_f16 v17, v2, v28, v17
	v_pk_fma_f16 v2, v2, v29, v18
	v_mul_u32_u24_sdwa v18, v42, s18 dst_sel:DWORD dst_unused:UNUSED_PAD src0_sel:WORD_0 src1_sel:DWORD
	v_mul_u32_u24_sdwa v27, v42, s18 dst_sel:DWORD dst_unused:UNUSED_PAD src0_sel:WORD_1 src1_sel:DWORD
	v_pk_fma_f16 v19, v3, v18, v19
	v_pk_fma_f16 v28, v3, v27, v1
	v_pk_fma_f16 v17, v4, v18, v17
	v_pk_fma_f16 v18, v4, v27, v2
	ds_read2_b64 v[1:4], v26 offset0:64 offset1:96
	v_mul_u32_u24_sdwa v27, v43, s18 dst_sel:DWORD dst_unused:UNUSED_PAD src0_sel:WORD_0 src1_sel:DWORD
	v_mul_u32_u24_sdwa v29, v43, s18 dst_sel:DWORD dst_unused:UNUSED_PAD src0_sel:WORD_1 src1_sel:DWORD
	s_waitcnt lgkmcnt(0)
	v_pk_fma_f16 v19, v1, v27, v19
	v_pk_fma_f16 v1, v1, v29, v28
	v_pk_fma_f16 v17, v2, v27, v17
	v_pk_fma_f16 v2, v2, v29, v18
	v_mul_u32_u24_sdwa v18, v44, s18 dst_sel:DWORD dst_unused:UNUSED_PAD src0_sel:WORD_0 src1_sel:DWORD
	v_mul_u32_u24_sdwa v27, v44, s18 dst_sel:DWORD dst_unused:UNUSED_PAD src0_sel:WORD_1 src1_sel:DWORD
	v_pk_fma_f16 v19, v3, v18, v19
	v_pk_fma_f16 v28, v3, v27, v1
	v_pk_fma_f16 v17, v4, v18, v17
	v_pk_fma_f16 v18, v4, v27, v2
	ds_read2_b64 v[1:4], v26 offset0:128 offset1:160
	v_mul_u32_u24_sdwa v27, v45, s18 dst_sel:DWORD dst_unused:UNUSED_PAD src0_sel:WORD_0 src1_sel:DWORD
	v_mul_u32_u24_sdwa v29, v45, s18 dst_sel:DWORD dst_unused:UNUSED_PAD src0_sel:WORD_1 src1_sel:DWORD
	;; [unrolled: 14-line block ×3, first 2 shown]
	s_waitcnt lgkmcnt(0)
	v_pk_fma_f16 v19, v1, v26, v19
	v_pk_fma_f16 v1, v1, v27, v28
	;; [unrolled: 1-line block ×4, first 2 shown]
	v_mul_u32_u24_sdwa v18, v48, s18 dst_sel:DWORD dst_unused:UNUSED_PAD src0_sel:WORD_0 src1_sel:DWORD
	v_mul_u32_u24_sdwa v26, v48, s18 dst_sel:DWORD dst_unused:UNUSED_PAD src0_sel:WORD_1 src1_sel:DWORD
	v_pk_fma_f16 v19, v3, v18, v19
	v_pk_fma_f16 v30, v3, v26, v1
	v_pk_fma_f16 v17, v4, v18, v17
	v_pk_fma_f16 v18, v4, v26, v2
	ds_read2_b64 v[1:4], v31 offset1:32
	ds_read_b128 v[26:29], v15 offset:21568
	s_waitcnt lgkmcnt(0)
	v_mul_u32_u24_sdwa v32, v26, s18 dst_sel:DWORD dst_unused:UNUSED_PAD src0_sel:WORD_0 src1_sel:DWORD
	v_mul_u32_u24_sdwa v26, v26, s18 dst_sel:DWORD dst_unused:UNUSED_PAD src0_sel:WORD_1 src1_sel:DWORD
	v_pk_fma_f16 v19, v1, v32, v19
	v_pk_fma_f16 v1, v1, v26, v30
	;; [unrolled: 1-line block ×4, first 2 shown]
	v_mul_u32_u24_sdwa v18, v27, s18 dst_sel:DWORD dst_unused:UNUSED_PAD src0_sel:WORD_0 src1_sel:DWORD
	v_mul_u32_u24_sdwa v26, v27, s18 dst_sel:DWORD dst_unused:UNUSED_PAD src0_sel:WORD_1 src1_sel:DWORD
	v_pk_fma_f16 v19, v3, v18, v19
	v_pk_fma_f16 v27, v3, v26, v1
	;; [unrolled: 1-line block ×4, first 2 shown]
	ds_read2_b64 v[1:4], v31 offset0:64 offset1:96
	v_mul_u32_u24_sdwa v26, v28, s18 dst_sel:DWORD dst_unused:UNUSED_PAD src0_sel:WORD_0 src1_sel:DWORD
	v_mul_u32_u24_sdwa v28, v28, s18 dst_sel:DWORD dst_unused:UNUSED_PAD src0_sel:WORD_1 src1_sel:DWORD
	s_waitcnt lgkmcnt(0)
	v_pk_fma_f16 v19, v1, v26, v19
	v_pk_fma_f16 v1, v1, v28, v27
	;; [unrolled: 1-line block ×4, first 2 shown]
	v_mul_u32_u24_sdwa v18, v29, s18 dst_sel:DWORD dst_unused:UNUSED_PAD src0_sel:WORD_0 src1_sel:DWORD
	v_mul_u32_u24_sdwa v26, v29, s18 dst_sel:DWORD dst_unused:UNUSED_PAD src0_sel:WORD_1 src1_sel:DWORD
	v_pk_fma_f16 v19, v3, v18, v19
	v_pk_fma_f16 v30, v3, v26, v1
	v_pk_fma_f16 v17, v4, v18, v17
	v_pk_fma_f16 v18, v4, v26, v2
	ds_read2_b64 v[1:4], v31 offset0:128 offset1:160
	ds_read_b128 v[26:29], v15 offset:21584
	s_waitcnt lgkmcnt(0)
	v_mul_u32_u24_sdwa v32, v26, s18 dst_sel:DWORD dst_unused:UNUSED_PAD src0_sel:WORD_0 src1_sel:DWORD
	v_mul_u32_u24_sdwa v26, v26, s18 dst_sel:DWORD dst_unused:UNUSED_PAD src0_sel:WORD_1 src1_sel:DWORD
	v_pk_fma_f16 v19, v1, v32, v19
	v_pk_fma_f16 v1, v1, v26, v30
	v_pk_fma_f16 v17, v2, v32, v17
	v_pk_fma_f16 v2, v2, v26, v18
	v_mul_u32_u24_sdwa v18, v27, s18 dst_sel:DWORD dst_unused:UNUSED_PAD src0_sel:WORD_0 src1_sel:DWORD
	v_mul_u32_u24_sdwa v26, v27, s18 dst_sel:DWORD dst_unused:UNUSED_PAD src0_sel:WORD_1 src1_sel:DWORD
	v_pk_fma_f16 v19, v3, v18, v19
	v_pk_fma_f16 v27, v3, v26, v1
	;; [unrolled: 1-line block ×4, first 2 shown]
	ds_read2_b64 v[1:4], v31 offset0:192 offset1:224
	v_mul_u32_u24_sdwa v26, v28, s18 dst_sel:DWORD dst_unused:UNUSED_PAD src0_sel:WORD_0 src1_sel:DWORD
	v_mul_u32_u24_sdwa v28, v28, s18 dst_sel:DWORD dst_unused:UNUSED_PAD src0_sel:WORD_1 src1_sel:DWORD
	s_waitcnt lgkmcnt(0)
	v_pk_fma_f16 v19, v1, v26, v19
	v_pk_fma_f16 v17, v2, v26, v17
	v_mul_u32_u24_sdwa v26, v29, s18 dst_sel:DWORD dst_unused:UNUSED_PAD src0_sel:WORD_0 src1_sel:DWORD
	v_pk_fma_f16 v1, v1, v28, v27
	v_pk_fma_f16 v2, v2, v28, v18
	v_mul_u32_u24_sdwa v27, v29, s18 dst_sel:DWORD dst_unused:UNUSED_PAD src0_sel:WORD_1 src1_sel:DWORD
	v_pk_fma_f16 v18, v3, v26, v19
	v_pk_fma_f16 v26, v4, v26, v17
	v_add_u32_e32 v17, 0x1800, v25
	v_pk_fma_f16 v19, v3, v27, v1
	v_pk_fma_f16 v27, v4, v27, v2
	ds_read2_b64 v[1:4], v17 offset1:32
	ds_read_b128 v[28:31], v15 offset:21600
	s_waitcnt lgkmcnt(0)
	v_mul_u32_u24_sdwa v32, v28, s18 dst_sel:DWORD dst_unused:UNUSED_PAD src0_sel:WORD_0 src1_sel:DWORD
	v_mul_u32_u24_sdwa v28, v28, s18 dst_sel:DWORD dst_unused:UNUSED_PAD src0_sel:WORD_1 src1_sel:DWORD
	v_pk_fma_f16 v18, v1, v32, v18
	v_pk_fma_f16 v1, v1, v28, v19
	v_pk_fma_f16 v19, v2, v32, v26
	v_pk_fma_f16 v2, v2, v28, v27
	v_mul_u32_u24_sdwa v26, v29, s18 dst_sel:DWORD dst_unused:UNUSED_PAD src0_sel:WORD_0 src1_sel:DWORD
	v_mul_u32_u24_sdwa v27, v29, s18 dst_sel:DWORD dst_unused:UNUSED_PAD src0_sel:WORD_1 src1_sel:DWORD
	v_pk_fma_f16 v18, v3, v26, v18
	v_pk_fma_f16 v28, v3, v27, v1
	v_pk_fma_f16 v19, v4, v26, v19
	v_pk_fma_f16 v26, v4, v27, v2
	ds_read2_b64 v[1:4], v17 offset0:64 offset1:96
	v_mul_u32_u24_sdwa v27, v30, s18 dst_sel:DWORD dst_unused:UNUSED_PAD src0_sel:WORD_0 src1_sel:DWORD
	v_mul_u32_u24_sdwa v29, v30, s18 dst_sel:DWORD dst_unused:UNUSED_PAD src0_sel:WORD_1 src1_sel:DWORD
	s_waitcnt lgkmcnt(0)
	v_pk_fma_f16 v18, v1, v27, v18
	v_pk_fma_f16 v1, v1, v29, v28
	v_pk_fma_f16 v19, v2, v27, v19
	v_pk_fma_f16 v2, v2, v29, v26
	v_mul_u32_u24_sdwa v26, v31, s18 dst_sel:DWORD dst_unused:UNUSED_PAD src0_sel:WORD_0 src1_sel:DWORD
	v_mul_u32_u24_sdwa v27, v31, s18 dst_sel:DWORD dst_unused:UNUSED_PAD src0_sel:WORD_1 src1_sel:DWORD
	v_pk_fma_f16 v18, v3, v26, v18
	v_pk_fma_f16 v30, v3, v27, v1
	v_pk_fma_f16 v19, v4, v26, v19
	v_pk_fma_f16 v31, v4, v27, v2
	ds_read2_b64 v[1:4], v17 offset0:128 offset1:160
	ds_read_b128 v[26:29], v15 offset:21616
	s_waitcnt lgkmcnt(0)
	v_mul_u32_u24_sdwa v32, v26, s18 dst_sel:DWORD dst_unused:UNUSED_PAD src0_sel:WORD_0 src1_sel:DWORD
	v_mul_u32_u24_sdwa v26, v26, s18 dst_sel:DWORD dst_unused:UNUSED_PAD src0_sel:WORD_1 src1_sel:DWORD
	v_pk_fma_f16 v18, v1, v32, v18
	v_pk_fma_f16 v1, v1, v26, v30
	v_pk_fma_f16 v19, v2, v32, v19
	v_pk_fma_f16 v2, v2, v26, v31
	v_mul_u32_u24_sdwa v26, v27, s18 dst_sel:DWORD dst_unused:UNUSED_PAD src0_sel:WORD_0 src1_sel:DWORD
	v_mul_u32_u24_sdwa v27, v27, s18 dst_sel:DWORD dst_unused:UNUSED_PAD src0_sel:WORD_1 src1_sel:DWORD
	v_pk_fma_f16 v18, v3, v26, v18
	v_pk_fma_f16 v30, v3, v27, v1
	v_pk_fma_f16 v19, v4, v26, v19
	v_pk_fma_f16 v26, v4, v27, v2
	ds_read2_b64 v[1:4], v17 offset0:192 offset1:224
	v_mul_u32_u24_sdwa v17, v28, s18 dst_sel:DWORD dst_unused:UNUSED_PAD src0_sel:WORD_0 src1_sel:DWORD
	v_mul_u32_u24_sdwa v27, v28, s18 dst_sel:DWORD dst_unused:UNUSED_PAD src0_sel:WORD_1 src1_sel:DWORD
	v_add_u32_e32 v31, 0x2000, v25
	s_waitcnt lgkmcnt(0)
	v_pk_fma_f16 v18, v1, v17, v18
	v_pk_fma_f16 v1, v1, v27, v30
	v_pk_fma_f16 v17, v2, v17, v19
	v_pk_fma_f16 v2, v2, v27, v26
	v_mul_u32_u24_sdwa v19, v29, s18 dst_sel:DWORD dst_unused:UNUSED_PAD src0_sel:WORD_0 src1_sel:DWORD
	v_mul_u32_u24_sdwa v26, v29, s18 dst_sel:DWORD dst_unused:UNUSED_PAD src0_sel:WORD_1 src1_sel:DWORD
	v_pk_fma_f16 v18, v3, v19, v18
	v_pk_fma_f16 v30, v3, v26, v1
	v_pk_fma_f16 v17, v4, v19, v17
	v_pk_fma_f16 v19, v4, v26, v2
	ds_read2_b64 v[1:4], v31 offset1:32
	ds_read_b128 v[26:29], v15 offset:21632
	s_waitcnt lgkmcnt(0)
	v_mul_u32_u24_sdwa v32, v26, s18 dst_sel:DWORD dst_unused:UNUSED_PAD src0_sel:WORD_0 src1_sel:DWORD
	v_mul_u32_u24_sdwa v26, v26, s18 dst_sel:DWORD dst_unused:UNUSED_PAD src0_sel:WORD_1 src1_sel:DWORD
	v_pk_fma_f16 v18, v1, v32, v18
	v_pk_fma_f16 v1, v1, v26, v30
	v_pk_fma_f16 v17, v2, v32, v17
	v_pk_fma_f16 v2, v2, v26, v19
	v_mul_u32_u24_sdwa v19, v27, s18 dst_sel:DWORD dst_unused:UNUSED_PAD src0_sel:WORD_0 src1_sel:DWORD
	v_mul_u32_u24_sdwa v26, v27, s18 dst_sel:DWORD dst_unused:UNUSED_PAD src0_sel:WORD_1 src1_sel:DWORD
	v_pk_fma_f16 v18, v3, v19, v18
	v_pk_fma_f16 v27, v3, v26, v1
	v_pk_fma_f16 v17, v4, v19, v17
	v_pk_fma_f16 v19, v4, v26, v2
	ds_read2_b64 v[1:4], v31 offset0:64 offset1:96
	v_mul_u32_u24_sdwa v26, v28, s18 dst_sel:DWORD dst_unused:UNUSED_PAD src0_sel:WORD_0 src1_sel:DWORD
	v_mul_u32_u24_sdwa v28, v28, s18 dst_sel:DWORD dst_unused:UNUSED_PAD src0_sel:WORD_1 src1_sel:DWORD
	s_waitcnt lgkmcnt(0)
	v_pk_fma_f16 v18, v1, v26, v18
	v_pk_fma_f16 v1, v1, v28, v27
	v_pk_fma_f16 v17, v2, v26, v17
	v_pk_fma_f16 v2, v2, v28, v19
	v_mul_u32_u24_sdwa v19, v29, s18 dst_sel:DWORD dst_unused:UNUSED_PAD src0_sel:WORD_0 src1_sel:DWORD
	v_mul_u32_u24_sdwa v26, v29, s18 dst_sel:DWORD dst_unused:UNUSED_PAD src0_sel:WORD_1 src1_sel:DWORD
	v_pk_fma_f16 v18, v3, v19, v18
	v_pk_fma_f16 v30, v3, v26, v1
	v_pk_fma_f16 v17, v4, v19, v17
	v_pk_fma_f16 v19, v4, v26, v2
	ds_read2_b64 v[1:4], v31 offset0:128 offset1:160
	ds_read_b128 v[26:29], v15 offset:21648
	s_waitcnt lgkmcnt(0)
	v_mul_u32_u24_sdwa v32, v26, s18 dst_sel:DWORD dst_unused:UNUSED_PAD src0_sel:WORD_0 src1_sel:DWORD
	v_mul_u32_u24_sdwa v26, v26, s18 dst_sel:DWORD dst_unused:UNUSED_PAD src0_sel:WORD_1 src1_sel:DWORD
	v_pk_fma_f16 v18, v1, v32, v18
	v_pk_fma_f16 v1, v1, v26, v30
	v_pk_fma_f16 v17, v2, v32, v17
	v_pk_fma_f16 v2, v2, v26, v19
	v_mul_u32_u24_sdwa v19, v27, s18 dst_sel:DWORD dst_unused:UNUSED_PAD src0_sel:WORD_0 src1_sel:DWORD
	v_mul_u32_u24_sdwa v26, v27, s18 dst_sel:DWORD dst_unused:UNUSED_PAD src0_sel:WORD_1 src1_sel:DWORD
	v_pk_fma_f16 v18, v3, v19, v18
	v_pk_fma_f16 v27, v3, v26, v1
	v_pk_fma_f16 v17, v4, v19, v17
	v_pk_fma_f16 v19, v4, v26, v2
	ds_read2_b64 v[1:4], v31 offset0:192 offset1:224
	v_mul_u32_u24_sdwa v26, v28, s18 dst_sel:DWORD dst_unused:UNUSED_PAD src0_sel:WORD_0 src1_sel:DWORD
	v_mul_u32_u24_sdwa v28, v28, s18 dst_sel:DWORD dst_unused:UNUSED_PAD src0_sel:WORD_1 src1_sel:DWORD
	v_add_u32_e32 v31, 0x2800, v25
	s_waitcnt lgkmcnt(0)
	v_pk_fma_f16 v18, v1, v26, v18
	v_pk_fma_f16 v1, v1, v28, v27
	v_pk_fma_f16 v17, v2, v26, v17
	v_pk_fma_f16 v2, v2, v28, v19
	v_mul_u32_u24_sdwa v19, v29, s18 dst_sel:DWORD dst_unused:UNUSED_PAD src0_sel:WORD_0 src1_sel:DWORD
	v_mul_u32_u24_sdwa v26, v29, s18 dst_sel:DWORD dst_unused:UNUSED_PAD src0_sel:WORD_1 src1_sel:DWORD
	v_pk_fma_f16 v18, v3, v19, v18
	v_pk_fma_f16 v30, v3, v26, v1
	;; [unrolled: 59-line block ×4, first 2 shown]
	v_pk_fma_f16 v17, v4, v19, v17
	v_pk_fma_f16 v19, v4, v26, v2
	ds_read2_b64 v[1:4], v30 offset1:32
	ds_read_b128 v[25:28], v15 offset:21728
	s_waitcnt lgkmcnt(0)
	v_mul_u32_u24_sdwa v31, v25, s18 dst_sel:DWORD dst_unused:UNUSED_PAD src0_sel:WORD_0 src1_sel:DWORD
	v_mul_u32_u24_sdwa v25, v25, s18 dst_sel:DWORD dst_unused:UNUSED_PAD src0_sel:WORD_1 src1_sel:DWORD
	v_pk_fma_f16 v18, v1, v31, v18
	v_pk_fma_f16 v1, v1, v25, v29
	;; [unrolled: 1-line block ×4, first 2 shown]
	v_mul_u32_u24_sdwa v19, v26, s18 dst_sel:DWORD dst_unused:UNUSED_PAD src0_sel:WORD_0 src1_sel:DWORD
	v_mul_u32_u24_sdwa v25, v26, s18 dst_sel:DWORD dst_unused:UNUSED_PAD src0_sel:WORD_1 src1_sel:DWORD
	v_pk_fma_f16 v18, v3, v19, v18
	v_pk_fma_f16 v26, v3, v25, v1
	;; [unrolled: 1-line block ×4, first 2 shown]
	ds_read2_b64 v[1:4], v30 offset0:64 offset1:96
	v_mul_u32_u24_sdwa v25, v27, s18 dst_sel:DWORD dst_unused:UNUSED_PAD src0_sel:WORD_0 src1_sel:DWORD
	v_mul_u32_u24_sdwa v27, v27, s18 dst_sel:DWORD dst_unused:UNUSED_PAD src0_sel:WORD_1 src1_sel:DWORD
	s_waitcnt lgkmcnt(0)
	v_pk_fma_f16 v18, v1, v25, v18
	v_pk_fma_f16 v1, v1, v27, v26
	;; [unrolled: 1-line block ×4, first 2 shown]
	v_mul_u32_u24_sdwa v19, v28, s18 dst_sel:DWORD dst_unused:UNUSED_PAD src0_sel:WORD_0 src1_sel:DWORD
	v_mul_u32_u24_sdwa v25, v28, s18 dst_sel:DWORD dst_unused:UNUSED_PAD src0_sel:WORD_1 src1_sel:DWORD
	v_pk_fma_f16 v18, v3, v19, v18
	v_pk_fma_f16 v29, v3, v25, v1
	;; [unrolled: 1-line block ×4, first 2 shown]
	ds_read2_b64 v[1:4], v30 offset0:128 offset1:160
	ds_read_b128 v[25:28], v15 offset:21744
	s_waitcnt lgkmcnt(0)
	v_mul_u32_u24_sdwa v15, v25, s18 dst_sel:DWORD dst_unused:UNUSED_PAD src0_sel:WORD_0 src1_sel:DWORD
	v_mul_u32_u24_sdwa v25, v25, s18 dst_sel:DWORD dst_unused:UNUSED_PAD src0_sel:WORD_1 src1_sel:DWORD
	v_pk_fma_f16 v18, v1, v15, v18
	v_pk_fma_f16 v1, v1, v25, v29
	;; [unrolled: 1-line block ×4, first 2 shown]
	v_mul_u32_u24_sdwa v17, v26, s18 dst_sel:DWORD dst_unused:UNUSED_PAD src0_sel:WORD_0 src1_sel:DWORD
	v_mul_u32_u24_sdwa v19, v26, s18 dst_sel:DWORD dst_unused:UNUSED_PAD src0_sel:WORD_1 src1_sel:DWORD
	v_pk_fma_f16 v18, v3, v17, v18
	v_pk_fma_f16 v25, v3, v19, v1
	v_pk_fma_f16 v15, v4, v17, v15
	v_pk_fma_f16 v17, v4, v19, v2
	ds_read2_b64 v[1:4], v30 offset0:192 offset1:224
	v_mul_u32_u24_sdwa v19, v27, s18 dst_sel:DWORD dst_unused:UNUSED_PAD src0_sel:WORD_0 src1_sel:DWORD
	v_mul_u32_u24_sdwa v26, v27, s18 dst_sel:DWORD dst_unused:UNUSED_PAD src0_sel:WORD_1 src1_sel:DWORD
	s_waitcnt lgkmcnt(0)
	s_barrier
	v_pk_fma_f16 v18, v1, v19, v18
	v_pk_fma_f16 v1, v1, v26, v25
	;; [unrolled: 1-line block ×4, first 2 shown]
	v_mul_u32_u24_sdwa v17, v28, s18 dst_sel:DWORD dst_unused:UNUSED_PAD src0_sel:WORD_0 src1_sel:DWORD
	v_mul_u32_u24_sdwa v19, v28, s18 dst_sel:DWORD dst_unused:UNUSED_PAD src0_sel:WORD_1 src1_sel:DWORD
	v_pk_fma_f16 v27, v3, v17, v18
	v_pk_fma_f16 v26, v3, v19, v1
	;; [unrolled: 1-line block ×3, first 2 shown]
	v_mov_b32_e32 v2, v5
	v_pk_fma_f16 v34, v4, v17, v15
	v_mov_b32_e32 v3, v6
.LBB59_43:
	v_cmp_lt_i32_e32 vcc, v12, v8
	v_cndmask_b32_e32 v1, v7, v12, vcc
	v_lshlrev_b32_e32 v1, 2, v1
	ds_bpermute_b32 v4, v1, v36
	ds_bpermute_b32 v1, v1, v35
	v_cmp_lt_i32_e32 vcc, v9, v8
	v_cndmask_b32_e32 v5, v7, v9, vcc
	v_lshlrev_b32_e32 v5, 2, v5
	s_waitcnt lgkmcnt(1)
	v_add_f32_e32 v4, v36, v4
	s_waitcnt lgkmcnt(0)
	v_add_f32_e32 v1, v35, v1
	ds_bpermute_b32 v6, v5, v4
	ds_bpermute_b32 v5, v5, v1
	v_cmp_lt_i32_e32 vcc, v10, v8
	v_cndmask_b32_e32 v9, v7, v10, vcc
	v_lshlrev_b32_e32 v9, 2, v9
	s_waitcnt lgkmcnt(1)
	v_add_f32_e32 v4, v4, v6
	s_waitcnt lgkmcnt(0)
	v_add_f32_e32 v1, v1, v5
	;; [unrolled: 9-line block ×4, first 2 shown]
	ds_bpermute_b32 v6, v7, v4
	ds_bpermute_b32 v5, v7, v1
	s_cmp_eq_u64 s[24:25], 0
	s_cselect_b64 s[6:7], -1, 0
	s_cmp_lg_u32 s9, 0
	s_cselect_b64 s[10:11], -1, 0
	s_or_b64 s[6:7], s[10:11], s[6:7]
	s_waitcnt lgkmcnt(1)
	v_add_f32_e32 v4, v4, v6
	s_waitcnt lgkmcnt(0)
	v_add_f32_e32 v5, v1, v5
	s_and_b64 vcc, exec, s[6:7]
	s_cbranch_vccnz .LBB59_46
; %bb.44:
	s_lshl_b64 s[6:7], s[34:35], 2
	s_add_u32 s6, s24, s6
	s_addc_u32 s7, s25, s7
	v_mov_b32_e32 v1, 0
	global_load_dword v1, v1, s[6:7]
	v_max_f32_e32 v6, v2, v2
	v_max_f32_e32 v9, v3, v3
	s_mov_b32 s6, 0x3fb8aa3b
	s_mov_b32 s7, 0xc2ce8ed0
	s_mov_b32 s8, 0x42b17218
	v_mov_b32_e32 v7, 0x7f800000
	s_waitcnt vmcnt(0)
	v_max_f32_e32 v10, v1, v1
	v_max_f32_e32 v8, v6, v10
	v_sub_f32_e32 v2, v2, v8
	v_max_f32_e32 v9, v9, v10
	v_sub_f32_e32 v6, v1, v8
	v_mul_f32_e32 v10, 0x3fb8aa3b, v2
	v_sub_f32_e32 v3, v3, v9
	v_mul_f32_e32 v11, 0x3fb8aa3b, v6
	v_fma_f32 v14, v2, s6, -v10
	v_rndne_f32_e32 v15, v10
	v_sub_f32_e32 v1, v1, v9
	v_mul_f32_e32 v12, 0x3fb8aa3b, v3
	v_fma_f32 v16, v6, s6, -v11
	v_rndne_f32_e32 v17, v11
	v_fmac_f32_e32 v14, 0x32a5705f, v2
	v_sub_f32_e32 v10, v10, v15
	v_mul_f32_e32 v13, 0x3fb8aa3b, v1
	v_fma_f32 v18, v3, s6, -v12
	v_rndne_f32_e32 v19, v12
	v_fmac_f32_e32 v16, 0x32a5705f, v6
	v_sub_f32_e32 v11, v11, v17
	v_add_f32_e32 v10, v10, v14
	v_fma_f32 v25, v1, s6, -v13
	v_rndne_f32_e32 v28, v13
	v_cvt_i32_f32_e32 v15, v15
	v_fmac_f32_e32 v18, 0x32a5705f, v3
	v_sub_f32_e32 v12, v12, v19
	v_add_f32_e32 v11, v11, v16
	v_exp_f32_e32 v10, v10
	v_cvt_i32_f32_e32 v17, v17
	v_fmac_f32_e32 v25, 0x32a5705f, v1
	v_sub_f32_e32 v13, v13, v28
	v_add_f32_e32 v12, v12, v18
	v_exp_f32_e32 v11, v11
	v_cvt_i32_f32_e32 v19, v19
	v_add_f32_e32 v13, v13, v25
	v_exp_f32_e32 v12, v12
	v_cvt_i32_f32_e32 v28, v28
	v_exp_f32_e32 v13, v13
	v_ldexp_f32 v10, v10, v15
	v_cmp_ngt_f32_e32 vcc, s7, v2
	v_ldexp_f32 v11, v11, v17
	v_cndmask_b32_e32 v10, 0, v10, vcc
	v_cmp_ngt_f32_e32 vcc, s7, v6
	v_ldexp_f32 v12, v12, v19
	v_cndmask_b32_e32 v11, 0, v11, vcc
	v_cmp_ngt_f32_e32 vcc, s7, v3
	v_ldexp_f32 v13, v13, v28
	v_cndmask_b32_e32 v12, 0, v12, vcc
	v_cmp_ngt_f32_e32 vcc, s7, v1
	v_cndmask_b32_e32 v13, 0, v13, vcc
	v_cmp_nlt_f32_e32 vcc, s8, v2
	v_cndmask_b32_e32 v2, v7, v10, vcc
	v_cmp_nlt_f32_e32 vcc, s8, v6
	;; [unrolled: 2-line block ×4, first 2 shown]
	v_fmac_f32_e32 v6, v4, v2
	v_cvt_f16_f32_e32 v1, v2
	v_cvt_f16_f32_e32 v2, v3
	v_cndmask_b32_e32 v7, v7, v13, vcc
	v_fmac_f32_e32 v7, v5, v3
	v_mov_b32_e32 v4, v6
	v_mul_u32_u24_e32 v2, 0x10001, v2
	v_mul_u32_u24_e32 v1, 0x10001, v1
	v_pk_mul_f16 v26, v26, v2
	v_pk_mul_f16 v30, v30, v2
	v_mov_b32_e32 v2, v8
	v_mov_b32_e32 v5, v7
	v_pk_mul_f16 v27, v27, v1
	v_pk_mul_f16 v34, v34, v1
	v_mov_b32_e32 v3, v9
	v_cmp_gt_i32_e32 vcc, s38, v24
	s_and_saveexec_b64 s[6:7], vcc
	s_cbranch_execnz .LBB59_47
.LBB59_45:
	s_endpgm
.LBB59_46:
	v_mov_b32_e32 v6, v4
	v_mov_b32_e32 v7, v5
	v_cmp_gt_i32_e32 vcc, s38, v24
	s_and_saveexec_b64 s[6:7], vcc
	s_cbranch_execz .LBB59_45
.LBB59_47:
	s_load_dword s8, s[4:5], 0xd4
	v_mov_b32_e32 v1, 1.0
	s_waitcnt lgkmcnt(0)
	s_cmp_lg_u32 s8, 1
	s_cselect_b64 s[10:11], -1, 0
	s_cmp_eq_u32 s8, 1
	s_cselect_b64 s[6:7], -1, 0
	s_and_b64 vcc, exec, s[10:11]
	s_cbranch_vccnz .LBB59_49
; %bb.48:
	v_div_scale_f32 v1, s[4:5], v6, v6, 1.0
	v_div_scale_f32 v8, vcc, 1.0, v6, 1.0
	v_rcp_f32_e32 v9, v1
	v_fma_f32 v10, -v1, v9, 1.0
	v_fmac_f32_e32 v9, v10, v9
	v_mul_f32_e32 v10, v8, v9
	v_fma_f32 v11, -v1, v10, v8
	v_fmac_f32_e32 v10, v11, v9
	v_fma_f32 v1, -v1, v10, v8
	v_div_fmas_f32 v1, v1, v9, v10
	v_div_fixup_f32 v1, v1, v6, 1.0
.LBB59_49:
	s_mul_i32 s12, s33, s38
	s_add_i32 s12, s12, s43
	v_add_u32_e32 v6, s12, v22
	v_mul_lo_u32 v6, v6, s39
	v_cmp_eq_u32_e32 vcc, 0, v0
	v_cvt_f32_f16_e32 v8, v27
	v_cvt_f32_f16_e32 v10, v34
	v_add_u32_e32 v0, s34, v6
	v_mul_lo_u32 v0, s8, v0
	v_cvt_f32_f16_sdwa v6, v27 dst_sel:DWORD dst_unused:UNUSED_PAD src0_sel:WORD_1
	v_cvt_f32_f16_sdwa v11, v34 dst_sel:DWORD dst_unused:UNUSED_PAD src0_sel:WORD_1
	v_mov_b32_e32 v13, 0
	v_add_u32_e32 v0, s9, v0
	v_lshl_add_u32 v12, v0, 7, v23
	v_lshlrev_b64 v[12:13], 2, v[12:13]
	v_mul_f32_e32 v8, v1, v8
	v_mul_f32_e32 v9, v1, v6
	;; [unrolled: 1-line block ×4, first 2 shown]
	v_mov_b32_e32 v1, s29
	v_add_co_u32_e64 v12, s[4:5], s28, v12
	v_addc_co_u32_e64 v13, s[4:5], v1, v13, s[4:5]
	s_and_b64 s[4:5], vcc, s[10:11]
	global_store_dwordx4 v[12:13], v[8:11], off
	s_and_saveexec_b64 s[10:11], s[4:5]
	s_cbranch_execz .LBB59_51
; %bb.50:
	v_ashrrev_i32_e32 v1, 31, v0
	v_lshlrev_b64 v[0:1], 3, v[0:1]
	v_mov_b32_e32 v6, s31
	v_add_co_u32_e32 v0, vcc, s30, v0
	v_addc_co_u32_e32 v1, vcc, v6, v1, vcc
	v_mov_b32_e32 v8, v2
	v_mov_b32_e32 v9, v4
	global_store_dwordx2 v[0:1], v[8:9], off
.LBB59_51:
	s_or_b64 exec, exec, s[10:11]
	v_cmp_gt_i32_e32 vcc, s38, v21
	s_and_b64 exec, exec, vcc
	s_cbranch_execz .LBB59_45
; %bb.52:
	s_andn2_b64 vcc, exec, s[6:7]
	v_mov_b32_e32 v1, 1.0
	s_cbranch_vccnz .LBB59_54
; %bb.53:
	v_div_scale_f32 v0, s[6:7], v7, v7, 1.0
	v_div_scale_f32 v1, vcc, 1.0, v7, 1.0
	v_rcp_f32_e32 v2, v0
	v_fma_f32 v4, -v0, v2, 1.0
	v_fmac_f32_e32 v2, v4, v2
	v_mul_f32_e32 v4, v1, v2
	v_fma_f32 v6, -v0, v4, v1
	v_fmac_f32_e32 v4, v6, v2
	v_fma_f32 v0, -v0, v4, v1
	v_div_fmas_f32 v0, v0, v2, v4
	v_div_fixup_f32 v1, v0, v7, 1.0
.LBB59_54:
	v_add_u32_e32 v0, s12, v20
	v_mul_lo_u32 v0, v0, s39
	v_cvt_f32_f16_e32 v2, v26
	v_cvt_f32_f16_sdwa v4, v26 dst_sel:DWORD dst_unused:UNUSED_PAD src0_sel:WORD_1
	v_cvt_f32_f16_e32 v8, v30
	v_add_u32_e32 v0, s34, v0
	v_mul_lo_u32 v0, s8, v0
	v_cvt_f32_f16_sdwa v9, v30 dst_sel:DWORD dst_unused:UNUSED_PAD src0_sel:WORD_1
	v_mov_b32_e32 v11, 0
	v_mul_f32_e32 v6, v1, v2
	v_add_u32_e32 v0, s9, v0
	v_lshl_add_u32 v10, v0, 7, v23
	v_mul_f32_e32 v7, v1, v4
	v_mul_f32_e32 v8, v1, v8
	;; [unrolled: 1-line block ×3, first 2 shown]
	v_lshlrev_b64 v[1:2], 2, v[10:11]
	v_mov_b32_e32 v4, s29
	v_add_co_u32_e32 v1, vcc, s28, v1
	v_addc_co_u32_e32 v2, vcc, v4, v2, vcc
	global_store_dwordx4 v[1:2], v[6:9], off
	s_and_b64 exec, exec, s[4:5]
	s_cbranch_execz .LBB59_45
; %bb.55:
	v_ashrrev_i32_e32 v1, 31, v0
	v_lshlrev_b64 v[0:1], 3, v[0:1]
	v_mov_b32_e32 v2, s31
	v_add_co_u32_e32 v0, vcc, s30, v0
	v_addc_co_u32_e32 v1, vcc, v2, v1, vcc
	v_mov_b32_e32 v4, v3
	global_store_dwordx2 v[0:1], v[4:5], off
	s_endpgm
	.section	.rodata,"a",@progbits
	.p2align	6, 0x0
	.amdhsa_kernel _ZL15flash_attn_tileILi128ELi128ELi16ELi1ELb0EEvPKcS1_S1_S1_S1_PKiPfP15HIP_vector_typeIfLj2EEffffjfiS5_IjLj3EEiiiiiiiiiiiliiliiiiil
		.amdhsa_group_segment_fixed_size 23552
		.amdhsa_private_segment_fixed_size 32
		.amdhsa_kernarg_size 464
		.amdhsa_user_sgpr_count 8
		.amdhsa_user_sgpr_private_segment_buffer 1
		.amdhsa_user_sgpr_dispatch_ptr 0
		.amdhsa_user_sgpr_queue_ptr 0
		.amdhsa_user_sgpr_kernarg_segment_ptr 1
		.amdhsa_user_sgpr_dispatch_id 0
		.amdhsa_user_sgpr_flat_scratch_init 1
		.amdhsa_user_sgpr_private_segment_size 0
		.amdhsa_uses_dynamic_stack 0
		.amdhsa_system_sgpr_private_segment_wavefront_offset 1
		.amdhsa_system_sgpr_workgroup_id_x 1
		.amdhsa_system_sgpr_workgroup_id_y 1
		.amdhsa_system_sgpr_workgroup_id_z 1
		.amdhsa_system_sgpr_workgroup_info 0
		.amdhsa_system_vgpr_workitem_id 1
		.amdhsa_next_free_vgpr 85
		.amdhsa_next_free_sgpr 96
		.amdhsa_reserve_vcc 1
		.amdhsa_reserve_flat_scratch 1
		.amdhsa_float_round_mode_32 0
		.amdhsa_float_round_mode_16_64 0
		.amdhsa_float_denorm_mode_32 3
		.amdhsa_float_denorm_mode_16_64 3
		.amdhsa_dx10_clamp 1
		.amdhsa_ieee_mode 1
		.amdhsa_fp16_overflow 0
		.amdhsa_exception_fp_ieee_invalid_op 0
		.amdhsa_exception_fp_denorm_src 0
		.amdhsa_exception_fp_ieee_div_zero 0
		.amdhsa_exception_fp_ieee_overflow 0
		.amdhsa_exception_fp_ieee_underflow 0
		.amdhsa_exception_fp_ieee_inexact 0
		.amdhsa_exception_int_div_zero 0
	.end_amdhsa_kernel
	.section	.text._ZL15flash_attn_tileILi128ELi128ELi16ELi1ELb0EEvPKcS1_S1_S1_S1_PKiPfP15HIP_vector_typeIfLj2EEffffjfiS5_IjLj3EEiiiiiiiiiiiliiliiiiil,"axG",@progbits,_ZL15flash_attn_tileILi128ELi128ELi16ELi1ELb0EEvPKcS1_S1_S1_S1_PKiPfP15HIP_vector_typeIfLj2EEffffjfiS5_IjLj3EEiiiiiiiiiiiliiliiiiil,comdat
.Lfunc_end59:
	.size	_ZL15flash_attn_tileILi128ELi128ELi16ELi1ELb0EEvPKcS1_S1_S1_S1_PKiPfP15HIP_vector_typeIfLj2EEffffjfiS5_IjLj3EEiiiiiiiiiiiliiliiiiil, .Lfunc_end59-_ZL15flash_attn_tileILi128ELi128ELi16ELi1ELb0EEvPKcS1_S1_S1_S1_PKiPfP15HIP_vector_typeIfLj2EEffffjfiS5_IjLj3EEiiiiiiiiiiiliiliiiiil
                                        ; -- End function
	.set _ZL15flash_attn_tileILi128ELi128ELi16ELi1ELb0EEvPKcS1_S1_S1_S1_PKiPfP15HIP_vector_typeIfLj2EEffffjfiS5_IjLj3EEiiiiiiiiiiiliiliiiiil.num_vgpr, 81
	.set _ZL15flash_attn_tileILi128ELi128ELi16ELi1ELb0EEvPKcS1_S1_S1_S1_PKiPfP15HIP_vector_typeIfLj2EEffffjfiS5_IjLj3EEiiiiiiiiiiiliiliiiiil.num_agpr, 0
	.set _ZL15flash_attn_tileILi128ELi128ELi16ELi1ELb0EEvPKcS1_S1_S1_S1_PKiPfP15HIP_vector_typeIfLj2EEffffjfiS5_IjLj3EEiiiiiiiiiiiliiliiiiil.numbered_sgpr, 56
	.set _ZL15flash_attn_tileILi128ELi128ELi16ELi1ELb0EEvPKcS1_S1_S1_S1_PKiPfP15HIP_vector_typeIfLj2EEffffjfiS5_IjLj3EEiiiiiiiiiiiliiliiiiil.num_named_barrier, 0
	.set _ZL15flash_attn_tileILi128ELi128ELi16ELi1ELb0EEvPKcS1_S1_S1_S1_PKiPfP15HIP_vector_typeIfLj2EEffffjfiS5_IjLj3EEiiiiiiiiiiiliiliiiiil.private_seg_size, 32
	.set _ZL15flash_attn_tileILi128ELi128ELi16ELi1ELb0EEvPKcS1_S1_S1_S1_PKiPfP15HIP_vector_typeIfLj2EEffffjfiS5_IjLj3EEiiiiiiiiiiiliiliiiiil.uses_vcc, 1
	.set _ZL15flash_attn_tileILi128ELi128ELi16ELi1ELb0EEvPKcS1_S1_S1_S1_PKiPfP15HIP_vector_typeIfLj2EEffffjfiS5_IjLj3EEiiiiiiiiiiiliiliiiiil.uses_flat_scratch, 1
	.set _ZL15flash_attn_tileILi128ELi128ELi16ELi1ELb0EEvPKcS1_S1_S1_S1_PKiPfP15HIP_vector_typeIfLj2EEffffjfiS5_IjLj3EEiiiiiiiiiiiliiliiiiil.has_dyn_sized_stack, 0
	.set _ZL15flash_attn_tileILi128ELi128ELi16ELi1ELb0EEvPKcS1_S1_S1_S1_PKiPfP15HIP_vector_typeIfLj2EEffffjfiS5_IjLj3EEiiiiiiiiiiiliiliiiiil.has_recursion, 0
	.set _ZL15flash_attn_tileILi128ELi128ELi16ELi1ELb0EEvPKcS1_S1_S1_S1_PKiPfP15HIP_vector_typeIfLj2EEffffjfiS5_IjLj3EEiiiiiiiiiiiliiliiiiil.has_indirect_call, 0
	.section	.AMDGPU.csdata,"",@progbits
; Kernel info:
; codeLenInByte = 20824
; TotalNumSgprs: 62
; NumVgprs: 81
; ScratchSize: 32
; MemoryBound: 0
; FloatMode: 240
; IeeeMode: 1
; LDSByteSize: 23552 bytes/workgroup (compile time only)
; SGPRBlocks: 12
; VGPRBlocks: 21
; NumSGPRsForWavesPerEU: 102
; NumVGPRsForWavesPerEU: 85
; Occupancy: 2
; WaveLimiterHint : 1
; COMPUTE_PGM_RSRC2:SCRATCH_EN: 1
; COMPUTE_PGM_RSRC2:USER_SGPR: 8
; COMPUTE_PGM_RSRC2:TRAP_HANDLER: 0
; COMPUTE_PGM_RSRC2:TGID_X_EN: 1
; COMPUTE_PGM_RSRC2:TGID_Y_EN: 1
; COMPUTE_PGM_RSRC2:TGID_Z_EN: 1
; COMPUTE_PGM_RSRC2:TIDIG_COMP_CNT: 1
	.section	.text._ZL33flash_attn_stream_k_fixup_uniformILi128ELi16ELi1EEvPfPK15HIP_vector_typeIfLj2EEiiiiiiS1_IjLj3EES5_S5_,"axG",@progbits,_ZL33flash_attn_stream_k_fixup_uniformILi128ELi16ELi1EEvPfPK15HIP_vector_typeIfLj2EEiiiiiiS1_IjLj3EES5_S5_,comdat
	.globl	_ZL33flash_attn_stream_k_fixup_uniformILi128ELi16ELi1EEvPfPK15HIP_vector_typeIfLj2EEiiiiiiS1_IjLj3EES5_S5_ ; -- Begin function _ZL33flash_attn_stream_k_fixup_uniformILi128ELi16ELi1EEvPfPK15HIP_vector_typeIfLj2EEiiiiiiS1_IjLj3EES5_S5_
	.p2align	8
	.type	_ZL33flash_attn_stream_k_fixup_uniformILi128ELi16ELi1EEvPfPK15HIP_vector_typeIfLj2EEiiiiiiS1_IjLj3EES5_S5_,@function
_ZL33flash_attn_stream_k_fixup_uniformILi128ELi16ELi1EEvPfPK15HIP_vector_typeIfLj2EEiiiiiiS1_IjLj3EES5_S5_: ; @_ZL33flash_attn_stream_k_fixup_uniformILi128ELi16ELi1EEvPfPK15HIP_vector_typeIfLj2EEiiiiiiS1_IjLj3EES5_S5_
; %bb.0:
	s_load_dwordx8 s[12:19], s[4:5], 0x1c
	s_load_dwordx2 s[10:11], s[4:5], 0x10
	s_load_dwordx4 s[0:3], s[4:5], 0x3c
	s_waitcnt lgkmcnt(0)
	s_mul_hi_u32 s9, s15, s6
	s_add_i32 s9, s6, s9
	s_lshr_b32 s9, s9, s16
	s_mul_i32 s15, s9, s17
	s_sub_i32 s15, s6, s15
	s_mul_hi_u32 s16, s15, s18
	s_add_i32 s16, s15, s16
	s_lshr_b32 s16, s16, s19
	s_mul_i32 s0, s16, s0
	s_sub_i32 s0, s15, s0
	;; [unrolled: 5-line block ×3, first 2 shown]
	s_lshl_b32 s0, s17, 4
	s_add_i32 s0, s0, s7
	s_cmp_lt_i32 s0, s10
	s_cselect_b64 s[0:1], -1, 0
	s_add_i32 s2, s15, s8
	s_cmp_lt_i32 s2, s13
	s_cselect_b64 s[2:3], -1, 0
	s_and_b64 s[0:1], s[0:1], s[2:3]
	s_andn2_b64 vcc, exec, s[0:1]
	s_cbranch_vccnz .LBB60_6
; %bb.1:
	s_load_dwordx4 s[0:3], s[4:5], 0x0
	s_mul_i32 s4, s9, s10
	s_add_i32 s4, s4, s7
	s_mul_i32 s4, s4, s11
	s_mul_i32 s16, s16, s13
	s_add_i32 s4, s4, s8
	s_add_i32 s4, s4, s16
	s_mul_i32 s5, s11, s17
	s_add_i32 s4, s4, s15
	s_lshl_b32 s5, s5, 11
	s_lshl_b32 s4, s4, 7
	s_add_i32 s5, s5, s4
	v_or_b32_e32 v1, s5, v0
	v_ashrrev_i32_e32 v2, 31, v1
	v_lshlrev_b64 v[1:2], 2, v[1:2]
	s_waitcnt lgkmcnt(0)
	v_mov_b32_e32 v3, s1
	v_add_co_u32_e32 v1, vcc, s0, v1
	v_addc_co_u32_e32 v2, vcc, v3, v2, vcc
	global_load_dword v8, v[1:2], off
	s_add_i32 s4, s7, s8
	s_mul_i32 s7, s14, s6
	s_add_i32 s5, s7, s14
	s_lshl_b32 s0, s5, 4
	s_add_i32 s0, s4, s0
	s_add_i32 s0, s0, -16
	s_ashr_i32 s1, s0, 31
	s_lshl_b64 s[0:1], s[0:1], 3
	s_add_u32 s0, s2, s0
	s_addc_u32 s1, s3, s1
	s_load_dword s10, s[0:1], 0x4
	s_add_i32 s8, s5, -2
	s_cmp_lt_i32 s8, s7
	s_cbranch_scc1 .LBB60_4
; %bb.2:
	s_lshl_b32 s8, s12, 6
	s_ashr_i32 s9, s8, 31
	s_lshl_b64 s[8:9], s[8:9], 2
	s_add_u32 s8, s2, s8
	s_addc_u32 s11, s3, s9
	s_add_i32 s6, s6, 1
	s_add_i32 s9, s5, -1
	s_mul_i32 s5, s14, s6
	s_load_dword s0, s[0:1], 0x0
	s_lshl_b32 s1, s4, 7
	s_lshl_b32 s6, s5, 11
	s_add_i32 s1, s1, s6
	v_or_b32_e32 v0, s1, v0
	s_lshl_b32 s1, s5, 4
	s_add_i32 s1, s4, s1
	s_lshl_b32 s4, s12, 4
	s_add_i32 s1, s1, s4
	v_add_u32_e32 v3, 0xfffff000, v0
	s_sub_i32 s4, s1, 32
	s_waitcnt lgkmcnt(0)
	v_mov_b32_e32 v7, s10
	v_mov_b32_e32 v6, s0
	;; [unrolled: 1-line block ×3, first 2 shown]
	s_mov_b32 s6, 0x3fb8aa3b
	s_mov_b32 s10, 0xc2ce8ed0
	;; [unrolled: 1-line block ×3, first 2 shown]
	v_mov_b32_e32 v5, 0x7f800000
	s_mov_b32 s12, 0xc1a00000
.LBB60_3:                               ; =>This Inner Loop Header: Depth=1
	v_ashrrev_i32_e32 v4, 31, v3
	v_lshlrev_b64 v[9:10], 2, v[3:4]
	s_ashr_i32 s5, s4, 31
	v_add_co_u32_e32 v9, vcc, s8, v9
	v_addc_co_u32_e32 v10, vcc, v0, v10, vcc
	global_load_dword v4, v[9:10], off
	s_lshl_b64 s[0:1], s[4:5], 3
	s_add_u32 s0, s2, s0
	s_addc_u32 s1, s3, s1
	s_load_dwordx2 s[14:15], s[0:1], 0x0
	s_waitcnt vmcnt(1)
	v_mov_b32_e32 v9, v8
	v_max_f32_e32 v8, v6, v6
	v_mov_b32_e32 v10, v7
	s_add_i32 s9, s9, -1
	s_waitcnt lgkmcnt(0)
	v_max_f32_e64 v7, s14, s14
	v_max_f32_e32 v7, v8, v7
	v_sub_f32_e32 v11, s14, v7
	v_sub_f32_e32 v8, v6, v7
	v_mul_f32_e32 v12, 0x3fb8aa3b, v11
	v_mov_b32_e32 v6, v7
	v_mul_f32_e32 v7, 0x3fb8aa3b, v8
	v_fma_f32 v15, v11, s6, -v12
	v_rndne_f32_e32 v16, v12
	v_fma_f32 v13, v8, s6, -v7
	v_rndne_f32_e32 v14, v7
	v_fmac_f32_e32 v15, 0x32a5705f, v11
	v_sub_f32_e32 v12, v12, v16
	v_fmac_f32_e32 v13, 0x32a5705f, v8
	v_sub_f32_e32 v7, v7, v14
	v_add_f32_e32 v12, v12, v15
	v_cvt_i32_f32_e32 v16, v16
	v_add_f32_e32 v7, v7, v13
	v_exp_f32_e32 v12, v12
	v_cvt_i32_f32_e32 v14, v14
	v_exp_f32_e32 v7, v7
	v_cmp_ngt_f32_e32 vcc, s10, v11
	v_ldexp_f32 v12, v12, v16
	v_cmp_ngt_f32_e64 s[0:1], s10, v8
	v_ldexp_f32 v7, v7, v14
	v_cndmask_b32_e32 v12, 0, v12, vcc
	v_cmp_nlt_f32_e32 vcc, s11, v11
	v_cndmask_b32_e64 v7, 0, v7, s[0:1]
	v_cmp_nlt_f32_e64 s[0:1], s11, v8
	v_cndmask_b32_e32 v12, v5, v12, vcc
	v_cmp_le_f32_e32 vcc, s12, v11
	v_cndmask_b32_e64 v7, v5, v7, s[0:1]
	v_cmp_le_f32_e64 s[0:1], s12, v8
	v_cndmask_b32_e32 v8, 0, v12, vcc
	s_add_i32 s4, s4, -16
	v_cndmask_b32_e64 v11, 0, v7, s[0:1]
	v_mul_f32_e32 v7, s15, v8
	v_add_u32_e32 v3, 0xfffff800, v3
	s_cmp_le_i32 s9, s7
	v_fmac_f32_e32 v7, v10, v11
	s_waitcnt vmcnt(0)
	v_mul_f32_e32 v8, v4, v8
	v_fmac_f32_e32 v8, v9, v11
	s_cbranch_scc0 .LBB60_3
	s_branch .LBB60_5
.LBB60_4:
	s_waitcnt lgkmcnt(0)
	v_mov_b32_e32 v7, s10
.LBB60_5:
	s_waitcnt vmcnt(0)
	v_div_scale_f32 v0, s[0:1], v7, v7, v8
	v_div_scale_f32 v3, vcc, v8, v7, v8
	v_rcp_f32_e32 v4, v0
	v_fma_f32 v5, -v0, v4, 1.0
	v_fmac_f32_e32 v4, v5, v4
	v_mul_f32_e32 v5, v3, v4
	v_fma_f32 v6, -v0, v5, v3
	v_fmac_f32_e32 v5, v6, v4
	v_fma_f32 v0, -v0, v5, v3
	v_div_fmas_f32 v0, v0, v4, v5
	v_div_fixup_f32 v0, v0, v7, v8
	global_store_dword v[1:2], v0, off
.LBB60_6:
	s_endpgm
	.section	.rodata,"a",@progbits
	.p2align	6, 0x0
	.amdhsa_kernel _ZL33flash_attn_stream_k_fixup_uniformILi128ELi16ELi1EEvPfPK15HIP_vector_typeIfLj2EEiiiiiiS1_IjLj3EES5_S5_
		.amdhsa_group_segment_fixed_size 0
		.amdhsa_private_segment_fixed_size 0
		.amdhsa_kernarg_size 76
		.amdhsa_user_sgpr_count 6
		.amdhsa_user_sgpr_private_segment_buffer 1
		.amdhsa_user_sgpr_dispatch_ptr 0
		.amdhsa_user_sgpr_queue_ptr 0
		.amdhsa_user_sgpr_kernarg_segment_ptr 1
		.amdhsa_user_sgpr_dispatch_id 0
		.amdhsa_user_sgpr_flat_scratch_init 0
		.amdhsa_user_sgpr_private_segment_size 0
		.amdhsa_uses_dynamic_stack 0
		.amdhsa_system_sgpr_private_segment_wavefront_offset 0
		.amdhsa_system_sgpr_workgroup_id_x 1
		.amdhsa_system_sgpr_workgroup_id_y 1
		.amdhsa_system_sgpr_workgroup_id_z 1
		.amdhsa_system_sgpr_workgroup_info 0
		.amdhsa_system_vgpr_workitem_id 0
		.amdhsa_next_free_vgpr 17
		.amdhsa_next_free_sgpr 20
		.amdhsa_reserve_vcc 1
		.amdhsa_reserve_flat_scratch 0
		.amdhsa_float_round_mode_32 0
		.amdhsa_float_round_mode_16_64 0
		.amdhsa_float_denorm_mode_32 3
		.amdhsa_float_denorm_mode_16_64 3
		.amdhsa_dx10_clamp 1
		.amdhsa_ieee_mode 1
		.amdhsa_fp16_overflow 0
		.amdhsa_exception_fp_ieee_invalid_op 0
		.amdhsa_exception_fp_denorm_src 0
		.amdhsa_exception_fp_ieee_div_zero 0
		.amdhsa_exception_fp_ieee_overflow 0
		.amdhsa_exception_fp_ieee_underflow 0
		.amdhsa_exception_fp_ieee_inexact 0
		.amdhsa_exception_int_div_zero 0
	.end_amdhsa_kernel
	.section	.text._ZL33flash_attn_stream_k_fixup_uniformILi128ELi16ELi1EEvPfPK15HIP_vector_typeIfLj2EEiiiiiiS1_IjLj3EES5_S5_,"axG",@progbits,_ZL33flash_attn_stream_k_fixup_uniformILi128ELi16ELi1EEvPfPK15HIP_vector_typeIfLj2EEiiiiiiS1_IjLj3EES5_S5_,comdat
.Lfunc_end60:
	.size	_ZL33flash_attn_stream_k_fixup_uniformILi128ELi16ELi1EEvPfPK15HIP_vector_typeIfLj2EEiiiiiiS1_IjLj3EES5_S5_, .Lfunc_end60-_ZL33flash_attn_stream_k_fixup_uniformILi128ELi16ELi1EEvPfPK15HIP_vector_typeIfLj2EEiiiiiiS1_IjLj3EES5_S5_
                                        ; -- End function
	.set _ZL33flash_attn_stream_k_fixup_uniformILi128ELi16ELi1EEvPfPK15HIP_vector_typeIfLj2EEiiiiiiS1_IjLj3EES5_S5_.num_vgpr, 17
	.set _ZL33flash_attn_stream_k_fixup_uniformILi128ELi16ELi1EEvPfPK15HIP_vector_typeIfLj2EEiiiiiiS1_IjLj3EES5_S5_.num_agpr, 0
	.set _ZL33flash_attn_stream_k_fixup_uniformILi128ELi16ELi1EEvPfPK15HIP_vector_typeIfLj2EEiiiiiiS1_IjLj3EES5_S5_.numbered_sgpr, 20
	.set _ZL33flash_attn_stream_k_fixup_uniformILi128ELi16ELi1EEvPfPK15HIP_vector_typeIfLj2EEiiiiiiS1_IjLj3EES5_S5_.num_named_barrier, 0
	.set _ZL33flash_attn_stream_k_fixup_uniformILi128ELi16ELi1EEvPfPK15HIP_vector_typeIfLj2EEiiiiiiS1_IjLj3EES5_S5_.private_seg_size, 0
	.set _ZL33flash_attn_stream_k_fixup_uniformILi128ELi16ELi1EEvPfPK15HIP_vector_typeIfLj2EEiiiiiiS1_IjLj3EES5_S5_.uses_vcc, 1
	.set _ZL33flash_attn_stream_k_fixup_uniformILi128ELi16ELi1EEvPfPK15HIP_vector_typeIfLj2EEiiiiiiS1_IjLj3EES5_S5_.uses_flat_scratch, 0
	.set _ZL33flash_attn_stream_k_fixup_uniformILi128ELi16ELi1EEvPfPK15HIP_vector_typeIfLj2EEiiiiiiS1_IjLj3EES5_S5_.has_dyn_sized_stack, 0
	.set _ZL33flash_attn_stream_k_fixup_uniformILi128ELi16ELi1EEvPfPK15HIP_vector_typeIfLj2EEiiiiiiS1_IjLj3EES5_S5_.has_recursion, 0
	.set _ZL33flash_attn_stream_k_fixup_uniformILi128ELi16ELi1EEvPfPK15HIP_vector_typeIfLj2EEiiiiiiS1_IjLj3EES5_S5_.has_indirect_call, 0
	.section	.AMDGPU.csdata,"",@progbits
; Kernel info:
; codeLenInByte = 836
; TotalNumSgprs: 24
; NumVgprs: 17
; ScratchSize: 0
; MemoryBound: 0
; FloatMode: 240
; IeeeMode: 1
; LDSByteSize: 0 bytes/workgroup (compile time only)
; SGPRBlocks: 2
; VGPRBlocks: 4
; NumSGPRsForWavesPerEU: 24
; NumVGPRsForWavesPerEU: 17
; Occupancy: 10
; WaveLimiterHint : 0
; COMPUTE_PGM_RSRC2:SCRATCH_EN: 0
; COMPUTE_PGM_RSRC2:USER_SGPR: 6
; COMPUTE_PGM_RSRC2:TRAP_HANDLER: 0
; COMPUTE_PGM_RSRC2:TGID_X_EN: 1
; COMPUTE_PGM_RSRC2:TGID_Y_EN: 1
; COMPUTE_PGM_RSRC2:TGID_Z_EN: 1
; COMPUTE_PGM_RSRC2:TIDIG_COMP_CNT: 0
	.section	.text._ZL33flash_attn_stream_k_fixup_generalILi128ELi16ELi1EEvPfPK15HIP_vector_typeIfLj2EEiiiiS1_IjLj3EES5_S5_S5_,"axG",@progbits,_ZL33flash_attn_stream_k_fixup_generalILi128ELi16ELi1EEvPfPK15HIP_vector_typeIfLj2EEiiiiS1_IjLj3EES5_S5_S5_,comdat
	.globl	_ZL33flash_attn_stream_k_fixup_generalILi128ELi16ELi1EEvPfPK15HIP_vector_typeIfLj2EEiiiiS1_IjLj3EES5_S5_S5_ ; -- Begin function _ZL33flash_attn_stream_k_fixup_generalILi128ELi16ELi1EEvPfPK15HIP_vector_typeIfLj2EEiiiiS1_IjLj3EES5_S5_S5_
	.p2align	8
	.type	_ZL33flash_attn_stream_k_fixup_generalILi128ELi16ELi1EEvPfPK15HIP_vector_typeIfLj2EEiiiiS1_IjLj3EES5_S5_S5_,@function
_ZL33flash_attn_stream_k_fixup_generalILi128ELi16ELi1EEvPfPK15HIP_vector_typeIfLj2EEiiiiS1_IjLj3EES5_S5_S5_: ; @_ZL33flash_attn_stream_k_fixup_generalILi128ELi16ELi1EEvPfPK15HIP_vector_typeIfLj2EEiiiiS1_IjLj3EES5_S5_S5_
; %bb.0:
	s_load_dwordx4 s[0:3], s[4:5], 0x10
	s_load_dword s22, s[4:5], 0x50
	s_mov_b32 s12, 0
	s_waitcnt lgkmcnt(0)
	s_mul_hi_i32 s13, s3, s6
	s_cmp_lg_u64 s[12:13], 0
	s_mul_i32 s9, s3, s6
	s_cbranch_scc0 .LBB61_20
; %bb.1:
	s_add_u32 s10, s22, 0
	s_addc_u32 s11, 0, 0
	s_xor_b64 s[10:11], s[10:11], 0
	v_cvt_f32_u32_e32 v1, s10
	v_cvt_f32_u32_e32 v2, s11
	s_sub_u32 s12, 0, s10
	s_subb_u32 s18, 0, s11
	v_madmk_f32 v1, v2, 0x4f800000, v1
	v_rcp_f32_e32 v1, v1
	v_mul_f32_e32 v1, 0x5f7ffffc, v1
	v_mul_f32_e32 v2, 0x2f800000, v1
	v_trunc_f32_e32 v2, v2
	v_madmk_f32 v1, v2, 0xcf800000, v1
	v_cvt_u32_f32_e32 v2, v2
	v_cvt_u32_f32_e32 v1, v1
	v_readfirstlane_b32 s19, v2
	v_readfirstlane_b32 s14, v1
	s_mul_i32 s15, s12, s19
	s_mul_hi_u32 s21, s12, s14
	s_mul_i32 s20, s18, s14
	s_add_i32 s15, s21, s15
	s_add_i32 s15, s15, s20
	s_mul_i32 s23, s12, s14
	s_mul_i32 s21, s14, s15
	s_mul_hi_u32 s24, s14, s23
	s_mul_hi_u32 s20, s14, s15
	s_add_u32 s21, s24, s21
	s_addc_u32 s20, 0, s20
	s_mul_hi_u32 s25, s19, s23
	s_mul_i32 s23, s19, s23
	s_add_u32 s21, s21, s23
	s_mul_hi_u32 s24, s19, s15
	s_addc_u32 s20, s20, s25
	s_addc_u32 s21, s24, 0
	s_mul_i32 s15, s19, s15
	s_add_u32 s15, s20, s15
	s_addc_u32 s20, 0, s21
	s_add_u32 s21, s14, s15
	s_cselect_b64 s[14:15], -1, 0
	s_cmp_lg_u64 s[14:15], 0
	s_addc_u32 s19, s19, s20
	s_mul_i32 s14, s12, s19
	s_mul_hi_u32 s15, s12, s21
	s_add_i32 s14, s15, s14
	s_mul_i32 s18, s18, s21
	s_add_i32 s14, s14, s18
	s_mul_i32 s12, s12, s21
	s_mul_hi_u32 s18, s19, s12
	s_mul_i32 s20, s19, s12
	s_mul_i32 s24, s21, s14
	s_mul_hi_u32 s12, s21, s12
	s_mul_hi_u32 s23, s21, s14
	s_add_u32 s12, s12, s24
	s_addc_u32 s23, 0, s23
	s_add_u32 s12, s12, s20
	s_mul_hi_u32 s15, s19, s14
	s_addc_u32 s12, s23, s18
	s_addc_u32 s15, s15, 0
	s_mul_i32 s14, s19, s14
	s_add_u32 s12, s12, s14
	s_addc_u32 s18, 0, s15
	s_add_u32 s20, s21, s12
	s_cselect_b64 s[14:15], -1, 0
	s_cmp_lg_u64 s[14:15], 0
	s_addc_u32 s18, s19, s18
	s_ashr_i32 s14, s13, 31
	s_add_u32 s12, s9, s14
	s_mov_b32 s15, s14
	s_addc_u32 s13, s13, s14
	s_xor_b64 s[12:13], s[12:13], s[14:15]
	s_mul_i32 s21, s12, s18
	s_mul_hi_u32 s23, s12, s20
	s_mul_hi_u32 s19, s12, s18
	s_add_u32 s21, s23, s21
	s_addc_u32 s19, 0, s19
	s_mul_hi_u32 s24, s13, s20
	s_mul_i32 s20, s13, s20
	s_add_u32 s20, s21, s20
	s_mul_hi_u32 s23, s13, s18
	s_addc_u32 s19, s19, s24
	s_addc_u32 s20, s23, 0
	s_mul_i32 s18, s13, s18
	s_add_u32 s23, s19, s18
	s_addc_u32 s24, 0, s20
	s_mul_i32 s18, s10, s24
	s_mul_hi_u32 s19, s10, s23
	s_add_i32 s18, s19, s18
	s_mul_i32 s19, s11, s23
	s_add_i32 s25, s18, s19
	s_sub_i32 s20, s13, s25
	s_mul_i32 s18, s10, s23
	s_sub_u32 s12, s12, s18
	s_cselect_b64 s[18:19], -1, 0
	s_cmp_lg_u64 s[18:19], 0
	s_subb_u32 s26, s20, s11
	s_sub_u32 s27, s12, s10
	s_cselect_b64 s[20:21], -1, 0
	s_cmp_lg_u64 s[20:21], 0
	s_subb_u32 s20, s26, 0
	s_cmp_ge_u32 s20, s11
	s_cselect_b32 s21, -1, 0
	s_cmp_ge_u32 s27, s10
	s_cselect_b32 s26, -1, 0
	s_cmp_eq_u32 s20, s11
	s_cselect_b32 s20, s26, s21
	s_add_u32 s21, s23, 1
	s_addc_u32 s26, s24, 0
	s_add_u32 s27, s23, 2
	s_addc_u32 s28, s24, 0
	s_cmp_lg_u32 s20, 0
	s_cselect_b32 s20, s27, s21
	s_cselect_b32 s21, s28, s26
	s_cmp_lg_u64 s[18:19], 0
	s_subb_u32 s13, s13, s25
	s_cmp_ge_u32 s13, s11
	s_cselect_b32 s18, -1, 0
	s_cmp_ge_u32 s12, s10
	s_cselect_b32 s10, -1, 0
	s_cmp_eq_u32 s13, s11
	s_cselect_b32 s10, s10, s18
	s_cmp_lg_u32 s10, 0
	s_cselect_b32 s11, s21, s24
	s_cselect_b32 s10, s20, s23
	s_xor_b64 s[12:13], s[14:15], 0
	s_xor_b64 s[10:11], s[10:11], s[12:13]
	s_sub_u32 s10, s10, s12
	s_load_dwordx4 s[12:15], s[4:5], 0x44
	s_cbranch_execnz .LBB61_3
.LBB61_2:
	v_cvt_f32_u32_e32 v1, s22
	s_sub_i32 s10, 0, s22
	v_rcp_iflag_f32_e32 v1, v1
	v_mul_f32_e32 v1, 0x4f7ffffe, v1
	v_cvt_u32_f32_e32 v1, v1
	v_readfirstlane_b32 s11, v1
	s_mul_i32 s10, s10, s11
	s_mul_hi_u32 s10, s11, s10
	s_add_i32 s11, s11, s10
	s_mul_hi_u32 s10, s9, s11
	s_waitcnt lgkmcnt(0)
	s_mul_i32 s15, s10, s22
	s_sub_i32 s9, s9, s15
	s_add_i32 s11, s10, 1
	s_sub_i32 s15, s9, s22
	s_cmp_ge_u32 s9, s22
	s_cselect_b32 s10, s11, s10
	s_cselect_b32 s9, s15, s9
	s_add_i32 s11, s10, 1
	s_cmp_ge_u32 s9, s22
	s_cselect_b32 s10, s11, s10
.LBB61_3:
	s_add_i32 s9, s6, 1
	s_mul_hi_i32 s21, s3, s9
	s_mov_b32 s20, 0
	s_cmp_lg_u64 s[20:21], 0
	s_mul_i32 s9, s3, s9
	s_cbranch_scc0 .LBB61_21
; %bb.4:
	s_add_u32 s16, s22, 0
	s_addc_u32 s17, 0, 0
	s_xor_b64 s[18:19], s[16:17], 0
	v_cvt_f32_u32_e32 v1, s18
	v_cvt_f32_u32_e32 v2, s19
	s_sub_u32 s11, 0, s18
	s_waitcnt lgkmcnt(0)
	s_subb_u32 s15, 0, s19
	v_madmk_f32 v1, v2, 0x4f800000, v1
	v_rcp_f32_e32 v1, v1
	v_mul_f32_e32 v1, 0x5f7ffffc, v1
	v_mul_f32_e32 v2, 0x2f800000, v1
	v_trunc_f32_e32 v2, v2
	v_madmk_f32 v1, v2, 0xcf800000, v1
	v_cvt_u32_f32_e32 v2, v2
	v_cvt_u32_f32_e32 v1, v1
	v_readfirstlane_b32 s20, v2
	v_readfirstlane_b32 s23, v1
	s_mul_i32 s24, s11, s20
	s_mul_hi_u32 s26, s11, s23
	s_mul_i32 s25, s15, s23
	s_add_i32 s24, s26, s24
	s_add_i32 s24, s24, s25
	s_mul_i32 s27, s11, s23
	s_mul_i32 s26, s23, s24
	s_mul_hi_u32 s28, s23, s27
	s_mul_hi_u32 s25, s23, s24
	s_add_u32 s26, s28, s26
	s_addc_u32 s25, 0, s25
	s_mul_hi_u32 s29, s20, s27
	s_mul_i32 s27, s20, s27
	s_add_u32 s26, s26, s27
	s_mul_hi_u32 s28, s20, s24
	s_addc_u32 s25, s25, s29
	s_addc_u32 s26, s28, 0
	s_mul_i32 s24, s20, s24
	s_add_u32 s24, s25, s24
	s_addc_u32 s26, 0, s26
	s_add_u32 s23, s23, s24
	s_cselect_b64 s[24:25], -1, 0
	s_cmp_lg_u64 s[24:25], 0
	s_addc_u32 s20, s20, s26
	s_mul_i32 s24, s11, s20
	s_mul_hi_u32 s25, s11, s23
	s_add_i32 s24, s25, s24
	s_mul_i32 s15, s15, s23
	s_add_i32 s24, s24, s15
	s_mul_i32 s11, s11, s23
	s_mul_hi_u32 s25, s20, s11
	s_mul_i32 s26, s20, s11
	s_mul_i32 s28, s23, s24
	s_mul_hi_u32 s11, s23, s11
	s_mul_hi_u32 s27, s23, s24
	s_add_u32 s11, s11, s28
	s_addc_u32 s27, 0, s27
	s_add_u32 s11, s11, s26
	s_mul_hi_u32 s15, s20, s24
	s_addc_u32 s11, s27, s25
	s_addc_u32 s15, s15, 0
	s_mul_i32 s24, s20, s24
	s_add_u32 s11, s11, s24
	s_addc_u32 s15, 0, s15
	s_add_u32 s11, s23, s11
	s_cselect_b64 s[24:25], -1, 0
	s_cmp_lg_u64 s[24:25], 0
	s_addc_u32 s15, s20, s15
	s_ashr_i32 s24, s21, 31
	s_add_u32 s20, s9, s24
	s_mov_b32 s25, s24
	s_addc_u32 s21, s21, s24
	s_xor_b64 s[20:21], s[20:21], s[24:25]
	s_mul_i32 s26, s20, s15
	s_mul_hi_u32 s27, s20, s11
	s_mul_hi_u32 s23, s20, s15
	s_add_u32 s26, s27, s26
	s_addc_u32 s23, 0, s23
	s_mul_hi_u32 s28, s21, s11
	s_mul_i32 s11, s21, s11
	s_add_u32 s11, s26, s11
	s_mul_hi_u32 s27, s21, s15
	s_addc_u32 s11, s23, s28
	s_addc_u32 s23, s27, 0
	s_mul_i32 s15, s21, s15
	s_add_u32 s11, s11, s15
	s_addc_u32 s15, 0, s23
	s_mul_i32 s23, s18, s15
	s_mul_hi_u32 s26, s18, s11
	s_add_i32 s23, s26, s23
	s_mul_i32 s26, s19, s11
	s_add_i32 s23, s23, s26
	s_sub_i32 s28, s21, s23
	s_mul_i32 s26, s18, s11
	s_sub_u32 s20, s20, s26
	s_cselect_b64 s[26:27], -1, 0
	s_cmp_lg_u64 s[26:27], 0
	s_subb_u32 s30, s28, s19
	s_sub_u32 s31, s20, s18
	s_cselect_b64 s[28:29], -1, 0
	s_cmp_lg_u64 s[28:29], 0
	s_subb_u32 s28, s30, 0
	s_cmp_ge_u32 s28, s19
	s_cselect_b32 s29, -1, 0
	s_cmp_ge_u32 s31, s18
	s_cselect_b32 s30, -1, 0
	s_cmp_eq_u32 s28, s19
	s_cselect_b32 s28, s30, s29
	s_add_u32 s29, s11, 1
	s_addc_u32 s30, s15, 0
	s_add_u32 s31, s11, 2
	s_addc_u32 s33, s15, 0
	s_cmp_lg_u32 s28, 0
	s_cselect_b32 s28, s31, s29
	s_cselect_b32 s29, s33, s30
	s_cmp_lg_u64 s[26:27], 0
	s_subb_u32 s21, s21, s23
	s_cmp_ge_u32 s21, s19
	s_cselect_b32 s23, -1, 0
	s_cmp_ge_u32 s20, s18
	s_cselect_b32 s18, -1, 0
	s_cmp_eq_u32 s21, s19
	s_cselect_b32 s18, s18, s23
	s_cmp_lg_u32 s18, 0
	s_cselect_b32 s19, s29, s15
	s_cselect_b32 s18, s28, s11
	s_xor_b64 s[20:21], s[24:25], 0
	s_xor_b64 s[18:19], s[18:19], s[20:21]
	s_sub_u32 s18, s18, s20
	s_cbranch_execnz .LBB61_6
.LBB61_5:
	v_cvt_f32_u32_e32 v1, s22
	s_sub_i32 s11, 0, s22
	v_rcp_iflag_f32_e32 v1, v1
	v_mul_f32_e32 v1, 0x4f7ffffe, v1
	v_cvt_u32_f32_e32 v1, v1
	s_waitcnt lgkmcnt(0)
	v_readfirstlane_b32 s15, v1
	s_mul_i32 s11, s11, s15
	s_mul_hi_u32 s11, s15, s11
	s_add_i32 s15, s15, s11
	s_mul_hi_u32 s11, s9, s15
	s_mul_i32 s16, s11, s22
	s_sub_i32 s9, s9, s16
	s_add_i32 s15, s11, 1
	s_sub_i32 s16, s9, s22
	s_cmp_ge_u32 s9, s22
	s_cselect_b32 s11, s15, s11
	s_cselect_b32 s9, s16, s9
	s_add_i32 s15, s11, 1
	s_cmp_ge_u32 s9, s22
	s_cselect_b32 s18, s15, s11
.LBB61_6:
	s_cmp_eq_u32 s10, s18
	s_waitcnt lgkmcnt(0)
	s_mul_hi_u32 s9, s10, s12
	s_cselect_b64 s[16:17], -1, 0
	s_add_i32 s9, s9, s10
	s_lshr_b32 s11, s9, s13
	s_mul_i32 s9, s11, s14
	s_cmp_eq_u32 s9, s10
	s_mul_hi_u32 s9, s18, s12
	s_cselect_b64 s[20:21], -1, 0
	s_add_i32 s9, s9, s18
	s_lshr_b32 s9, s9, s13
	s_cmp_eq_u32 s11, s9
	s_mul_i32 s9, s9, s14
	s_cselect_b64 s[24:25], -1, 0
	s_cmp_lg_u32 s9, s18
	s_cselect_b64 s[18:19], -1, 0
	s_and_b64 s[18:19], s[24:25], s[18:19]
	s_or_b64 s[16:17], s[16:17], s[20:21]
	s_or_b64 s[16:17], s[16:17], s[18:19]
	s_and_b64 vcc, exec, s[16:17]
	s_cbranch_vccnz .LBB61_23
; %bb.7:
	s_load_dwordx8 s[24:31], s[4:5], 0x20
	s_load_dword s15, s[4:5], 0x40
	s_waitcnt lgkmcnt(0)
	s_mul_hi_u32 s9, s10, s24
	s_add_i32 s9, s9, s10
	s_lshr_b32 s9, s9, s25
	s_mul_i32 s16, s9, s26
	s_sub_i32 s16, s10, s16
	s_mul_hi_u32 s17, s16, s27
	s_add_i32 s17, s16, s17
	s_lshr_b32 s24, s17, s28
	s_mul_i32 s17, s24, s29
	s_sub_i32 s16, s16, s17
	;; [unrolled: 5-line block ×3, first 2 shown]
	s_mul_hi_u32 s16, s15, s12
	s_add_i32 s15, s15, s16
	s_lshr_b32 s25, s15, s13
	s_lshl_b32 s15, s25, 4
	s_add_i32 s15, s15, s7
	s_cmp_lt_i32 s15, s0
	s_cselect_b64 s[16:17], -1, 0
	s_add_i32 s15, s23, s8
	s_cmp_lt_i32 s15, s2
	s_cselect_b64 s[18:19], -1, 0
	s_and_b64 s[16:17], s[16:17], s[18:19]
	s_andn2_b64 vcc, exec, s[16:17]
	s_cbranch_vccnz .LBB61_23
; %bb.8:
	s_load_dwordx4 s[16:19], s[4:5], 0x0
	s_mov_b32 s4, 0
	s_lshl_b32 s20, s22, 6
	s_mov_b32 s21, s4
	s_add_i32 s15, s7, s8
	s_lshl_b64 s[20:21], s[20:21], 2
	s_waitcnt lgkmcnt(0)
	s_add_u32 s20, s18, s20
	s_mul_i32 s0, s9, s0
	s_addc_u32 s21, s19, s21
	s_add_i32 s0, s0, s7
	s_mul_i32 s0, s0, s1
	s_mul_i32 s24, s24, s2
	s_add_i32 s0, s0, s8
	s_add_i32 s0, s0, s24
	s_mul_i32 s2, s1, s25
	s_add_i32 s0, s0, s23
	s_lshl_b32 s2, s2, 11
	s_lshl_b32 s0, s0, 7
	s_add_i32 s2, s2, s0
	v_or_b32_e32 v1, s2, v0
	v_ashrrev_i32_e32 v2, 31, v1
	v_lshlrev_b64 v[1:2], 2, v[1:2]
	v_mov_b32_e32 v3, s17
	v_add_co_u32_e32 v1, vcc, s16, v1
	v_addc_co_u32_e32 v2, vcc, v3, v2, vcc
	global_load_dword v3, v[1:2], off
	v_cvt_f32_u32_e32 v4, s22
	s_lshl_b32 s0, s6, 4
	s_add_i32 s0, s0, s15
	s_ashr_i32 s1, s0, 31
	s_lshl_b64 s[0:1], s[0:1], 3
	v_rcp_iflag_f32_e32 v4, v4
	s_add_u32 s0, s18, s0
	s_addc_u32 s1, s19, s1
	s_load_dwordx2 s[0:1], s[0:1], 0x0
	v_mul_f32_e32 v4, 0x4f7ffffe, v4
	v_cvt_u32_f32_e32 v4, v4
	s_add_i32 s24, s6, -1
	v_lshl_or_b32 v0, s15, 7, v0
	s_waitcnt lgkmcnt(0)
	v_mov_b32_e32 v6, s1
	v_mov_b32_e32 v7, s0
	s_mov_b32 s2, 0x3fb8aa3b
	s_mov_b32 s16, 0xc2ce8ed0
	;; [unrolled: 1-line block ×4, first 2 shown]
	v_mov_b32_e32 v5, 0x7f800000
	s_mul_hi_i32 s5, s24, s3
	s_cmp_lg_u64 s[4:5], 0
	s_mul_i32 s8, s24, s3
	s_cbranch_scc0 .LBB61_19
.LBB61_9:
	s_add_u32 s0, s22, 0
	s_addc_u32 s1, 0, 0
	s_xor_b64 s[0:1], s[0:1], 0
	v_cvt_f32_u32_e32 v8, s0
	v_cvt_f32_u32_e32 v9, s1
	s_sub_u32 s9, 0, s0
	s_subb_u32 s25, 0, s1
	v_mac_f32_e32 v8, 0x4f800000, v9
	v_rcp_f32_e32 v8, v8
	v_mul_f32_e32 v8, 0x5f7ffffc, v8
	v_mul_f32_e32 v9, 0x2f800000, v8
	v_trunc_f32_e32 v9, v9
	v_mac_f32_e32 v8, 0xcf800000, v9
	v_cvt_u32_f32_e32 v9, v9
	v_cvt_u32_f32_e32 v8, v8
	v_readfirstlane_b32 s26, v9
	v_readfirstlane_b32 s6, v8
	s_mul_i32 s7, s9, s26
	s_mul_hi_u32 s28, s9, s6
	s_mul_i32 s27, s25, s6
	s_add_i32 s7, s28, s7
	s_mul_i32 s29, s9, s6
	s_add_i32 s7, s7, s27
	s_mul_i32 s28, s6, s7
	s_mul_hi_u32 s30, s6, s29
	s_mul_hi_u32 s27, s6, s7
	s_add_u32 s28, s30, s28
	s_addc_u32 s27, 0, s27
	s_mul_hi_u32 s31, s26, s29
	s_mul_i32 s29, s26, s29
	s_add_u32 s28, s28, s29
	s_mul_hi_u32 s30, s26, s7
	s_addc_u32 s27, s27, s31
	s_addc_u32 s28, s30, 0
	s_mul_i32 s7, s26, s7
	s_add_u32 s7, s27, s7
	s_addc_u32 s27, 0, s28
	s_add_u32 s28, s6, s7
	s_cselect_b64 s[6:7], -1, 0
	s_cmp_lg_u64 s[6:7], 0
	s_addc_u32 s26, s26, s27
	s_mul_i32 s6, s9, s26
	s_mul_hi_u32 s7, s9, s28
	s_add_i32 s6, s7, s6
	s_mul_i32 s25, s25, s28
	s_add_i32 s6, s6, s25
	s_mul_i32 s9, s9, s28
	s_mul_hi_u32 s25, s26, s9
	s_mul_i32 s27, s26, s9
	s_mul_i32 s30, s28, s6
	s_mul_hi_u32 s9, s28, s9
	s_mul_hi_u32 s29, s28, s6
	s_add_u32 s9, s9, s30
	s_addc_u32 s29, 0, s29
	s_add_u32 s9, s9, s27
	s_mul_hi_u32 s7, s26, s6
	s_addc_u32 s9, s29, s25
	s_addc_u32 s7, s7, 0
	s_mul_i32 s6, s26, s6
	s_add_u32 s6, s9, s6
	s_addc_u32 s9, 0, s7
	s_add_u32 s25, s28, s6
	s_cselect_b64 s[6:7], -1, 0
	s_cmp_lg_u64 s[6:7], 0
	s_addc_u32 s9, s26, s9
	s_ashr_i32 s6, s5, 31
	s_add_u32 s26, s8, s6
	s_mov_b32 s7, s6
	s_addc_u32 s27, s5, s6
	s_xor_b64 s[26:27], s[26:27], s[6:7]
	s_mul_i32 s28, s26, s9
	s_mul_hi_u32 s29, s26, s25
	s_mul_hi_u32 s5, s26, s9
	s_add_u32 s28, s29, s28
	s_addc_u32 s5, 0, s5
	s_mul_hi_u32 s30, s27, s25
	s_mul_i32 s25, s27, s25
	s_add_u32 s25, s28, s25
	s_mul_hi_u32 s29, s27, s9
	s_addc_u32 s5, s5, s30
	s_addc_u32 s25, s29, 0
	s_mul_i32 s9, s27, s9
	s_add_u32 s5, s5, s9
	s_addc_u32 s9, 0, s25
	s_mul_i32 s25, s0, s9
	s_mul_hi_u32 s28, s0, s5
	s_add_i32 s25, s28, s25
	s_mul_i32 s28, s1, s5
	s_add_i32 s25, s25, s28
	s_sub_i32 s30, s27, s25
	s_mul_i32 s28, s0, s5
	s_sub_u32 s26, s26, s28
	s_cselect_b64 s[28:29], -1, 0
	s_cmp_lg_u64 s[28:29], 0
	s_subb_u32 s33, s30, s1
	s_sub_u32 s34, s26, s0
	s_cselect_b64 s[30:31], -1, 0
	s_cmp_lg_u64 s[30:31], 0
	s_subb_u32 s30, s33, 0
	s_cmp_ge_u32 s30, s1
	s_cselect_b32 s31, -1, 0
	s_cmp_ge_u32 s34, s0
	s_cselect_b32 s33, -1, 0
	s_cmp_eq_u32 s30, s1
	s_cselect_b32 s30, s33, s31
	s_add_u32 s31, s5, 1
	s_addc_u32 s33, s9, 0
	s_add_u32 s34, s5, 2
	s_addc_u32 s35, s9, 0
	s_cmp_lg_u32 s30, 0
	s_cselect_b32 s30, s34, s31
	s_cselect_b32 s31, s35, s33
	s_cmp_lg_u64 s[28:29], 0
	s_subb_u32 s25, s27, s25
	s_cmp_ge_u32 s25, s1
	s_cselect_b32 s27, -1, 0
	s_cmp_ge_u32 s26, s0
	s_cselect_b32 s0, -1, 0
	s_cmp_eq_u32 s25, s1
	s_cselect_b32 s0, s0, s27
	s_cmp_lg_u32 s0, 0
	s_cselect_b32 s1, s31, s9
	s_cselect_b32 s0, s30, s5
	s_xor_b64 s[6:7], s[6:7], 0
	s_xor_b64 s[0:1], s[0:1], s[6:7]
	s_sub_u32 s6, s0, s6
	s_cbranch_execnz .LBB61_11
.LBB61_10:
	s_sub_i32 s0, 0, s22
	v_readfirstlane_b32 s1, v4
	s_mul_i32 s0, s0, s1
	s_mul_hi_u32 s0, s1, s0
	s_add_i32 s1, s1, s0
	s_mul_hi_u32 s0, s8, s1
	s_mul_i32 s5, s0, s22
	s_sub_i32 s5, s8, s5
	s_add_i32 s1, s0, 1
	s_sub_i32 s6, s5, s22
	s_cmp_ge_u32 s5, s22
	s_cselect_b32 s0, s1, s0
	s_cselect_b32 s5, s6, s5
	s_add_i32 s1, s0, 1
	s_cmp_ge_u32 s5, s22
	s_cselect_b32 s6, s1, s0
.LBB61_11:
	s_cmp_lg_u32 s10, s6
	s_mov_b64 s[8:9], -1
                                        ; implicit-def: $sgpr0_sgpr1
                                        ; implicit-def: $vgpr10
                                        ; implicit-def: $vgpr8
                                        ; implicit-def: $vgpr9
                                        ; implicit-def: $sgpr5
                                        ; implicit-def: $sgpr7
	s_cbranch_scc1 .LBB61_14
; %bb.12:
	s_andn2_b64 vcc, exec, s[8:9]
	s_cbranch_vccz .LBB61_17
.LBB61_13:
	s_andn2_b64 vcc, exec, s[0:1]
	s_cbranch_vccnz .LBB61_18
	s_branch .LBB61_22
.LBB61_14:
	s_add_i32 s0, s24, s22
	s_lshl_b32 s0, s0, 4
	s_add_i32 s0, s0, s15
	s_mov_b32 s1, s4
	s_lshl_b64 s[0:1], s[0:1], 3
	s_add_u32 s8, s18, s0
	s_mul_hi_u32 s0, s6, s12
	s_addc_u32 s9, s19, s1
	s_add_i32 s0, s0, s6
	s_lshr_b32 s5, s0, s13
	s_mul_i32 s0, s5, s14
	s_cmp_eq_u32 s0, s6
	s_cselect_b64 s[0:1], -1, 0
	s_cmp_lt_u32 s5, s11
	s_cselect_b64 s[26:27], -1, 0
	s_or_b64 s[26:27], s[26:27], s[0:1]
	s_mov_b64 s[0:1], -1
	s_and_b64 vcc, exec, s[26:27]
	s_mov_b32 s5, s24
	s_mov_b32 s7, s10
	s_cbranch_vccnz .LBB61_16
; %bb.15:
	s_add_i32 s5, s24, -1
	s_mov_b64 s[0:1], 0
	s_mov_b32 s7, s6
.LBB61_16:
	v_lshl_add_u32 v8, s24, 11, v0
	v_ashrrev_i32_e32 v9, 31, v8
	v_lshlrev_b64 v[8:9], 2, v[8:9]
	v_mov_b32_e32 v10, s21
	v_add_co_u32_e32 v8, vcc, s20, v8
	v_addc_co_u32_e32 v9, vcc, v10, v9, vcc
	global_load_dword v10, v[8:9], off
	s_load_dwordx2 s[8:9], s[8:9], 0x0
	v_max_f32_e32 v8, v7, v7
	s_waitcnt lgkmcnt(0)
	v_max_f32_e64 v9, s8, s8
	v_max_f32_e32 v8, v8, v9
	v_sub_f32_e32 v9, v7, v8
	v_sub_f32_e32 v11, s8, v8
	v_mul_f32_e32 v12, 0x3fb8aa3b, v9
	v_mul_f32_e32 v13, 0x3fb8aa3b, v11
	v_fma_f32 v14, v9, s2, -v12
	v_rndne_f32_e32 v15, v12
	v_fma_f32 v16, v11, s2, -v13
	v_rndne_f32_e32 v17, v13
	v_fmac_f32_e32 v14, 0x32a5705f, v9
	v_sub_f32_e32 v12, v12, v15
	v_fmac_f32_e32 v16, 0x32a5705f, v11
	v_sub_f32_e32 v13, v13, v17
	v_add_f32_e32 v12, v12, v14
	v_cvt_i32_f32_e32 v15, v15
	v_add_f32_e32 v13, v13, v16
	v_exp_f32_e32 v12, v12
	v_cvt_i32_f32_e32 v17, v17
	v_exp_f32_e32 v13, v13
	v_cmp_ngt_f32_e32 vcc, s16, v9
	v_ldexp_f32 v12, v12, v15
	v_cndmask_b32_e32 v12, 0, v12, vcc
	v_ldexp_f32 v13, v13, v17
	v_cmp_ngt_f32_e32 vcc, s16, v11
	v_cndmask_b32_e32 v13, 0, v13, vcc
	v_cmp_nlt_f32_e32 vcc, s17, v9
	v_cndmask_b32_e32 v12, v5, v12, vcc
	v_cmp_nlt_f32_e32 vcc, s17, v11
	v_cndmask_b32_e32 v13, v5, v13, vcc
	v_cmp_le_f32_e32 vcc, s23, v9
	v_cndmask_b32_e32 v12, 0, v12, vcc
	v_cmp_le_f32_e32 vcc, s23, v11
	v_cndmask_b32_e32 v11, 0, v13, vcc
	v_mul_f32_e32 v9, s9, v11
	v_fmac_f32_e32 v9, v6, v12
	s_waitcnt vmcnt(0)
	v_mul_f32_e32 v10, v10, v11
	v_fmac_f32_e32 v10, v3, v12
	s_cbranch_execnz .LBB61_13
.LBB61_17:
	s_add_i32 s5, s24, -1
	s_mov_b32 s7, s10
	v_mov_b32_e32 v9, v6
	v_mov_b32_e32 v8, v7
	s_waitcnt vmcnt(0)
	v_mov_b32_e32 v10, v3
	s_cbranch_execz .LBB61_22
.LBB61_18:
	s_mov_b32 s10, s7
	s_mov_b32 s24, s5
	v_mov_b32_e32 v6, v9
	v_mov_b32_e32 v7, v8
	s_waitcnt vmcnt(0)
	v_mov_b32_e32 v3, v10
	s_mul_hi_i32 s5, s24, s3
	s_cmp_lg_u64 s[4:5], 0
	s_mul_i32 s8, s24, s3
	s_cbranch_scc1 .LBB61_9
.LBB61_19:
                                        ; implicit-def: $sgpr6_sgpr7
	s_branch .LBB61_10
.LBB61_20:
                                        ; implicit-def: $sgpr10_sgpr11
	s_load_dwordx4 s[12:15], s[4:5], 0x44
	s_branch .LBB61_2
.LBB61_21:
                                        ; implicit-def: $sgpr18_sgpr19
	s_branch .LBB61_5
.LBB61_22:
	v_div_scale_f32 v0, s[0:1], v9, v9, v10
	s_waitcnt vmcnt(0)
	v_div_scale_f32 v3, vcc, v10, v9, v10
	v_rcp_f32_e32 v4, v0
	v_fma_f32 v5, -v0, v4, 1.0
	v_fmac_f32_e32 v4, v5, v4
	v_mul_f32_e32 v5, v3, v4
	v_fma_f32 v6, -v0, v5, v3
	v_fmac_f32_e32 v5, v6, v4
	v_fma_f32 v0, -v0, v5, v3
	v_div_fmas_f32 v0, v0, v4, v5
	v_div_fixup_f32 v0, v0, v9, v10
	global_store_dword v[1:2], v0, off
.LBB61_23:
	s_endpgm
	.section	.rodata,"a",@progbits
	.p2align	6, 0x0
	.amdhsa_kernel _ZL33flash_attn_stream_k_fixup_generalILi128ELi16ELi1EEvPfPK15HIP_vector_typeIfLj2EEiiiiS1_IjLj3EES5_S5_S5_
		.amdhsa_group_segment_fixed_size 0
		.amdhsa_private_segment_fixed_size 0
		.amdhsa_kernarg_size 336
		.amdhsa_user_sgpr_count 6
		.amdhsa_user_sgpr_private_segment_buffer 1
		.amdhsa_user_sgpr_dispatch_ptr 0
		.amdhsa_user_sgpr_queue_ptr 0
		.amdhsa_user_sgpr_kernarg_segment_ptr 1
		.amdhsa_user_sgpr_dispatch_id 0
		.amdhsa_user_sgpr_flat_scratch_init 0
		.amdhsa_user_sgpr_private_segment_size 0
		.amdhsa_uses_dynamic_stack 0
		.amdhsa_system_sgpr_private_segment_wavefront_offset 0
		.amdhsa_system_sgpr_workgroup_id_x 1
		.amdhsa_system_sgpr_workgroup_id_y 1
		.amdhsa_system_sgpr_workgroup_id_z 1
		.amdhsa_system_sgpr_workgroup_info 0
		.amdhsa_system_vgpr_workitem_id 0
		.amdhsa_next_free_vgpr 18
		.amdhsa_next_free_sgpr 36
		.amdhsa_reserve_vcc 1
		.amdhsa_reserve_flat_scratch 0
		.amdhsa_float_round_mode_32 0
		.amdhsa_float_round_mode_16_64 0
		.amdhsa_float_denorm_mode_32 3
		.amdhsa_float_denorm_mode_16_64 3
		.amdhsa_dx10_clamp 1
		.amdhsa_ieee_mode 1
		.amdhsa_fp16_overflow 0
		.amdhsa_exception_fp_ieee_invalid_op 0
		.amdhsa_exception_fp_denorm_src 0
		.amdhsa_exception_fp_ieee_div_zero 0
		.amdhsa_exception_fp_ieee_overflow 0
		.amdhsa_exception_fp_ieee_underflow 0
		.amdhsa_exception_fp_ieee_inexact 0
		.amdhsa_exception_int_div_zero 0
	.end_amdhsa_kernel
	.section	.text._ZL33flash_attn_stream_k_fixup_generalILi128ELi16ELi1EEvPfPK15HIP_vector_typeIfLj2EEiiiiS1_IjLj3EES5_S5_S5_,"axG",@progbits,_ZL33flash_attn_stream_k_fixup_generalILi128ELi16ELi1EEvPfPK15HIP_vector_typeIfLj2EEiiiiS1_IjLj3EES5_S5_S5_,comdat
.Lfunc_end61:
	.size	_ZL33flash_attn_stream_k_fixup_generalILi128ELi16ELi1EEvPfPK15HIP_vector_typeIfLj2EEiiiiS1_IjLj3EES5_S5_S5_, .Lfunc_end61-_ZL33flash_attn_stream_k_fixup_generalILi128ELi16ELi1EEvPfPK15HIP_vector_typeIfLj2EEiiiiS1_IjLj3EES5_S5_S5_
                                        ; -- End function
	.set _ZL33flash_attn_stream_k_fixup_generalILi128ELi16ELi1EEvPfPK15HIP_vector_typeIfLj2EEiiiiS1_IjLj3EES5_S5_S5_.num_vgpr, 18
	.set _ZL33flash_attn_stream_k_fixup_generalILi128ELi16ELi1EEvPfPK15HIP_vector_typeIfLj2EEiiiiS1_IjLj3EES5_S5_S5_.num_agpr, 0
	.set _ZL33flash_attn_stream_k_fixup_generalILi128ELi16ELi1EEvPfPK15HIP_vector_typeIfLj2EEiiiiS1_IjLj3EES5_S5_S5_.numbered_sgpr, 36
	.set _ZL33flash_attn_stream_k_fixup_generalILi128ELi16ELi1EEvPfPK15HIP_vector_typeIfLj2EEiiiiS1_IjLj3EES5_S5_S5_.num_named_barrier, 0
	.set _ZL33flash_attn_stream_k_fixup_generalILi128ELi16ELi1EEvPfPK15HIP_vector_typeIfLj2EEiiiiS1_IjLj3EES5_S5_S5_.private_seg_size, 0
	.set _ZL33flash_attn_stream_k_fixup_generalILi128ELi16ELi1EEvPfPK15HIP_vector_typeIfLj2EEiiiiS1_IjLj3EES5_S5_S5_.uses_vcc, 1
	.set _ZL33flash_attn_stream_k_fixup_generalILi128ELi16ELi1EEvPfPK15HIP_vector_typeIfLj2EEiiiiS1_IjLj3EES5_S5_S5_.uses_flat_scratch, 0
	.set _ZL33flash_attn_stream_k_fixup_generalILi128ELi16ELi1EEvPfPK15HIP_vector_typeIfLj2EEiiiiS1_IjLj3EES5_S5_S5_.has_dyn_sized_stack, 0
	.set _ZL33flash_attn_stream_k_fixup_generalILi128ELi16ELi1EEvPfPK15HIP_vector_typeIfLj2EEiiiiS1_IjLj3EES5_S5_S5_.has_recursion, 0
	.set _ZL33flash_attn_stream_k_fixup_generalILi128ELi16ELi1EEvPfPK15HIP_vector_typeIfLj2EEiiiiS1_IjLj3EES5_S5_S5_.has_indirect_call, 0
	.section	.AMDGPU.csdata,"",@progbits
; Kernel info:
; codeLenInByte = 2932
; TotalNumSgprs: 40
; NumVgprs: 18
; ScratchSize: 0
; MemoryBound: 0
; FloatMode: 240
; IeeeMode: 1
; LDSByteSize: 0 bytes/workgroup (compile time only)
; SGPRBlocks: 4
; VGPRBlocks: 4
; NumSGPRsForWavesPerEU: 40
; NumVGPRsForWavesPerEU: 18
; Occupancy: 10
; WaveLimiterHint : 0
; COMPUTE_PGM_RSRC2:SCRATCH_EN: 0
; COMPUTE_PGM_RSRC2:USER_SGPR: 6
; COMPUTE_PGM_RSRC2:TRAP_HANDLER: 0
; COMPUTE_PGM_RSRC2:TGID_X_EN: 1
; COMPUTE_PGM_RSRC2:TGID_Y_EN: 1
; COMPUTE_PGM_RSRC2:TGID_Z_EN: 1
; COMPUTE_PGM_RSRC2:TIDIG_COMP_CNT: 0
	.section	.text._ZL15flash_attn_tileILi128ELi128ELi8ELi1ELb0EEvPKcS1_S1_S1_S1_PKiPfP15HIP_vector_typeIfLj2EEffffjfiS5_IjLj3EEiiiiiiiiiiiliiliiiiil,"axG",@progbits,_ZL15flash_attn_tileILi128ELi128ELi8ELi1ELb0EEvPKcS1_S1_S1_S1_PKiPfP15HIP_vector_typeIfLj2EEffffjfiS5_IjLj3EEiiiiiiiiiiiliiliiiiil,comdat
	.globl	_ZL15flash_attn_tileILi128ELi128ELi8ELi1ELb0EEvPKcS1_S1_S1_S1_PKiPfP15HIP_vector_typeIfLj2EEffffjfiS5_IjLj3EEiiiiiiiiiiiliiliiiiil ; -- Begin function _ZL15flash_attn_tileILi128ELi128ELi8ELi1ELb0EEvPKcS1_S1_S1_S1_PKiPfP15HIP_vector_typeIfLj2EEffffjfiS5_IjLj3EEiiiiiiiiiiiliiliiiiil
	.p2align	8
	.type	_ZL15flash_attn_tileILi128ELi128ELi8ELi1ELb0EEvPKcS1_S1_S1_S1_PKiPfP15HIP_vector_typeIfLj2EEffffjfiS5_IjLj3EEiiiiiiiiiiiliiliiiiil,@function
_ZL15flash_attn_tileILi128ELi128ELi8ELi1ELb0EEvPKcS1_S1_S1_S1_PKiPfP15HIP_vector_typeIfLj2EEffffjfiS5_IjLj3EEiiiiiiiiiiiliiliiiiil: ; @_ZL15flash_attn_tileILi128ELi128ELi8ELi1ELb0EEvPKcS1_S1_S1_S1_PKiPfP15HIP_vector_typeIfLj2EEffffjfiS5_IjLj3EEiiiiiiiiiiiliiliiiiil
; %bb.0:
	s_load_dwordx4 s[28:31], s[4:5], 0x5c
	s_load_dwordx2 s[42:43], s[4:5], 0x80
	s_add_u32 flat_scratch_lo, s6, s11
	s_addc_u32 flat_scratch_hi, s7, 0
	s_add_u32 s0, s0, s11
	s_waitcnt lgkmcnt(0)
	v_cvt_f32_u32_e32 v2, s31
	s_addc_u32 s1, s1, 0
	s_sub_i32 s6, 0, s31
	s_load_dwordx2 s[44:45], s[4:5], 0xb8
	v_rcp_iflag_f32_e32 v2, v2
	s_mov_b64 s[40:41], 0
	v_mul_f32_e32 v2, 0x4f7ffffe, v2
	v_cvt_u32_f32_e32 v2, v2
	v_readfirstlane_b32 s7, v2
	s_mul_i32 s6, s6, s7
	s_mul_hi_u32 s6, s7, s6
	s_add_i32 s7, s7, s6
	s_mul_hi_u32 s6, s10, s7
	s_mul_i32 s7, s6, s31
	s_sub_i32 s7, s10, s7
	s_add_i32 s11, s6, 1
	s_sub_i32 s12, s7, s31
	s_cmp_ge_u32 s7, s31
	s_cselect_b32 s6, s11, s6
	s_cselect_b32 s7, s12, s7
	s_add_i32 s11, s6, 1
	s_cmp_ge_u32 s7, s31
	s_cselect_b32 s33, s11, s6
	s_abs_i32 s6, s43
	v_cvt_f32_u32_e32 v2, s6
	s_mul_i32 s12, s33, s31
	s_sub_i32 s13, 0, s6
	s_sub_i32 s34, s10, s12
	v_rcp_iflag_f32_e32 v2, v2
	s_abs_i32 s11, s31
	s_xor_b32 s7, s31, s43
	s_ashr_i32 s7, s7, 31
	v_mul_f32_e32 v2, 0x4f7ffffe, v2
	v_cvt_u32_f32_e32 v2, v2
	v_readfirstlane_b32 s10, v2
	s_mul_i32 s13, s13, s10
	s_mul_hi_u32 s12, s10, s13
	s_add_i32 s10, s10, s12
	s_mul_hi_u32 s10, s11, s10
	s_mul_i32 s12, s10, s6
	s_sub_i32 s11, s11, s12
	s_add_i32 s13, s10, 1
	s_sub_i32 s12, s11, s6
	s_cmp_ge_u32 s11, s6
	s_cselect_b32 s10, s13, s10
	s_cselect_b32 s11, s12, s11
	s_add_i32 s12, s10, 1
	s_cmp_ge_u32 s11, s6
	s_cselect_b32 s6, s12, s10
	s_xor_b32 s6, s6, s7
	s_sub_i32 s47, s6, s7
	s_abs_i32 s43, s47
	v_cvt_f32_u32_e32 v2, s43
	s_load_dwordx16 s[12:27], s[4:5], 0x0
	s_sub_i32 s6, 0, s43
	s_abs_i32 s46, s34
	v_rcp_iflag_f32_e32 v2, v2
	v_mul_f32_e32 v2, 0x4f7ffffe, v2
	v_cvt_u32_f32_e32 v2, v2
	v_readfirstlane_b32 s7, v2
	s_mul_i32 s6, s6, s7
	s_mul_hi_u32 s6, s7, s6
	s_add_i32 s6, s7, s6
	s_waitcnt lgkmcnt(0)
	s_cmp_eq_u64 s[18:19], 0
	s_cbranch_scc1 .LBB62_2
; %bb.1:
	s_abs_i32 s7, s44
	v_cvt_f32_u32_e32 v2, s7
	s_sub_i32 s37, 0, s7
	s_abs_i32 s36, s33
	s_ashr_i32 s35, s33, 31
	v_rcp_iflag_f32_e32 v2, v2
	s_load_dwordx2 s[10:11], s[4:5], 0xc8
	v_mul_f32_e32 v2, 0x4f7ffffe, v2
	v_cvt_u32_f32_e32 v2, v2
	v_readfirstlane_b32 s38, v2
	s_mul_i32 s37, s37, s38
	s_mul_hi_u32 s37, s38, s37
	s_add_i32 s38, s38, s37
	s_mul_hi_u32 s37, s36, s38
	s_mul_i32 s37, s37, s7
	s_sub_i32 s36, s36, s37
	s_sub_i32 s37, s36, s7
	s_cmp_ge_u32 s36, s7
	s_cselect_b32 s36, s37, s36
	s_sub_i32 s37, s36, s7
	s_cmp_ge_u32 s36, s7
	s_cselect_b32 s7, s37, s36
	s_xor_b32 s7, s7, s35
	s_sub_i32 s7, s7, s35
	s_ashr_i32 s35, s7, 31
	s_waitcnt lgkmcnt(0)
	s_mul_hi_u32 s36, s10, s7
	s_mul_i32 s35, s10, s35
	s_mul_i32 s11, s11, s7
	s_add_i32 s35, s36, s35
	s_add_i32 s35, s35, s11
	s_mul_i32 s7, s10, s7
	s_add_u32 s40, s18, s7
	s_addc_u32 s41, s19, s35
.LBB62_2:
	s_load_dwordx4 s[36:39], s[4:5], 0x40
	s_mul_hi_u32 s19, s46, s6
	s_load_dword s6, s[4:5], 0x50
	v_mov_b32_e32 v27, 1.0
	s_waitcnt lgkmcnt(0)
	v_cmp_le_f32_e64 s[10:11], s37, 0
	s_and_b64 vcc, exec, s[10:11]
	s_cbranch_vccnz .LBB62_4
; %bb.3:
	v_mov_b32_e32 v2, s6
	v_sub_co_u32_e32 v2, vcc, s34, v2
	v_mov_b32_e32 v3, s39
	v_mov_b32_e32 v4, s38
	s_add_i32 s6, s34, 1
	v_lshlrev_b32_e32 v2, 1, v2
	v_cndmask_b32_e32 v3, v3, v4, vcc
	v_or_b32_e32 v2, 1, v2
	v_mov_b32_e32 v4, s6
	v_cndmask_b32_e32 v2, v2, v4, vcc
	v_cvt_f32_i32_e32 v2, v2
	v_cmp_neq_f32_e32 vcc, 1.0, v3
	s_mov_b32 s6, 0x3f2aaaab
	s_movk_i32 s10, 0x204
	v_cndmask_b32_e32 v4, 1.0, v2, vcc
	v_cmp_neq_f32_e32 vcc, 0, v4
	v_cndmask_b32_e32 v5, 1.0, v3, vcc
	v_frexp_mant_f32_e64 v2, |v5|
	v_cmp_gt_f32_e32 vcc, s6, v2
	v_cndmask_b32_e64 v3, 1.0, 2.0, vcc
	v_mul_f32_e32 v2, v2, v3
	v_add_f32_e32 v3, 1.0, v2
	v_rcp_f32_e32 v6, v3
	v_add_f32_e32 v7, -1.0, v2
	v_add_f32_e32 v8, -1.0, v3
	v_sub_f32_e32 v2, v2, v8
	v_mul_f32_e32 v8, v7, v6
	v_mul_f32_e32 v9, v3, v8
	v_fma_f32 v3, v8, v3, -v9
	v_fmac_f32_e32 v3, v8, v2
	v_add_f32_e32 v2, v9, v3
	v_sub_f32_e32 v10, v7, v2
	v_sub_f32_e32 v9, v2, v9
	;; [unrolled: 1-line block ×5, first 2 shown]
	v_add_f32_e32 v2, v3, v2
	v_add_f32_e32 v2, v10, v2
	v_mul_f32_e32 v2, v6, v2
	v_add_f32_e32 v6, v8, v2
	v_sub_f32_e32 v3, v6, v8
	v_sub_f32_e32 v7, v2, v3
	v_mul_f32_e32 v2, v6, v6
	v_fma_f32 v3, v6, v6, -v2
	v_add_f32_e32 v8, v7, v7
	v_fmac_f32_e32 v3, v6, v8
	v_add_f32_e32 v8, v2, v3
	v_mov_b32_e32 v9, 0x3e91f4c4
	v_sub_f32_e32 v2, v8, v2
	v_fmac_f32_e32 v9, 0x3e76c4e1, v8
	v_mov_b32_e32 v10, 0x3ecccdef
	v_sub_f32_e32 v2, v3, v2
	v_mul_f32_e32 v3, v6, v8
	v_fmac_f32_e32 v10, v8, v9
	v_fma_f32 v9, v8, v6, -v3
	v_fmac_f32_e32 v9, v8, v7
	v_fmac_f32_e32 v9, v2, v6
	v_add_f32_e32 v11, v3, v9
	v_sub_f32_e32 v3, v11, v3
	v_sub_f32_e32 v9, v9, v3
	v_mul_f32_e32 v3, v8, v10
	v_fma_f32 v8, v8, v10, -v3
	v_fmac_f32_e32 v8, v2, v10
	v_add_f32_e32 v10, v3, v8
	v_sub_f32_e32 v2, v10, v3
	v_sub_f32_e32 v8, v8, v2
	v_cvt_f64_f32_e64 v[2:3], |v5|
	v_add_f32_e32 v12, 0x3f2aaaaa, v10
	v_add_f32_e32 v13, 0xbf2aaaaa, v12
	;; [unrolled: 1-line block ×3, first 2 shown]
	v_frexp_exp_i32_f64_e32 v2, v[2:3]
	v_sub_f32_e32 v10, v10, v13
	v_add_f32_e32 v3, v8, v10
	v_add_f32_e32 v8, v12, v3
	v_sub_f32_e32 v10, v12, v8
	v_add_f32_e32 v3, v3, v10
	v_mul_f32_e32 v10, v11, v8
	v_fma_f32 v12, v11, v8, -v10
	v_subbrev_co_u32_e32 v2, vcc, 0, v2, vcc
	v_cvt_f32_i32_e32 v2, v2
	v_fmac_f32_e32 v12, v11, v3
	s_mov_b32 s6, 0x3f317218
	v_fmac_f32_e32 v12, v9, v8
	v_mul_f32_e32 v3, 0x3f317218, v2
	v_fma_f32 v8, v2, s6, -v3
	v_fmac_f32_e32 v8, 0xb102e308, v2
	v_ldexp_f32 v2, v7, 1
	v_add_f32_e32 v7, v3, v8
	v_sub_f32_e32 v3, v7, v3
	v_ldexp_f32 v6, v6, 1
	v_sub_f32_e32 v3, v8, v3
	v_add_f32_e32 v8, v10, v12
	v_sub_f32_e32 v9, v8, v10
	v_add_f32_e32 v10, v6, v8
	v_sub_f32_e32 v9, v12, v9
	v_sub_f32_e32 v6, v10, v6
	;; [unrolled: 1-line block ×3, first 2 shown]
	v_add_f32_e32 v2, v2, v9
	v_add_f32_e32 v2, v2, v6
	;; [unrolled: 1-line block ×3, first 2 shown]
	v_sub_f32_e32 v8, v6, v10
	v_sub_f32_e32 v2, v2, v8
	v_add_f32_e32 v8, v7, v6
	v_sub_f32_e32 v9, v8, v7
	v_sub_f32_e32 v10, v8, v9
	;; [unrolled: 1-line block ×4, first 2 shown]
	v_add_f32_e32 v6, v6, v7
	v_add_f32_e32 v7, v3, v2
	v_sub_f32_e32 v9, v7, v3
	v_sub_f32_e32 v10, v7, v9
	v_sub_f32_e32 v3, v3, v10
	v_sub_f32_e32 v2, v2, v9
	v_add_f32_e32 v2, v2, v3
	v_add_f32_e32 v3, v7, v6
	;; [unrolled: 1-line block ×3, first 2 shown]
	v_sub_f32_e32 v7, v6, v8
	v_sub_f32_e32 v3, v3, v7
	v_add_f32_e32 v2, v2, v3
	v_add_f32_e32 v3, v6, v2
	v_sub_f32_e32 v6, v3, v6
	v_sub_f32_e32 v2, v2, v6
	v_mul_f32_e32 v6, v4, v3
	v_fma_f32 v3, v4, v3, -v6
	v_fmac_f32_e32 v3, v4, v2
	v_add_f32_e32 v2, v6, v3
	v_cmp_class_f32_e64 vcc, v6, s10
	v_sub_f32_e32 v7, v2, v6
	v_cndmask_b32_e32 v2, v2, v6, vcc
	s_mov_b32 s7, 0x42b17218
	v_mov_b32_e32 v6, 0x37000000
	v_cmp_eq_f32_e32 vcc, s7, v2
	v_cndmask_b32_e32 v6, 0, v6, vcc
	v_sub_f32_e32 v3, v3, v7
	v_sub_f32_e32 v7, v2, v6
	s_mov_b32 s11, 0x3fb8aa3b
	v_mul_f32_e32 v8, 0x3fb8aa3b, v7
	v_fma_f32 v9, v7, s11, -v8
	v_rndne_f32_e32 v10, v8
	v_fmac_f32_e32 v9, 0x32a5705f, v7
	v_sub_f32_e32 v8, v8, v10
	v_add_f32_e32 v8, v8, v9
	v_exp_f32_e32 v8, v8
	v_cvt_i32_f32_e32 v9, v10
	s_mov_b32 s6, 0x7f800000
	v_cmp_neq_f32_e64 vcc, |v2|, s6
	s_mov_b32 s6, 0xc2ce8ed0
	v_cndmask_b32_e32 v2, 0, v3, vcc
	v_ldexp_f32 v3, v8, v9
	v_cmp_ngt_f32_e32 vcc, s6, v7
	v_add_f32_e32 v2, v6, v2
	v_cndmask_b32_e32 v3, 0, v3, vcc
	v_mov_b32_e32 v6, 0x7f800000
	v_cmp_nlt_f32_e32 vcc, s7, v7
	v_cndmask_b32_e32 v3, v6, v3, vcc
	v_fma_f32 v2, v3, v2, v3
	v_cmp_class_f32_e64 vcc, v3, s10
	v_cndmask_b32_e32 v2, v2, v3, vcc
	v_trunc_f32_e32 v3, v4
	v_cmp_eq_f32_e32 vcc, v3, v4
	v_mul_f32_e32 v3, 0.5, v4
	v_trunc_f32_e32 v8, v3
	v_cmp_neq_f32_e64 s[6:7], v8, v3
	s_and_b64 s[6:7], vcc, s[6:7]
	v_cndmask_b32_e64 v3, 1.0, v5, s[6:7]
	s_brev_b32 s18, -2
	v_mov_b32_e32 v7, 0x7fc00000
	v_bfi_b32 v2, s18, v2, v3
	v_cndmask_b32_e32 v3, v7, v2, vcc
	v_cmp_gt_f32_e32 vcc, 0, v5
	v_cndmask_b32_e32 v2, v2, v3, vcc
	v_cmp_class_f32_e64 s[38:39], v5, s10
	v_cmp_eq_f32_e32 vcc, 0, v5
	v_cmp_gt_f32_e64 s[10:11], 0, v4
	s_xor_b64 s[10:11], s[10:11], vcc
	v_cndmask_b32_e64 v3, v6, 0, s[10:11]
	v_cndmask_b32_e64 v4, 0, v5, s[6:7]
	v_bfi_b32 v3, s18, v3, v4
	s_or_b64 vcc, vcc, s[38:39]
	v_cndmask_b32_e32 v2, v2, v3, vcc
	v_cmp_o_f32_e32 vcc, v5, v5
	v_cndmask_b32_e32 v27, v7, v2, vcc
.LBB62_4:
	s_load_dwordx4 s[48:51], s[4:5], 0x70
	v_lshl_add_u32 v22, s8, 3, v1
	v_mul_hi_u32 v2, s28, v22
	s_ashr_i32 s35, s34, 31
	s_ashr_i32 s6, s47, 31
	s_waitcnt lgkmcnt(0)
	s_mul_i32 s7, s33, s50
	v_add_u32_e32 v2, v22, v2
	s_ashr_i32 s10, s7, 31
	v_lshrrev_b32_e32 v2, s29, v2
	s_add_u32 s7, s12, s7
	s_mul_i32 s11, s34, s49
	v_mul_lo_u32 v2, v2, s30
	s_addc_u32 s10, s13, s10
	s_ashr_i32 s12, s11, 31
	s_add_u32 s7, s7, s11
	s_addc_u32 s12, s10, s12
	s_ashr_i32 s49, s48, 31
	v_sub_u32_e32 v29, v22, v2
	s_lshr_b64 s[10:11], s[48:49], 2
	v_mad_u64_u32 v[2:3], s[10:11], s10, v29, 0
	s_lshr_b32 s10, s49, 2
	v_mov_b32_e32 v6, 0x4400
	v_mad_u64_u32 v[3:4], s[10:11], s10, v29, v[3:4]
	v_mov_b32_e32 v4, s12
	v_lshlrev_b32_e32 v24, 3, v0
	v_lshlrev_b64 v[2:3], 2, v[2:3]
	v_lshl_add_u32 v30, v1, 8, v6
	v_add_co_u32_e32 v2, vcc, s7, v2
	v_addc_co_u32_e32 v3, vcc, v4, v3, vcc
	v_lshlrev_b32_e32 v4, 4, v0
	v_add_co_u32_e32 v2, vcc, v2, v4
	v_addc_co_u32_e32 v3, vcc, 0, v3, vcc
	global_load_dwordx4 v[2:5], v[2:3], off
	v_mov_b32_e32 v20, 0
	v_add_u32_e32 v6, v30, v24
	s_cmp_eq_u64 s[22:23], 0
	s_waitcnt vmcnt(0)
	v_fma_mixlo_f16 v2, s36, v2, 0
	v_fma_mixlo_f16 v3, s36, v3, 0
	v_fma_mixlo_f16 v4, s36, v4, 0
	v_fma_mixlo_f16 v5, s36, v5, 0
	v_lshlrev_b32_e32 v3, 16, v3
	v_and_b32_e32 v2, 0xffff, v2
	v_lshlrev_b32_e32 v5, 16, v5
	v_and_b32_e32 v4, 0xffff, v4
	v_or_b32_e32 v2, v3, v2
	v_or3_b32 v3, v5, v4, 0
	v_or3_b32 v2, 0, 0, v2
	ds_write_b64 v6, v[2:3]
	s_waitcnt lgkmcnt(0)
	s_barrier
	s_cbranch_scc1 .LBB62_6
; %bb.5:
	s_load_dword s7, s[4:5], 0xd0
	s_mov_b32 s11, 0
	s_waitcnt lgkmcnt(0)
	s_mul_i32 s7, s7, s33
	s_add_i32 s10, s7, s8
	s_lshl_b64 s[10:11], s[10:11], 2
	s_add_u32 s10, s22, s10
	s_addc_u32 s11, s23, s11
	s_load_dword s42, s[10:11], 0x0
.LBB62_6:
	s_nop 0
	s_load_dwordx2 s[10:11], s[4:5], 0x8c
	s_load_dwordx4 s[36:39], s[4:5], 0x98
	s_ashr_i32 s7, s33, 31
	s_ashr_i32 s18, s45, 1
	s_load_dwordx2 s[22:23], s[4:5], 0xa8
	s_waitcnt lgkmcnt(0)
	s_ashr_i32 s12, s10, 2
	s_mul_hi_u32 s10, s36, s33
	s_mul_i32 s13, s36, s7
	s_add_i32 s10, s10, s13
	s_mul_i32 s13, s37, s33
	s_ashr_i32 s8, s38, 2
	s_add_i32 s10, s10, s13
	s_mul_i32 s13, s36, s33
	s_add_u32 s13, s14, s13
	s_mul_i32 s14, s19, s43
	s_addc_u32 s10, s15, s10
	s_sub_i32 s14, s46, s14
	s_xor_b32 s6, s35, s6
	s_add_i32 s15, s19, 1
	s_sub_i32 s28, s14, s43
	s_cmp_ge_u32 s14, s43
	s_cselect_b32 s15, s15, s19
	s_cselect_b32 s14, s28, s14
	s_add_i32 s19, s15, 1
	s_cmp_ge_u32 s14, s43
	s_cselect_b32 s14, s19, s15
	s_xor_b32 s14, s14, s6
	s_sub_i32 s6, s14, s6
	s_mul_i32 s11, s6, s11
	s_ashr_i32 s15, s11, 31
	s_add_u32 s14, s13, s11
	s_addc_u32 s13, s10, s15
	s_mul_hi_u32 s10, s22, s33
	s_mul_i32 s7, s22, s7
	s_add_i32 s7, s10, s7
	s_mul_i32 s10, s23, s33
	s_add_i32 s7, s7, s10
	s_mul_i32 s10, s22, s33
	s_add_u32 s10, s16, s10
	s_mul_i32 s6, s6, s39
	s_addc_u32 s7, s17, s7
	s_ashr_i32 s11, s6, 31
	s_add_u32 s22, s10, s6
	v_lshlrev_b32_e32 v23, 2, v0
	s_addc_u32 s23, s7, s11
	s_lshl_b32 s28, s9, 6
	s_sub_i32 s15, s42, 64
	s_cmp_ge_i32 s28, s15
	v_lshrrev_b32_e32 v32, 4, v0
	v_and_b32_e32 v31, 60, v23
	v_mbcnt_lo_u32_b32 v28, -1, 0
	s_cbranch_scc1 .LBB62_15
; %bb.7:
	v_lshl_add_u32 v13, v1, 1, v32
	v_mul_lo_u32 v4, s12, v13
	v_lshlrev_b32_e32 v14, 2, v31
	s_movk_i32 s6, 0x110
	v_mad_u32_u24 v33, v13, s6, v14
	s_lshl_b32 s6, s12, 4
	v_mul_lo_u32 v12, s8, v13
	v_add_u32_e32 v6, s6, v4
	v_add_u32_e32 v8, s6, v6
	s_cmp_lg_u64 s[40:41], 0
	v_mad_u64_u32 v[2:3], s[10:11], v29, s18, v[0:1]
	v_add_u32_e32 v10, s6, v8
	s_cselect_b64 s[6:7], -1, 0
	s_lshl_b32 s10, s8, 4
	v_lshl_or_b32 v40, v13, 8, v14
	v_add_u32_e32 v14, s10, v12
	v_add_u32_e32 v16, s10, v14
	;; [unrolled: 1-line block ×3, first 2 shown]
	v_ashrrev_i32_e32 v5, 31, v4
	v_ashrrev_i32_e32 v7, 31, v6
	;; [unrolled: 1-line block ×4, first 2 shown]
	v_mov_b32_e32 v3, 0x4c00
	v_ashrrev_i32_e32 v13, 31, v12
	v_ashrrev_i32_e32 v15, 31, v14
	;; [unrolled: 1-line block ×4, first 2 shown]
	v_lshl_add_u32 v38, v1, 7, v3
	s_add_u32 s10, s4, 0xd0
	v_lshlrev_b64 v[3:4], 2, v[4:5]
	v_lshlrev_b64 v[6:7], 2, v[6:7]
	;; [unrolled: 1-line block ×4, first 2 shown]
	v_cndmask_b32_e64 v5, 0, 1, s[6:7]
	v_lshlrev_b64 v[12:13], 2, v[12:13]
	v_lshlrev_b64 v[14:15], 2, v[14:15]
	;; [unrolled: 1-line block ×4, first 2 shown]
	v_mov_b32_e32 v25, 0
	v_add_u32_e32 v34, 0x1100, v33
	v_add_u32_e32 v35, 0x2200, v33
	;; [unrolled: 1-line block ×3, first 2 shown]
	v_mul_u32_u24_e32 v37, 0x110, v0
	v_lshl_add_u32 v39, v0, 1, v38
	v_add_u32_e32 v41, 0x1000, v40
	v_add_u32_e32 v42, 0x2000, v40
	v_add_u32_e32 v43, 0x3000, v40
	s_addc_u32 s11, s5, 0
	v_mov_b32_e32 v48, 0xfeffffff
	v_lshlrev_b32_e32 v44, 2, v31
	s_mov_b32 s16, 0x3fb8aa3b
	s_mov_b32 s17, 0xc2ce8ed0
	;; [unrolled: 1-line block ×4, first 2 shown]
	v_cmp_ne_u32_e64 s[6:7], 1, v5
	v_mbcnt_hi_u32_b32 v45, -1, v28
	v_mov_b32_e32 v46, 0x7f800000
	v_mov_b32_e32 v26, 0
	;; [unrolled: 1-line block ×3, first 2 shown]
.LBB62_8:                               ; =>This Inner Loop Header: Depth=1
	s_mul_hi_i32 s37, s28, s12
	s_mul_i32 s36, s28, s12
	s_lshl_b64 s[36:37], s[36:37], 2
	s_add_u32 s36, s14, s36
	s_addc_u32 s37, s13, s37
	v_mov_b32_e32 v5, s37
	v_add_co_u32_e32 v20, vcc, s36, v3
	v_addc_co_u32_e32 v5, vcc, v5, v4, vcc
	v_add_co_u32_e32 v20, vcc, v20, v44
	v_addc_co_u32_e32 v21, vcc, 0, v5, vcc
	v_mov_b32_e32 v5, s37
	v_add_co_u32_e32 v49, vcc, s36, v6
	v_addc_co_u32_e32 v5, vcc, v5, v7, vcc
	v_add_co_u32_e32 v57, vcc, v49, v44
	v_addc_co_u32_e32 v58, vcc, 0, v5, vcc
	global_load_dwordx4 v[49:52], v[20:21], off
	global_load_dwordx4 v[53:56], v[57:58], off
	v_mov_b32_e32 v5, s37
	v_add_co_u32_e32 v20, vcc, s36, v8
	v_addc_co_u32_e32 v5, vcc, v5, v9, vcc
	v_add_co_u32_e32 v20, vcc, v20, v44
	v_addc_co_u32_e32 v21, vcc, 0, v5, vcc
	v_mov_b32_e32 v5, s37
	v_add_co_u32_e32 v57, vcc, s36, v10
	v_addc_co_u32_e32 v5, vcc, v5, v11, vcc
	v_add_co_u32_e32 v61, vcc, v57, v44
	v_addc_co_u32_e32 v62, vcc, 0, v5, vcc
	global_load_dwordx4 v[57:60], v[20:21], off
	s_nop 0
	global_load_dwordx4 v[61:64], v[61:62], off
	v_mov_b32_e32 v5, 0
	v_add_u32_e32 v20, s28, v2
	v_ashrrev_i32_e32 v21, 31, v20
	s_and_b64 vcc, exec, s[6:7]
	s_waitcnt vmcnt(3)
	ds_write_b128 v33, v[49:52]
	s_waitcnt vmcnt(2)
	ds_write_b128 v34, v[53:56]
	;; [unrolled: 2-line block ×4, first 2 shown]
	s_waitcnt lgkmcnt(0)
	s_barrier
	ds_read_b128 v[50:53], v37
	ds_read_b128 v[54:57], v30
	v_mov_b32_e32 v49, 0
	ds_read_b128 v[58:61], v37 offset:8704
	s_waitcnt lgkmcnt(1)
	;;#ASMSTART
	v_dot2_f32_f16 v49, v50, v54, v49
	;;#ASMEND
	;;#ASMSTART
	v_dot2_f32_f16 v49, v51, v55, v49
	;;#ASMEND
	;;#ASMSTART
	v_dot2_f32_f16 v49, v52, v56, v49
	;;#ASMEND
	;;#ASMSTART
	v_dot2_f32_f16 v49, v53, v57, v49
	;;#ASMEND
	s_waitcnt lgkmcnt(0)
	;;#ASMSTART
	v_dot2_f32_f16 v5, v58, v54, v5
	;;#ASMEND
	;;#ASMSTART
	v_dot2_f32_f16 v5, v59, v55, v5
	;;#ASMEND
	;;#ASMSTART
	v_dot2_f32_f16 v5, v60, v56, v5
	;;#ASMEND
	;;#ASMSTART
	v_dot2_f32_f16 v5, v61, v57, v5
	;;#ASMEND
	ds_read_b128 v[50:53], v37 offset:16
	ds_read_b128 v[54:57], v30 offset:16
	ds_read_b128 v[58:61], v37 offset:8720
	s_waitcnt lgkmcnt(1)
	;;#ASMSTART
	v_dot2_f32_f16 v49, v50, v54, v49
	;;#ASMEND
	;;#ASMSTART
	v_dot2_f32_f16 v49, v51, v55, v49
	;;#ASMEND
	;;#ASMSTART
	v_dot2_f32_f16 v49, v52, v56, v49
	;;#ASMEND
	;;#ASMSTART
	v_dot2_f32_f16 v49, v53, v57, v49
	;;#ASMEND
	s_waitcnt lgkmcnt(0)
	;;#ASMSTART
	v_dot2_f32_f16 v5, v58, v54, v5
	;;#ASMEND
	;;#ASMSTART
	v_dot2_f32_f16 v5, v59, v55, v5
	;;#ASMEND
	;;#ASMSTART
	v_dot2_f32_f16 v5, v60, v56, v5
	;;#ASMEND
	;;#ASMSTART
	v_dot2_f32_f16 v5, v61, v57, v5
	;;#ASMEND
	ds_read_b128 v[50:53], v37 offset:32
	ds_read_b128 v[54:57], v30 offset:32
	;; [unrolled: 29-line block ×15, first 2 shown]
	ds_read_b128 v[58:61], v37 offset:8944
	s_waitcnt lgkmcnt(1)
	;;#ASMSTART
	v_dot2_f32_f16 v49, v50, v54, v49
	;;#ASMEND
	;;#ASMSTART
	v_dot2_f32_f16 v49, v51, v55, v49
	;;#ASMEND
	;; [unrolled: 3-line block ×4, first 2 shown]
	s_waitcnt lgkmcnt(0)
	;;#ASMSTART
	v_dot2_f32_f16 v5, v58, v54, v5
	;;#ASMEND
	;;#ASMSTART
	v_dot2_f32_f16 v5, v59, v55, v5
	;;#ASMEND
	;; [unrolled: 3-line block ×3, first 2 shown]
	v_mov_b32_e32 v50, 0
	;;#ASMSTART
	v_dot2_f32_f16 v5, v61, v57, v5
	;;#ASMEND
	s_cbranch_vccnz .LBB62_10
; %bb.9:                                ;   in Loop: Header=BB62_8 Depth=1
	v_lshlrev_b64 v[50:51], 1, v[20:21]
	v_mov_b32_e32 v52, s41
	v_add_co_u32_e32 v50, vcc, s40, v50
	v_addc_co_u32_e32 v51, vcc, v52, v51, vcc
	global_load_ushort v50, v[50:51], off
	s_waitcnt vmcnt(0)
	v_cvt_f32_f16_e32 v50, v50
	v_mul_f32_e32 v50, v27, v50
.LBB62_10:                              ;   in Loop: Header=BB62_8 Depth=1
	s_and_b64 vcc, exec, s[6:7]
	s_cbranch_vccnz .LBB62_12
; %bb.11:                               ;   in Loop: Header=BB62_8 Depth=1
	v_lshlrev_b64 v[20:21], 1, v[20:21]
	v_mov_b32_e32 v51, s41
	v_add_co_u32_e32 v20, vcc, s40, v20
	v_addc_co_u32_e32 v21, vcc, v51, v21, vcc
	global_load_ushort v20, v[20:21], off offset:64
	s_waitcnt vmcnt(0)
	v_cvt_f32_f16_e32 v20, v20
	v_mul_f32_e32 v20, v27, v20
	s_branch .LBB62_13
.LBB62_12:                              ;   in Loop: Header=BB62_8 Depth=1
	v_mov_b32_e32 v20, 0
.LBB62_13:                              ;   in Loop: Header=BB62_8 Depth=1
	v_add_f32_e32 v65, v49, v50
	v_and_b32_e32 v49, 0x60, v45
	v_add_u32_e32 v66, 32, v49
	v_xor_b32_e32 v49, 4, v45
	v_cmp_lt_i32_e32 vcc, v49, v66
	v_cndmask_b32_e32 v67, v45, v49, vcc
	v_xor_b32_e32 v49, 16, v45
	v_cmp_lt_i32_e32 vcc, v49, v66
	v_add_f32_e32 v68, v5, v20
	v_add_f32_e32 v21, 0x40051340, v65
	v_cndmask_b32_e32 v49, v45, v49, vcc
	v_add_f32_e32 v5, 0x40051340, v68
	v_max3_f32 v5, v48, v21, v5
	v_lshlrev_b32_e32 v20, 2, v49
	ds_bpermute_b32 v20, v20, v5
	v_xor_b32_e32 v21, 8, v45
	s_mul_hi_i32 s37, s28, s8
	s_mul_i32 s36, s28, s8
	v_cmp_lt_i32_e32 vcc, v21, v66
	s_lshl_b64 s[36:37], s[36:37], 2
	v_cndmask_b32_e32 v21, v45, v21, vcc
	s_waitcnt lgkmcnt(0)
	v_max_f32_e32 v20, v20, v20
	s_add_u32 s36, s22, s36
	v_lshlrev_b32_e32 v21, 2, v21
	v_max_f32_e32 v5, v5, v20
	s_addc_u32 s37, s23, s37
	ds_bpermute_b32 v69, v21, v5
	v_mov_b32_e32 v20, s37
	v_add_co_u32_e32 v21, vcc, s36, v12
	v_addc_co_u32_e32 v49, vcc, v20, v13, vcc
	v_add_co_u32_e32 v20, vcc, v21, v44
	v_addc_co_u32_e32 v21, vcc, 0, v49, vcc
	v_mov_b32_e32 v49, s37
	v_add_co_u32_e32 v50, vcc, s36, v14
	v_addc_co_u32_e32 v49, vcc, v49, v15, vcc
	v_add_co_u32_e32 v53, vcc, v50, v44
	v_addc_co_u32_e32 v54, vcc, 0, v49, vcc
	;; [unrolled: 5-line block ×4, first 2 shown]
	s_waitcnt lgkmcnt(0)
	s_barrier
	global_load_dwordx4 v[49:52], v[20:21], off
	s_nop 0
	global_load_dwordx4 v[53:56], v[53:54], off
	s_nop 0
	;; [unrolled: 2-line block ×3, first 2 shown]
	global_load_dwordx4 v[61:64], v[61:62], off
	v_max_f32_e32 v21, v69, v69
	v_lshlrev_b32_e32 v20, 2, v67
	v_max_f32_e32 v5, v5, v21
	ds_bpermute_b32 v20, v20, v5
	v_xor_b32_e32 v21, 2, v45
	v_cmp_lt_i32_e32 vcc, v21, v66
	v_cndmask_b32_e32 v21, v45, v21, vcc
	v_lshlrev_b32_e32 v21, 2, v21
	s_waitcnt lgkmcnt(0)
	v_max_f32_e32 v20, v20, v20
	v_max_f32_e32 v5, v5, v20
	ds_bpermute_b32 v20, v21, v5
	v_xor_b32_e32 v21, 1, v45
	v_cmp_lt_i32_e32 vcc, v21, v66
	v_cndmask_b32_e32 v21, v45, v21, vcc
	v_lshlrev_b32_e32 v21, 2, v21
	s_waitcnt lgkmcnt(0)
	v_max_f32_e32 v20, v20, v20
	v_max_f32_e32 v5, v5, v20
	ds_bpermute_b32 v20, v21, v5
	s_waitcnt lgkmcnt(0)
	v_max_f32_e32 v20, v20, v20
	v_max_f32_e32 v5, v5, v20
	v_sub_f32_e32 v20, v65, v5
	v_mul_f32_e32 v21, 0x3fb8aa3b, v20
	v_fma_f32 v65, v20, s16, -v21
	v_rndne_f32_e32 v66, v21
	v_fmac_f32_e32 v65, 0x32a5705f, v20
	v_sub_f32_e32 v21, v21, v66
	v_add_f32_e32 v21, v21, v65
	v_exp_f32_e32 v21, v21
	v_cvt_i32_f32_e32 v65, v66
	v_sub_f32_e32 v48, v48, v5
	v_cmp_ngt_f32_e32 vcc, s17, v20
	v_ldexp_f32 v21, v21, v65
	v_sub_f32_e32 v65, v68, v5
	v_mul_f32_e32 v66, 0x3fb8aa3b, v65
	v_fma_f32 v67, v65, s16, -v66
	v_rndne_f32_e32 v68, v66
	v_fmac_f32_e32 v67, 0x32a5705f, v65
	v_sub_f32_e32 v66, v66, v68
	v_add_f32_e32 v66, v66, v67
	v_exp_f32_e32 v66, v66
	v_cvt_i32_f32_e32 v67, v68
	v_cndmask_b32_e32 v21, 0, v21, vcc
	v_cmp_nlt_f32_e32 vcc, s19, v20
	v_cndmask_b32_e32 v20, v46, v21, vcc
	v_ldexp_f32 v66, v66, v67
	v_mul_f32_e32 v67, 0x3fb8aa3b, v48
	v_fma_f32 v68, v48, s16, -v67
	v_rndne_f32_e32 v69, v67
	v_fmac_f32_e32 v68, 0x32a5705f, v48
	v_sub_f32_e32 v67, v67, v69
	v_add_f32_e32 v67, v67, v68
	v_exp_f32_e32 v67, v67
	v_cvt_i32_f32_e32 v68, v69
	v_cmp_ngt_f32_e32 vcc, s17, v65
	v_cndmask_b32_e32 v66, 0, v66, vcc
	v_cmp_nlt_f32_e32 vcc, s19, v65
	v_cndmask_b32_e32 v65, v46, v66, vcc
	v_ldexp_f32 v66, v67, v68
	v_cmp_ngt_f32_e32 vcc, s17, v48
	v_cndmask_b32_e32 v66, 0, v66, vcc
	v_cmp_nlt_f32_e32 vcc, s19, v48
	v_cndmask_b32_e32 v48, v46, v66, vcc
	v_cvt_f16_f32_e32 v21, v20
	v_cvt_f16_f32_e32 v66, v48
	v_add_f32_e32 v20, v20, v65
	v_cvt_f16_f32_e32 v65, v65
	v_fmac_f32_e32 v20, v47, v48
	v_mul_u32_u24_e32 v67, 0x10001, v66
	ds_write_b16 v39, v21
	ds_write_b16 v39, v65 offset:64
	s_waitcnt vmcnt(3)
	ds_write_b128 v40, v[49:52]
	s_waitcnt vmcnt(2)
	ds_write_b128 v41, v[53:56]
	;; [unrolled: 2-line block ×4, first 2 shown]
	s_waitcnt lgkmcnt(0)
	s_barrier
	ds_read_b128 v[47:50], v38
	ds_read2_b64 v[51:54], v24 offset1:32
	ds_read_b128 v[55:58], v38 offset:16
	ds_read_b128 v[59:62], v38 offset:32
	;; [unrolled: 1-line block ×3, first 2 shown]
	s_waitcnt lgkmcnt(4)
	v_mul_u32_u24_sdwa v21, v47, s29 dst_sel:DWORD dst_unused:UNUSED_PAD src0_sel:WORD_0 src1_sel:DWORD
	s_waitcnt lgkmcnt(3)
	v_pk_mul_f16 v51, v51, v21
	v_pk_mul_f16 v21, v52, v21
	v_pk_fma_f16 v25, v25, v67, v51
	v_pk_fma_f16 v21, v26, v67, v21
	ds_read2_b64 v[67:70], v24 offset0:64 offset1:96
	v_mul_u32_u24_sdwa v26, v47, s29 dst_sel:DWORD dst_unused:UNUSED_PAD src0_sel:WORD_1 src1_sel:DWORD
	v_pk_fma_f16 v25, v53, v26, v25
	v_pk_fma_f16 v21, v54, v26, v21
	v_mul_u32_u24_sdwa v26, v48, s29 dst_sel:DWORD dst_unused:UNUSED_PAD src0_sel:WORD_0 src1_sel:DWORD
	ds_read2_b64 v[51:54], v24 offset0:128 offset1:160
	s_waitcnt lgkmcnt(1)
	v_pk_fma_f16 v25, v67, v26, v25
	v_pk_fma_f16 v21, v68, v26, v21
	v_mul_u32_u24_sdwa v26, v48, s29 dst_sel:DWORD dst_unused:UNUSED_PAD src0_sel:WORD_1 src1_sel:DWORD
	v_pk_fma_f16 v25, v69, v26, v25
	v_pk_fma_f16 v21, v70, v26, v21
	ds_read2_b64 v[67:70], v24 offset0:192 offset1:224
	v_mul_u32_u24_sdwa v26, v49, s29 dst_sel:DWORD dst_unused:UNUSED_PAD src0_sel:WORD_0 src1_sel:DWORD
	s_waitcnt lgkmcnt(1)
	v_pk_fma_f16 v25, v51, v26, v25
	v_pk_fma_f16 v21, v52, v26, v21
	v_mul_u32_u24_sdwa v26, v49, s29 dst_sel:DWORD dst_unused:UNUSED_PAD src0_sel:WORD_1 src1_sel:DWORD
	v_pk_fma_f16 v25, v53, v26, v25
	v_pk_fma_f16 v21, v54, v26, v21
	v_mul_u32_u24_sdwa v26, v50, s29 dst_sel:DWORD dst_unused:UNUSED_PAD src0_sel:WORD_0 src1_sel:DWORD
	s_waitcnt lgkmcnt(0)
	v_pk_fma_f16 v25, v67, v26, v25
	v_pk_fma_f16 v21, v68, v26, v21
	v_add_u32_e32 v26, 0x800, v24
	ds_read2_b64 v[51:54], v26 offset1:32
	v_mul_u32_u24_sdwa v47, v50, s29 dst_sel:DWORD dst_unused:UNUSED_PAD src0_sel:WORD_1 src1_sel:DWORD
	v_pk_fma_f16 v25, v69, v47, v25
	v_pk_fma_f16 v21, v70, v47, v21
	v_mul_u32_u24_sdwa v47, v55, s29 dst_sel:DWORD dst_unused:UNUSED_PAD src0_sel:WORD_0 src1_sel:DWORD
	s_waitcnt lgkmcnt(0)
	v_pk_fma_f16 v25, v51, v47, v25
	v_pk_fma_f16 v21, v52, v47, v21
	ds_read2_b64 v[47:50], v26 offset0:64 offset1:96
	v_mul_u32_u24_sdwa v51, v55, s29 dst_sel:DWORD dst_unused:UNUSED_PAD src0_sel:WORD_1 src1_sel:DWORD
	v_pk_fma_f16 v25, v53, v51, v25
	v_pk_fma_f16 v21, v54, v51, v21
	v_mul_u32_u24_sdwa v51, v56, s29 dst_sel:DWORD dst_unused:UNUSED_PAD src0_sel:WORD_0 src1_sel:DWORD
	s_waitcnt lgkmcnt(0)
	v_pk_fma_f16 v25, v47, v51, v25
	v_pk_fma_f16 v21, v48, v51, v21
	ds_read2_b64 v[51:54], v26 offset0:128 offset1:160
	v_mul_u32_u24_sdwa v47, v56, s29 dst_sel:DWORD dst_unused:UNUSED_PAD src0_sel:WORD_1 src1_sel:DWORD
	v_pk_fma_f16 v25, v49, v47, v25
	v_pk_fma_f16 v21, v50, v47, v21
	v_mul_u32_u24_sdwa v47, v57, s29 dst_sel:DWORD dst_unused:UNUSED_PAD src0_sel:WORD_0 src1_sel:DWORD
	s_waitcnt lgkmcnt(0)
	v_pk_fma_f16 v25, v51, v47, v25
	v_pk_fma_f16 v21, v52, v47, v21
	ds_read2_b64 v[47:50], v26 offset0:192 offset1:224
	v_mul_u32_u24_sdwa v26, v57, s29 dst_sel:DWORD dst_unused:UNUSED_PAD src0_sel:WORD_1 src1_sel:DWORD
	v_pk_fma_f16 v25, v53, v26, v25
	v_pk_fma_f16 v21, v54, v26, v21
	v_mul_u32_u24_sdwa v26, v58, s29 dst_sel:DWORD dst_unused:UNUSED_PAD src0_sel:WORD_0 src1_sel:DWORD
	s_waitcnt lgkmcnt(0)
	v_pk_fma_f16 v25, v47, v26, v25
	v_pk_fma_f16 v21, v48, v26, v21
	v_add_u32_e32 v26, 0x1000, v24
	ds_read2_b64 v[51:54], v26 offset1:32
	v_mul_u32_u24_sdwa v47, v58, s29 dst_sel:DWORD dst_unused:UNUSED_PAD src0_sel:WORD_1 src1_sel:DWORD
	v_pk_fma_f16 v25, v49, v47, v25
	v_pk_fma_f16 v21, v50, v47, v21
	v_mul_u32_u24_sdwa v47, v59, s29 dst_sel:DWORD dst_unused:UNUSED_PAD src0_sel:WORD_0 src1_sel:DWORD
	s_waitcnt lgkmcnt(0)
	v_pk_fma_f16 v25, v51, v47, v25
	v_pk_fma_f16 v21, v52, v47, v21
	ds_read2_b64 v[47:50], v26 offset0:64 offset1:96
	v_mul_u32_u24_sdwa v51, v59, s29 dst_sel:DWORD dst_unused:UNUSED_PAD src0_sel:WORD_1 src1_sel:DWORD
	v_pk_fma_f16 v25, v53, v51, v25
	v_pk_fma_f16 v21, v54, v51, v21
	v_mul_u32_u24_sdwa v51, v60, s29 dst_sel:DWORD dst_unused:UNUSED_PAD src0_sel:WORD_0 src1_sel:DWORD
	s_waitcnt lgkmcnt(0)
	v_pk_fma_f16 v25, v47, v51, v25
	v_pk_fma_f16 v21, v48, v51, v21
	ds_read2_b64 v[51:54], v26 offset0:128 offset1:160
	v_mul_u32_u24_sdwa v47, v60, s29 dst_sel:DWORD dst_unused:UNUSED_PAD src0_sel:WORD_1 src1_sel:DWORD
	v_pk_fma_f16 v25, v49, v47, v25
	v_pk_fma_f16 v21, v50, v47, v21
	v_mul_u32_u24_sdwa v47, v61, s29 dst_sel:DWORD dst_unused:UNUSED_PAD src0_sel:WORD_0 src1_sel:DWORD
	s_waitcnt lgkmcnt(0)
	v_pk_fma_f16 v25, v51, v47, v25
	v_pk_fma_f16 v21, v52, v47, v21
	ds_read2_b64 v[47:50], v26 offset0:192 offset1:224
	;; [unrolled: 33-line block ×3, first 2 shown]
	v_mul_u32_u24_sdwa v26, v65, s29 dst_sel:DWORD dst_unused:UNUSED_PAD src0_sel:WORD_1 src1_sel:DWORD
	v_pk_fma_f16 v25, v53, v26, v25
	v_pk_fma_f16 v21, v54, v26, v21
	v_add_u32_e32 v63, 0x2000, v24
	ds_read_b128 v[51:54], v38 offset:64
	ds_read2_b64 v[55:58], v63 offset1:32
	v_mul_u32_u24_sdwa v26, v66, s29 dst_sel:DWORD dst_unused:UNUSED_PAD src0_sel:WORD_0 src1_sel:DWORD
	ds_read2_b64 v[59:62], v63 offset0:64 offset1:96
	s_waitcnt lgkmcnt(3)
	v_pk_fma_f16 v25, v47, v26, v25
	v_pk_fma_f16 v21, v48, v26, v21
	v_mul_u32_u24_sdwa v26, v66, s29 dst_sel:DWORD dst_unused:UNUSED_PAD src0_sel:WORD_1 src1_sel:DWORD
	v_pk_fma_f16 v25, v49, v26, v25
	v_pk_fma_f16 v21, v50, v26, v21
	s_waitcnt lgkmcnt(2)
	v_mul_u32_u24_sdwa v26, v51, s29 dst_sel:DWORD dst_unused:UNUSED_PAD src0_sel:WORD_0 src1_sel:DWORD
	s_waitcnt lgkmcnt(1)
	v_pk_fma_f16 v25, v55, v26, v25
	v_pk_fma_f16 v21, v56, v26, v21
	v_mul_u32_u24_sdwa v26, v51, s29 dst_sel:DWORD dst_unused:UNUSED_PAD src0_sel:WORD_1 src1_sel:DWORD
	v_pk_fma_f16 v25, v57, v26, v25
	v_pk_fma_f16 v21, v58, v26, v21
	v_mul_u32_u24_sdwa v26, v52, s29 dst_sel:DWORD dst_unused:UNUSED_PAD src0_sel:WORD_0 src1_sel:DWORD
	ds_read2_b64 v[55:58], v63 offset0:128 offset1:160
	s_waitcnt lgkmcnt(1)
	v_pk_fma_f16 v25, v59, v26, v25
	v_pk_fma_f16 v21, v60, v26, v21
	v_mul_u32_u24_sdwa v26, v52, s29 dst_sel:DWORD dst_unused:UNUSED_PAD src0_sel:WORD_1 src1_sel:DWORD
	v_pk_fma_f16 v25, v61, v26, v25
	v_pk_fma_f16 v21, v62, v26, v21
	ds_read2_b64 v[59:62], v63 offset0:192 offset1:224
	v_mul_u32_u24_sdwa v26, v53, s29 dst_sel:DWORD dst_unused:UNUSED_PAD src0_sel:WORD_0 src1_sel:DWORD
	s_waitcnt lgkmcnt(1)
	v_pk_fma_f16 v25, v55, v26, v25
	v_pk_fma_f16 v21, v56, v26, v21
	v_mul_u32_u24_sdwa v26, v53, s29 dst_sel:DWORD dst_unused:UNUSED_PAD src0_sel:WORD_1 src1_sel:DWORD
	v_pk_fma_f16 v25, v57, v26, v25
	v_pk_fma_f16 v21, v58, v26, v21
	v_mul_u32_u24_sdwa v26, v54, s29 dst_sel:DWORD dst_unused:UNUSED_PAD src0_sel:WORD_0 src1_sel:DWORD
	ds_read_b128 v[47:50], v38 offset:80
	s_waitcnt lgkmcnt(1)
	v_pk_fma_f16 v25, v59, v26, v25
	v_pk_fma_f16 v21, v60, v26, v21
	v_add_u32_e32 v26, 0x2800, v24
	ds_read2_b64 v[55:58], v26 offset1:32
	v_mul_u32_u24_sdwa v51, v54, s29 dst_sel:DWORD dst_unused:UNUSED_PAD src0_sel:WORD_1 src1_sel:DWORD
	v_pk_fma_f16 v25, v61, v51, v25
	v_pk_fma_f16 v21, v62, v51, v21
	s_waitcnt lgkmcnt(1)
	v_mul_u32_u24_sdwa v51, v47, s29 dst_sel:DWORD dst_unused:UNUSED_PAD src0_sel:WORD_0 src1_sel:DWORD
	s_waitcnt lgkmcnt(0)
	v_pk_fma_f16 v25, v55, v51, v25
	v_pk_fma_f16 v21, v56, v51, v21
	ds_read2_b64 v[51:54], v26 offset0:64 offset1:96
	v_mul_u32_u24_sdwa v47, v47, s29 dst_sel:DWORD dst_unused:UNUSED_PAD src0_sel:WORD_1 src1_sel:DWORD
	v_pk_fma_f16 v25, v57, v47, v25
	v_pk_fma_f16 v21, v58, v47, v21
	v_mul_u32_u24_sdwa v47, v48, s29 dst_sel:DWORD dst_unused:UNUSED_PAD src0_sel:WORD_0 src1_sel:DWORD
	ds_read2_b64 v[55:58], v26 offset0:128 offset1:160
	s_waitcnt lgkmcnt(1)
	v_pk_fma_f16 v25, v51, v47, v25
	v_pk_fma_f16 v21, v52, v47, v21
	v_mul_u32_u24_sdwa v47, v48, s29 dst_sel:DWORD dst_unused:UNUSED_PAD src0_sel:WORD_1 src1_sel:DWORD
	v_pk_fma_f16 v25, v53, v47, v25
	v_pk_fma_f16 v21, v54, v47, v21
	ds_read2_b64 v[51:54], v26 offset0:192 offset1:224
	v_mul_u32_u24_sdwa v47, v49, s29 dst_sel:DWORD dst_unused:UNUSED_PAD src0_sel:WORD_0 src1_sel:DWORD
	s_waitcnt lgkmcnt(1)
	v_pk_fma_f16 v25, v55, v47, v25
	v_pk_fma_f16 v21, v56, v47, v21
	v_mul_u32_u24_sdwa v26, v49, s29 dst_sel:DWORD dst_unused:UNUSED_PAD src0_sel:WORD_1 src1_sel:DWORD
	v_pk_fma_f16 v25, v57, v26, v25
	v_pk_fma_f16 v21, v58, v26, v21
	v_mul_u32_u24_sdwa v26, v50, s29 dst_sel:DWORD dst_unused:UNUSED_PAD src0_sel:WORD_0 src1_sel:DWORD
	s_waitcnt lgkmcnt(0)
	v_pk_fma_f16 v25, v51, v26, v25
	v_pk_fma_f16 v21, v52, v26, v21
	v_mul_u32_u24_sdwa v26, v50, s29 dst_sel:DWORD dst_unused:UNUSED_PAD src0_sel:WORD_1 src1_sel:DWORD
	v_add_u32_e32 v63, 0x3000, v24
	ds_read_b128 v[47:50], v38 offset:96
	ds_read2_b64 v[55:58], v63 offset1:32
	ds_read2_b64 v[59:62], v63 offset0:64 offset1:96
	v_pk_fma_f16 v25, v53, v26, v25
	v_pk_fma_f16 v21, v54, v26, v21
	s_waitcnt lgkmcnt(2)
	v_mul_u32_u24_sdwa v26, v47, s29 dst_sel:DWORD dst_unused:UNUSED_PAD src0_sel:WORD_0 src1_sel:DWORD
	s_waitcnt lgkmcnt(1)
	v_pk_fma_f16 v25, v55, v26, v25
	v_pk_fma_f16 v21, v56, v26, v21
	v_mul_u32_u24_sdwa v26, v47, s29 dst_sel:DWORD dst_unused:UNUSED_PAD src0_sel:WORD_1 src1_sel:DWORD
	v_pk_fma_f16 v25, v57, v26, v25
	v_pk_fma_f16 v21, v58, v26, v21
	v_mul_u32_u24_sdwa v26, v48, s29 dst_sel:DWORD dst_unused:UNUSED_PAD src0_sel:WORD_0 src1_sel:DWORD
	ds_read2_b64 v[55:58], v63 offset0:128 offset1:160
	s_waitcnt lgkmcnt(1)
	v_pk_fma_f16 v25, v59, v26, v25
	v_pk_fma_f16 v21, v60, v26, v21
	v_mul_u32_u24_sdwa v26, v48, s29 dst_sel:DWORD dst_unused:UNUSED_PAD src0_sel:WORD_1 src1_sel:DWORD
	v_pk_fma_f16 v25, v61, v26, v25
	v_pk_fma_f16 v21, v62, v26, v21
	ds_read2_b64 v[59:62], v63 offset0:192 offset1:224
	v_mul_u32_u24_sdwa v26, v49, s29 dst_sel:DWORD dst_unused:UNUSED_PAD src0_sel:WORD_0 src1_sel:DWORD
	s_waitcnt lgkmcnt(1)
	v_pk_fma_f16 v25, v55, v26, v25
	v_pk_fma_f16 v21, v56, v26, v21
	v_mul_u32_u24_sdwa v26, v49, s29 dst_sel:DWORD dst_unused:UNUSED_PAD src0_sel:WORD_1 src1_sel:DWORD
	v_pk_fma_f16 v25, v57, v26, v25
	v_pk_fma_f16 v21, v58, v26, v21
	v_mul_u32_u24_sdwa v26, v50, s29 dst_sel:DWORD dst_unused:UNUSED_PAD src0_sel:WORD_0 src1_sel:DWORD
	ds_read_b128 v[51:54], v38 offset:112
	s_waitcnt lgkmcnt(1)
	v_pk_fma_f16 v25, v59, v26, v25
	v_pk_fma_f16 v21, v60, v26, v21
	v_add_u32_e32 v26, 0x3800, v24
	ds_read2_b64 v[55:58], v26 offset1:32
	v_mul_u32_u24_sdwa v47, v50, s29 dst_sel:DWORD dst_unused:UNUSED_PAD src0_sel:WORD_1 src1_sel:DWORD
	v_pk_fma_f16 v25, v61, v47, v25
	v_pk_fma_f16 v21, v62, v47, v21
	s_waitcnt lgkmcnt(1)
	v_mul_u32_u24_sdwa v47, v51, s29 dst_sel:DWORD dst_unused:UNUSED_PAD src0_sel:WORD_0 src1_sel:DWORD
	s_waitcnt lgkmcnt(0)
	v_pk_fma_f16 v25, v55, v47, v25
	v_pk_fma_f16 v21, v56, v47, v21
	ds_read2_b64 v[47:50], v26 offset0:64 offset1:96
	v_mul_u32_u24_sdwa v51, v51, s29 dst_sel:DWORD dst_unused:UNUSED_PAD src0_sel:WORD_1 src1_sel:DWORD
	v_pk_fma_f16 v25, v57, v51, v25
	v_pk_fma_f16 v21, v58, v51, v21
	ds_read2_b64 v[55:58], v26 offset0:128 offset1:160
	v_mul_u32_u24_sdwa v51, v52, s29 dst_sel:DWORD dst_unused:UNUSED_PAD src0_sel:WORD_0 src1_sel:DWORD
	s_waitcnt lgkmcnt(1)
	v_pk_fma_f16 v25, v47, v51, v25
	v_pk_fma_f16 v21, v48, v51, v21
	v_mul_u32_u24_sdwa v47, v52, s29 dst_sel:DWORD dst_unused:UNUSED_PAD src0_sel:WORD_1 src1_sel:DWORD
	v_pk_fma_f16 v25, v49, v47, v25
	v_pk_fma_f16 v21, v50, v47, v21
	v_mul_u32_u24_sdwa v47, v53, s29 dst_sel:DWORD dst_unused:UNUSED_PAD src0_sel:WORD_0 src1_sel:DWORD
	s_waitcnt lgkmcnt(0)
	v_pk_fma_f16 v25, v55, v47, v25
	v_pk_fma_f16 v21, v56, v47, v21
	v_mul_u32_u24_sdwa v47, v53, s29 dst_sel:DWORD dst_unused:UNUSED_PAD src0_sel:WORD_1 src1_sel:DWORD
	v_pk_fma_f16 v25, v57, v47, v25
	v_pk_fma_f16 v21, v58, v47, v21
	ds_read2_b64 v[47:50], v26 offset0:192 offset1:224
	s_waitcnt lgkmcnt(0)
	s_barrier
	s_load_dword s36, s[10:11], 0x4
	v_mul_u32_u24_sdwa v26, v54, s29 dst_sel:DWORD dst_unused:UNUSED_PAD src0_sel:WORD_0 src1_sel:DWORD
	v_pk_fma_f16 v25, v47, v26, v25
	v_pk_fma_f16 v21, v48, v26, v21
	v_mul_u32_u24_sdwa v26, v54, s29 dst_sel:DWORD dst_unused:UNUSED_PAD src0_sel:WORD_1 src1_sel:DWORD
	s_waitcnt lgkmcnt(0)
	s_lshl_b32 s36, s36, 6
	s_add_i32 s28, s36, s28
	v_pk_fma_f16 v25, v49, v26, v25
	s_cmp_lt_i32 s28, s15
	v_pk_fma_f16 v26, v50, v26, v21
	s_cbranch_scc0 .LBB62_16
; %bb.14:                               ;   in Loop: Header=BB62_8 Depth=1
	v_mov_b32_e32 v48, v5
	v_mov_b32_e32 v47, v20
	s_branch .LBB62_8
.LBB62_15:
	v_mov_b32_e32 v26, 0
	v_mov_b32_e32 v5, 0xfeffffff
	;; [unrolled: 1-line block ×3, first 2 shown]
.LBB62_16:
	s_cmp_gt_i32 s42, s28
	s_cbranch_scc1 .LBB62_18
; %bb.17:
	v_mbcnt_hi_u32_b32 v8, -1, v28
	v_and_b32_e32 v2, 0x60, v8
	v_add_u32_e32 v9, 32, v2
	v_xor_b32_e32 v11, 16, v8
	v_xor_b32_e32 v10, 8, v8
	;; [unrolled: 1-line block ×5, first 2 shown]
	s_cbranch_execz .LBB62_19
	s_branch .LBB62_29
.LBB62_18:
                                        ; implicit-def: $vgpr8
                                        ; implicit-def: $vgpr9
                                        ; implicit-def: $vgpr11
                                        ; implicit-def: $vgpr10
                                        ; implicit-def: $vgpr12
                                        ; implicit-def: $vgpr13
                                        ; implicit-def: $vgpr14
.LBB62_19:
	v_lshl_add_u32 v2, v1, 1, v32
	v_mul_lo_u32 v13, s12, v2
	s_mul_hi_i32 s11, s28, s12
	s_mul_i32 s10, s28, s12
	s_sub_i32 s29, s42, s28
	s_lshl_b64 s[10:11], s[10:11], 2
	v_ashrrev_i32_e32 v14, 31, v13
	s_add_u32 s14, s14, s10
	v_lshlrev_b64 v[3:4], 2, v[13:14]
	s_addc_u32 s13, s13, s11
	v_mov_b32_e32 v7, s13
	v_add_co_u32_e32 v3, vcc, s14, v3
	v_lshlrev_b32_e32 v6, 2, v31
	v_addc_co_u32_e32 v4, vcc, v7, v4, vcc
	s_mov_b64 s[6:7], src_private_base
	v_add_co_u32_e32 v3, vcc, v3, v6
	v_mov_b32_e32 v8, 0
	v_addc_co_u32_e32 v4, vcc, 0, v4, vcc
	v_mov_b32_e32 v16, s7
	v_cmp_gt_i32_e64 s[6:7], s29, v2
	v_mov_b32_e32 v17, 0
	buffer_store_dword v8, off, s[0:3], 0
	buffer_store_dword v8, off, s[0:3], 0 offset:4
	buffer_store_dword v8, off, s[0:3], 0 offset:8
	;; [unrolled: 1-line block ×3, first 2 shown]
	v_cndmask_b32_e64 v4, v16, v4, s[6:7]
	v_cndmask_b32_e64 v3, v17, v3, s[6:7]
	flat_load_dwordx4 v[9:12], v[3:4]
	s_lshl_b32 s12, s12, 4
	v_add_u32_e32 v13, s12, v13
	v_ashrrev_i32_e32 v14, 31, v13
	v_lshlrev_b64 v[14:15], 2, v[13:14]
	v_mov_b32_e32 v4, s13
	v_add_co_u32_e32 v7, vcc, s14, v14
	v_addc_co_u32_e32 v4, vcc, v4, v15, vcc
	s_movk_i32 s10, 0x110
	v_add_u32_e32 v3, 16, v2
	v_add_co_u32_e32 v7, vcc, v7, v6
	v_mad_u32_u24 v18, v2, s10, v6
	v_addc_co_u32_e32 v4, vcc, 0, v4, vcc
	v_cmp_gt_i32_e64 s[10:11], s29, v3
	buffer_store_dword v8, off, s[0:3], 0
	buffer_store_dword v8, off, s[0:3], 0 offset:4
	buffer_store_dword v8, off, s[0:3], 0 offset:8
	;; [unrolled: 1-line block ×3, first 2 shown]
	v_cndmask_b32_e64 v15, v16, v4, s[10:11]
	v_cndmask_b32_e64 v14, v17, v7, s[10:11]
	v_add_u32_e32 v13, s12, v13
	v_mov_b32_e32 v7, s13
	v_add_u32_e32 v4, 32, v2
	v_cmp_gt_i32_e64 s[16:17], s29, v4
	s_cmp_lg_u64 s[40:41], 0
	s_waitcnt vmcnt(0) lgkmcnt(0)
	ds_write_b128 v18, v[9:12]
	flat_load_dwordx4 v[9:12], v[14:15]
	v_ashrrev_i32_e32 v14, 31, v13
	v_lshlrev_b64 v[14:15], 2, v[13:14]
	buffer_store_dword v8, off, s[0:3], 0
	buffer_store_dword v8, off, s[0:3], 0 offset:4
	buffer_store_dword v8, off, s[0:3], 0 offset:8
	;; [unrolled: 1-line block ×3, first 2 shown]
	v_add_co_u32_e32 v14, vcc, s14, v14
	v_addc_co_u32_e32 v7, vcc, v7, v15, vcc
	v_add_co_u32_e32 v14, vcc, v14, v6
	v_addc_co_u32_e32 v7, vcc, 0, v7, vcc
	v_cndmask_b32_e64 v15, v16, v7, s[16:17]
	v_cndmask_b32_e64 v14, v17, v14, s[16:17]
	v_add_u32_e32 v13, s12, v13
	v_add_u32_e32 v7, 48, v2
	s_waitcnt vmcnt(0) lgkmcnt(0)
	ds_write_b128 v18, v[9:12] offset:4352
	flat_load_dwordx4 v[9:12], v[14:15]
	v_ashrrev_i32_e32 v14, 31, v13
	v_lshlrev_b64 v[13:14], 2, v[13:14]
	v_mov_b32_e32 v15, s13
	v_add_co_u32_e32 v13, vcc, s14, v13
	v_addc_co_u32_e32 v14, vcc, v15, v14, vcc
	v_add_co_u32_e32 v13, vcc, v13, v6
	v_addc_co_u32_e32 v14, vcc, 0, v14, vcc
	v_cmp_gt_i32_e64 s[12:13], s29, v7
	v_cndmask_b32_e64 v14, v16, v14, s[12:13]
	v_cndmask_b32_e64 v13, v17, v13, s[12:13]
	buffer_store_dword v8, off, s[0:3], 0
	buffer_store_dword v8, off, s[0:3], 0 offset:4
	buffer_store_dword v8, off, s[0:3], 0 offset:8
	;; [unrolled: 1-line block ×3, first 2 shown]
	v_mov_b32_e32 v16, 0
	v_mov_b32_e32 v15, 0
	v_mul_lo_u32 v17, v29, s18
	s_cselect_b64 s[14:15], -1, 0
	v_cmp_gt_i32_e32 vcc, s29, v0
	s_waitcnt vmcnt(0) lgkmcnt(0)
	ds_write_b128 v18, v[9:12] offset:8704
	flat_load_dwordx4 v[10:13], v[13:14]
	v_mul_u32_u24_e32 v9, 0x110, v0
	s_waitcnt vmcnt(0) lgkmcnt(0)
	ds_write_b128 v18, v[10:13] offset:13056
	s_waitcnt lgkmcnt(0)
	s_barrier
	ds_read_b128 v[10:13], v9
	ds_read_b128 v[31:34], v30
	ds_read_b128 v[35:38], v9 offset:8704
	s_waitcnt lgkmcnt(1)
	;;#ASMSTART
	v_dot2_f32_f16 v16, v10, v31, v16
	;;#ASMEND
	;;#ASMSTART
	v_dot2_f32_f16 v16, v11, v32, v16
	;;#ASMEND
	;;#ASMSTART
	v_dot2_f32_f16 v16, v12, v33, v16
	;;#ASMEND
	;;#ASMSTART
	v_dot2_f32_f16 v16, v13, v34, v16
	;;#ASMEND
	s_waitcnt lgkmcnt(0)
	;;#ASMSTART
	v_dot2_f32_f16 v15, v35, v31, v15
	;;#ASMEND
	;;#ASMSTART
	v_dot2_f32_f16 v15, v36, v32, v15
	;;#ASMEND
	;;#ASMSTART
	v_dot2_f32_f16 v15, v37, v33, v15
	;;#ASMEND
	;;#ASMSTART
	v_dot2_f32_f16 v15, v38, v34, v15
	;;#ASMEND
	ds_read_b128 v[10:13], v9 offset:16
	ds_read_b128 v[31:34], v30 offset:16
	ds_read_b128 v[35:38], v9 offset:8720
	s_waitcnt lgkmcnt(1)
	;;#ASMSTART
	v_dot2_f32_f16 v16, v10, v31, v16
	;;#ASMEND
	;;#ASMSTART
	v_dot2_f32_f16 v16, v11, v32, v16
	;;#ASMEND
	;;#ASMSTART
	v_dot2_f32_f16 v16, v12, v33, v16
	;;#ASMEND
	;;#ASMSTART
	v_dot2_f32_f16 v16, v13, v34, v16
	;;#ASMEND
	s_waitcnt lgkmcnt(0)
	;;#ASMSTART
	v_dot2_f32_f16 v15, v35, v31, v15
	;;#ASMEND
	;;#ASMSTART
	v_dot2_f32_f16 v15, v36, v32, v15
	;;#ASMEND
	;;#ASMSTART
	v_dot2_f32_f16 v15, v37, v33, v15
	;;#ASMEND
	;;#ASMSTART
	v_dot2_f32_f16 v15, v38, v34, v15
	;;#ASMEND
	ds_read_b128 v[10:13], v9 offset:32
	ds_read_b128 v[31:34], v30 offset:32
	;; [unrolled: 29-line block ×15, first 2 shown]
	ds_read_b128 v[33:36], v9 offset:8944
	s_waitcnt lgkmcnt(1)
	;;#ASMSTART
	v_dot2_f32_f16 v16, v11, v29, v16
	;;#ASMEND
	;;#ASMSTART
	v_dot2_f32_f16 v16, v12, v30, v16
	;;#ASMEND
	;; [unrolled: 3-line block ×4, first 2 shown]
	s_waitcnt lgkmcnt(0)
	;;#ASMSTART
	v_dot2_f32_f16 v15, v33, v29, v15
	;;#ASMEND
	v_add_u32_e32 v10, s28, v17
	v_cndmask_b32_e64 v17, 0, 1, s[14:15]
	;;#ASMSTART
	v_dot2_f32_f16 v15, v34, v30, v15
	;;#ASMEND
	v_cmp_ne_u32_e64 s[14:15], 1, v17
	;;#ASMSTART
	v_dot2_f32_f16 v15, v35, v31, v15
	;;#ASMEND
	v_mov_b32_e32 v12, v5
	;;#ASMSTART
	v_dot2_f32_f16 v15, v36, v32, v15
	;;#ASMEND
	s_and_saveexec_b64 s[18:19], vcc
	s_cbranch_execz .LBB62_23
; %bb.20:
	s_and_b64 vcc, exec, s[14:15]
	s_cbranch_vccnz .LBB62_22
; %bb.21:
	v_add_u32_e32 v8, v10, v0
	v_ashrrev_i32_e32 v9, 31, v8
	v_lshlrev_b64 v[8:9], 1, v[8:9]
	v_mov_b32_e32 v11, s41
	v_add_co_u32_e32 v8, vcc, s40, v8
	v_addc_co_u32_e32 v9, vcc, v11, v9, vcc
	global_load_ushort v8, v[8:9], off
	s_waitcnt vmcnt(0)
	v_cvt_f32_f16_e32 v8, v8
	v_mul_f32_e32 v8, v27, v8
.LBB62_22:
	v_add_f32_e32 v16, v16, v8
	v_add_f32_e32 v8, 0x40051340, v16
	v_max_f32_e32 v9, v5, v5
	v_max_f32_e32 v12, v9, v8
.LBB62_23:
	s_or_b64 exec, exec, s[18:19]
	v_add_u32_e32 v18, 32, v0
	v_cmp_gt_i32_e32 vcc, s29, v18
	s_and_saveexec_b64 s[18:19], vcc
	s_cbranch_execz .LBB62_28
; %bb.24:
	s_and_b64 vcc, exec, s[14:15]
	s_cbranch_vccnz .LBB62_26
; %bb.25:
	v_ashrrev_i32_e32 v9, 31, v10
	v_add_co_u32_e32 v8, vcc, v10, v0
	v_addc_co_u32_e32 v9, vcc, 0, v9, vcc
	v_lshlrev_b64 v[8:9], 1, v[8:9]
	v_mov_b32_e32 v10, s41
	v_add_co_u32_e32 v8, vcc, s40, v8
	v_addc_co_u32_e32 v9, vcc, v10, v9, vcc
	global_load_ushort v8, v[8:9], off offset:64
	s_waitcnt vmcnt(0)
	v_cvt_f32_f16_e32 v8, v8
	v_mul_f32_e32 v8, v27, v8
	s_branch .LBB62_27
.LBB62_26:
	v_mov_b32_e32 v8, 0
.LBB62_27:
	v_add_f32_e32 v15, v15, v8
	v_add_f32_e32 v8, 0x40051340, v15
	v_max_f32_e32 v9, v12, v12
	v_max_f32_e32 v12, v9, v8
.LBB62_28:
	s_or_b64 exec, exec, s[18:19]
	v_mbcnt_hi_u32_b32 v8, -1, v28
	v_and_b32_e32 v9, 0x60, v8
	v_add_u32_e32 v9, 32, v9
	v_xor_b32_e32 v11, 16, v8
	v_cmp_lt_i32_e32 vcc, v11, v9
	v_cndmask_b32_e32 v10, v8, v11, vcc
	v_lshlrev_b32_e32 v10, 2, v10
	ds_bpermute_b32 v13, v10, v12
	v_xor_b32_e32 v10, 8, v8
	v_cmp_lt_i32_e32 vcc, v10, v9
	v_cndmask_b32_e32 v14, v8, v10, vcc
	v_max_f32_e32 v12, v12, v12
	s_waitcnt lgkmcnt(0)
	v_max_f32_e32 v13, v13, v13
	v_lshlrev_b32_e32 v14, 2, v14
	v_max_f32_e32 v13, v12, v13
	ds_bpermute_b32 v14, v14, v13
	v_xor_b32_e32 v12, 4, v8
	v_cmp_lt_i32_e32 vcc, v12, v9
	v_cndmask_b32_e32 v17, v8, v12, vcc
	v_lshlrev_b32_e32 v17, 2, v17
	s_waitcnt lgkmcnt(0)
	v_max_f32_e32 v14, v14, v14
	v_max_f32_e32 v14, v13, v14
	ds_bpermute_b32 v17, v17, v14
	v_xor_b32_e32 v13, 2, v8
	v_cmp_lt_i32_e32 vcc, v13, v9
	v_cndmask_b32_e32 v19, v8, v13, vcc
	v_lshlrev_b32_e32 v19, 2, v19
	s_waitcnt lgkmcnt(0)
	v_max_f32_e32 v17, v17, v17
	;; [unrolled: 8-line block ×3, first 2 shown]
	v_max_f32_e32 v17, v17, v19
	ds_bpermute_b32 v19, v21, v17
	s_mov_b32 s19, 0x3fb8aa3b
	s_mov_b64 s[14:15], src_private_base
	s_mov_b32 s14, 0xc2ce8ed0
	s_mov_b32 s18, 0x42b17218
	s_waitcnt lgkmcnt(0)
	v_max_f32_e32 v19, v19, v19
	v_max_f32_e32 v17, v17, v19
	v_sub_f32_e32 v27, v16, v17
	v_mul_f32_e32 v16, 0x3fb8aa3b, v27
	v_fma_f32 v19, v27, s19, -v16
	v_rndne_f32_e32 v28, v16
	v_fmac_f32_e32 v19, 0x32a5705f, v27
	v_sub_f32_e32 v16, v16, v28
	v_add_f32_e32 v16, v16, v19
	v_exp_f32_e32 v19, v16
	v_cvt_i32_f32_e32 v28, v28
	v_lshlrev_b32_e32 v16, 7, v1
	v_cmp_ngt_f32_e32 vcc, s14, v27
	v_mul_lo_u32 v31, s8, v2
	v_ldexp_f32 v1, v19, v28
	v_cndmask_b32_e32 v1, 0, v1, vcc
	v_cmp_nlt_f32_e32 vcc, s18, v27
	v_sub_f32_e32 v27, v15, v17
	v_mul_f32_e32 v15, 0x3fb8aa3b, v27
	v_fma_f32 v28, v27, s19, -v15
	v_rndne_f32_e32 v29, v15
	v_fmac_f32_e32 v28, 0x32a5705f, v27
	v_sub_f32_e32 v15, v15, v29
	v_add_f32_e32 v15, v15, v28
	v_exp_f32_e32 v28, v15
	v_cvt_i32_f32_e32 v29, v29
	v_mov_b32_e32 v19, 0x7f800000
	v_cndmask_b32_e32 v1, v19, v1, vcc
	v_cmp_gt_u32_e32 vcc, s29, v0
	v_cndmask_b32_e32 v15, 0, v1, vcc
	v_ldexp_f32 v28, v28, v29
	v_cmp_ngt_f32_e32 vcc, s14, v27
	v_cndmask_b32_e32 v28, 0, v28, vcc
	v_cmp_nlt_f32_e32 vcc, s18, v27
	v_cndmask_b32_e32 v27, v19, v28, vcc
	v_cmp_gt_u32_e32 vcc, s29, v18
	v_cvt_f16_f32_e32 v1, v15
	v_cndmask_b32_e32 v18, 0, v27, vcc
	v_cvt_f16_f32_e32 v27, v18
	v_lshlrev_b32_e32 v28, 1, v0
	s_movk_i32 s29, 0x4c00
	v_add3_u32 v28, v16, s29, v28
	s_mul_hi_i32 s29, s28, s8
	s_mul_i32 s28, s28, s8
	s_lshl_b64 s[28:29], s[28:29], 2
	v_ashrrev_i32_e32 v32, 31, v31
	s_barrier
	ds_write_b16 v28, v1
	ds_write_b16 v28, v27 offset:64
	s_add_u32 s22, s22, s28
	v_lshlrev_b64 v[27:28], 2, v[31:32]
	s_addc_u32 s23, s23, s29
	v_mov_b32_e32 v1, s23
	v_add_co_u32_e32 v27, vcc, s22, v27
	v_addc_co_u32_e32 v1, vcc, v1, v28, vcc
	v_add_co_u32_e32 v27, vcc, v27, v6
	v_mov_b32_e32 v21, 0
	v_addc_co_u32_e32 v1, vcc, 0, v1, vcc
	v_mov_b32_e32 v33, s15
	v_mov_b32_e32 v34, 0
	buffer_store_dword v21, off, s[0:3], 0
	buffer_store_dword v21, off, s[0:3], 0 offset:4
	buffer_store_dword v21, off, s[0:3], 0 offset:8
	;; [unrolled: 1-line block ×3, first 2 shown]
	v_cndmask_b32_e64 v28, v33, v1, s[6:7]
	v_cndmask_b32_e64 v27, v34, v27, s[6:7]
	flat_load_dwordx4 v[27:30], v[27:28]
	s_lshl_b32 s6, s8, 4
	v_add_u32_e32 v1, s6, v31
	v_lshl_or_b32 v35, v2, 8, v6
	v_ashrrev_i32_e32 v2, 31, v1
	v_lshlrev_b64 v[31:32], 2, v[1:2]
	v_mov_b32_e32 v36, s23
	v_add_co_u32_e32 v2, vcc, s22, v31
	v_addc_co_u32_e32 v31, vcc, v36, v32, vcc
	v_add_co_u32_e32 v2, vcc, v2, v6
	v_addc_co_u32_e32 v31, vcc, 0, v31, vcc
	v_cndmask_b32_e64 v32, v33, v31, s[10:11]
	v_cndmask_b32_e64 v31, v34, v2, s[10:11]
	buffer_store_dword v21, off, s[0:3], 0
	buffer_store_dword v21, off, s[0:3], 0 offset:4
	buffer_store_dword v21, off, s[0:3], 0 offset:8
	;; [unrolled: 1-line block ×3, first 2 shown]
	v_add_u32_e32 v1, s6, v1
	v_ashrrev_i32_e32 v2, 31, v1
	v_sub_f32_e32 v5, v5, v17
	v_add_f32_e32 v15, v15, v18
	v_add_u32_e32 v76, 0x2000, v24
	v_add_u32_e32 v77, 0x2800, v24
	;; [unrolled: 1-line block ×4, first 2 shown]
	s_waitcnt vmcnt(0) lgkmcnt(0)
	ds_write_b128 v35, v[27:30]
	flat_load_dwordx4 v[27:30], v[31:32]
	v_lshl_or_b32 v31, v3, 8, v6
	v_lshlrev_b64 v[2:3], 2, v[1:2]
	v_mov_b32_e32 v32, s23
	v_add_co_u32_e32 v2, vcc, s22, v2
	v_addc_co_u32_e32 v3, vcc, v32, v3, vcc
	v_add_co_u32_e32 v2, vcc, v2, v6
	v_addc_co_u32_e32 v3, vcc, 0, v3, vcc
	v_cndmask_b32_e64 v3, v33, v3, s[16:17]
	v_cndmask_b32_e64 v2, v34, v2, s[16:17]
	buffer_store_dword v21, off, s[0:3], 0
	buffer_store_dword v21, off, s[0:3], 0 offset:4
	buffer_store_dword v21, off, s[0:3], 0 offset:8
	;; [unrolled: 1-line block ×3, first 2 shown]
	v_add_u32_e32 v1, s6, v1
	s_mov_b32 s6, 0x10001
	s_waitcnt vmcnt(0) lgkmcnt(0)
	ds_write_b128 v31, v[27:30]
	flat_load_dwordx4 v[27:30], v[2:3]
	v_ashrrev_i32_e32 v2, 31, v1
	v_lshlrev_b64 v[1:2], 2, v[1:2]
	v_lshl_or_b32 v3, v4, 8, v6
	v_mov_b32_e32 v4, s23
	v_add_co_u32_e32 v1, vcc, s22, v1
	v_addc_co_u32_e32 v2, vcc, v4, v2, vcc
	v_add_co_u32_e32 v1, vcc, v1, v6
	v_addc_co_u32_e32 v2, vcc, 0, v2, vcc
	v_cndmask_b32_e64 v2, v33, v2, s[12:13]
	v_cndmask_b32_e64 v1, v34, v1, s[12:13]
	buffer_store_dword v21, off, s[0:3], 0
	buffer_store_dword v21, off, s[0:3], 0 offset:4
	buffer_store_dword v21, off, s[0:3], 0 offset:8
	;; [unrolled: 1-line block ×3, first 2 shown]
	v_cmp_ngt_f32_e32 vcc, s14, v5
	v_lshl_or_b32 v6, v7, 8, v6
	v_add_u32_e32 v7, 0x800, v24
	v_add_u32_e32 v21, 0x1000, v24
	s_waitcnt vmcnt(0) lgkmcnt(0)
	ds_write_b128 v3, v[27:30]
	flat_load_dwordx4 v[1:4], v[1:2]
	v_mul_f32_e32 v28, 0x3fb8aa3b, v5
	v_fma_f32 v29, v5, s19, -v28
	v_rndne_f32_e32 v30, v28
	v_fmac_f32_e32 v29, 0x32a5705f, v5
	v_sub_f32_e32 v28, v28, v30
	v_add_f32_e32 v28, v28, v29
	v_cvt_i32_f32_e32 v30, v30
	v_exp_f32_e32 v28, v28
	v_add_u32_e32 v27, 0x1800, v24
	v_ldexp_f32 v28, v28, v30
	v_cndmask_b32_e32 v28, 0, v28, vcc
	v_cmp_nlt_f32_e32 vcc, s18, v5
	v_cndmask_b32_e32 v19, v19, v28, vcc
	v_cvt_f16_f32_e32 v28, v19
	v_mov_b32_e32 v5, v17
	v_fmac_f32_e32 v15, v20, v19
	v_mul_u32_u24_e32 v80, 0x10001, v28
	s_waitcnt vmcnt(0) lgkmcnt(0)
	ds_write_b128 v6, v[1:4]
	s_waitcnt lgkmcnt(0)
	s_barrier
	ds_read2_b64 v[1:4], v24 offset1:32
	ds_read_b128 v[17:20], v16 offset:19456
	ds_read_b128 v[28:31], v16 offset:19472
	;; [unrolled: 1-line block ×4, first 2 shown]
	ds_read2_b64 v[40:43], v24 offset0:64 offset1:96
	ds_read2_b64 v[44:47], v24 offset0:128 offset1:160
	;; [unrolled: 1-line block ×3, first 2 shown]
	ds_read2_b64 v[52:55], v7 offset1:32
	ds_read2_b64 v[56:59], v7 offset0:64 offset1:96
	ds_read2_b64 v[60:63], v7 offset0:128 offset1:160
	;; [unrolled: 1-line block ×3, first 2 shown]
	ds_read2_b64 v[68:71], v21 offset1:32
	ds_read2_b64 v[72:75], v21 offset0:64 offset1:96
	s_waitcnt lgkmcnt(12)
	v_mul_u32_u24_sdwa v6, v17, s6 dst_sel:DWORD dst_unused:UNUSED_PAD src0_sel:WORD_0 src1_sel:DWORD
	v_pk_mul_f16 v1, v1, v6
	v_pk_mul_f16 v2, v2, v6
	v_pk_fma_f16 v1, v25, v80, v1
	v_mul_u32_u24_sdwa v7, v17, s6 dst_sel:DWORD dst_unused:UNUSED_PAD src0_sel:WORD_1 src1_sel:DWORD
	v_pk_fma_f16 v2, v26, v80, v2
	v_pk_fma_f16 v6, v3, v7, v1
	v_pk_fma_f16 v7, v4, v7, v2
	v_mul_u32_u24_sdwa v17, v18, s6 dst_sel:DWORD dst_unused:UNUSED_PAD src0_sel:WORD_0 src1_sel:DWORD
	v_mul_u32_u24_sdwa v18, v18, s6 dst_sel:DWORD dst_unused:UNUSED_PAD src0_sel:WORD_1 src1_sel:DWORD
	s_waitcnt lgkmcnt(8)
	v_pk_fma_f16 v6, v40, v17, v6
	v_pk_fma_f16 v7, v41, v17, v7
	ds_read2_b64 v[1:4], v21 offset0:128 offset1:160
	v_pk_fma_f16 v6, v42, v18, v6
	v_pk_fma_f16 v7, v43, v18, v7
	ds_read2_b64 v[40:43], v21 offset0:192 offset1:224
	v_mul_u32_u24_sdwa v21, v19, s6 dst_sel:DWORD dst_unused:UNUSED_PAD src0_sel:WORD_0 src1_sel:DWORD
	v_mul_u32_u24_sdwa v24, v19, s6 dst_sel:DWORD dst_unused:UNUSED_PAD src0_sel:WORD_1 src1_sel:DWORD
	s_waitcnt lgkmcnt(9)
	v_pk_fma_f16 v6, v44, v21, v6
	v_pk_fma_f16 v7, v45, v21, v7
	v_mul_u32_u24_sdwa v25, v20, s6 dst_sel:DWORD dst_unused:UNUSED_PAD src0_sel:WORD_0 src1_sel:DWORD
	v_pk_fma_f16 v6, v46, v24, v6
	v_pk_fma_f16 v7, v47, v24, v7
	v_mul_u32_u24_sdwa v26, v20, s6 dst_sel:DWORD dst_unused:UNUSED_PAD src0_sel:WORD_1 src1_sel:DWORD
	s_waitcnt lgkmcnt(8)
	v_pk_fma_f16 v6, v48, v25, v6
	v_pk_fma_f16 v7, v49, v25, v7
	v_pk_fma_f16 v6, v50, v26, v6
	v_pk_fma_f16 v7, v51, v26, v7
	v_mul_u32_u24_sdwa v21, v28, s6 dst_sel:DWORD dst_unused:UNUSED_PAD src0_sel:WORD_0 src1_sel:DWORD
	s_waitcnt lgkmcnt(7)
	v_pk_fma_f16 v6, v52, v21, v6
	v_pk_fma_f16 v7, v53, v21, v7
	v_mul_u32_u24_sdwa v21, v28, s6 dst_sel:DWORD dst_unused:UNUSED_PAD src0_sel:WORD_1 src1_sel:DWORD
	v_pk_fma_f16 v6, v54, v21, v6
	v_pk_fma_f16 v7, v55, v21, v7
	v_mul_u32_u24_sdwa v21, v29, s6 dst_sel:DWORD dst_unused:UNUSED_PAD src0_sel:WORD_0 src1_sel:DWORD
	s_waitcnt lgkmcnt(6)
	v_pk_fma_f16 v6, v56, v21, v6
	v_pk_fma_f16 v7, v57, v21, v7
	v_mul_u32_u24_sdwa v21, v29, s6 dst_sel:DWORD dst_unused:UNUSED_PAD src0_sel:WORD_1 src1_sel:DWORD
	v_pk_fma_f16 v6, v58, v21, v6
	v_pk_fma_f16 v7, v59, v21, v7
	;; [unrolled: 7-line block ×3, first 2 shown]
	v_mul_u32_u24_sdwa v21, v31, s6 dst_sel:DWORD dst_unused:UNUSED_PAD src0_sel:WORD_0 src1_sel:DWORD
	v_mul_u32_u24_sdwa v80, v31, s6 dst_sel:DWORD dst_unused:UNUSED_PAD src0_sel:WORD_1 src1_sel:DWORD
	s_waitcnt lgkmcnt(4)
	v_pk_fma_f16 v6, v64, v21, v6
	v_pk_fma_f16 v7, v65, v21, v7
	;; [unrolled: 1-line block ×4, first 2 shown]
	v_mul_u32_u24_sdwa v21, v32, s6 dst_sel:DWORD dst_unused:UNUSED_PAD src0_sel:WORD_0 src1_sel:DWORD
	v_mul_u32_u24_sdwa v32, v32, s6 dst_sel:DWORD dst_unused:UNUSED_PAD src0_sel:WORD_1 src1_sel:DWORD
	s_waitcnt lgkmcnt(3)
	v_pk_fma_f16 v6, v68, v21, v6
	v_pk_fma_f16 v7, v69, v21, v7
	v_mul_u32_u24_sdwa v21, v33, s6 dst_sel:DWORD dst_unused:UNUSED_PAD src0_sel:WORD_0 src1_sel:DWORD
	v_pk_fma_f16 v6, v70, v32, v6
	v_pk_fma_f16 v7, v71, v32, v7
	v_mul_u32_u24_sdwa v32, v33, s6 dst_sel:DWORD dst_unused:UNUSED_PAD src0_sel:WORD_1 src1_sel:DWORD
	s_waitcnt lgkmcnt(2)
	v_pk_fma_f16 v6, v72, v21, v6
	v_pk_fma_f16 v7, v73, v21, v7
	ds_read2_b64 v[17:20], v27 offset1:32
	v_pk_fma_f16 v6, v74, v32, v6
	v_pk_fma_f16 v7, v75, v32, v7
	v_mul_u32_u24_sdwa v21, v34, s6 dst_sel:DWORD dst_unused:UNUSED_PAD src0_sel:WORD_0 src1_sel:DWORD
	v_mul_u32_u24_sdwa v32, v34, s6 dst_sel:DWORD dst_unused:UNUSED_PAD src0_sel:WORD_1 src1_sel:DWORD
	s_waitcnt lgkmcnt(2)
	v_pk_fma_f16 v1, v1, v21, v6
	v_pk_fma_f16 v2, v2, v21, v7
	ds_read2_b64 v[44:47], v27 offset0:64 offset1:96
	v_pk_fma_f16 v6, v3, v32, v1
	v_pk_fma_f16 v7, v4, v32, v2
	v_mul_u32_u24_sdwa v21, v35, s6 dst_sel:DWORD dst_unused:UNUSED_PAD src0_sel:WORD_0 src1_sel:DWORD
	ds_read2_b64 v[48:51], v27 offset0:128 offset1:160
	ds_read2_b64 v[24:27], v27 offset0:192 offset1:224
	ds_read2_b64 v[52:55], v76 offset1:32
	ds_read2_b64 v[56:59], v76 offset0:64 offset1:96
	ds_read2_b64 v[60:63], v76 offset0:128 offset1:160
	;; [unrolled: 1-line block ×3, first 2 shown]
	v_mul_u32_u24_sdwa v76, v35, s6 dst_sel:DWORD dst_unused:UNUSED_PAD src0_sel:WORD_1 src1_sel:DWORD
	s_waitcnt lgkmcnt(8)
	v_pk_fma_f16 v6, v40, v21, v6
	v_pk_fma_f16 v7, v41, v21, v7
	;; [unrolled: 1-line block ×4, first 2 shown]
	v_mul_u32_u24_sdwa v21, v36, s6 dst_sel:DWORD dst_unused:UNUSED_PAD src0_sel:WORD_0 src1_sel:DWORD
	v_mul_u32_u24_sdwa v36, v36, s6 dst_sel:DWORD dst_unused:UNUSED_PAD src0_sel:WORD_1 src1_sel:DWORD
	s_waitcnt lgkmcnt(7)
	v_pk_fma_f16 v6, v17, v21, v6
	v_pk_fma_f16 v7, v18, v21, v7
	;; [unrolled: 1-line block ×4, first 2 shown]
	v_mul_u32_u24_sdwa v21, v37, s6 dst_sel:DWORD dst_unused:UNUSED_PAD src0_sel:WORD_0 src1_sel:DWORD
	v_mul_u32_u24_sdwa v36, v37, s6 dst_sel:DWORD dst_unused:UNUSED_PAD src0_sel:WORD_1 src1_sel:DWORD
	s_waitcnt lgkmcnt(6)
	v_pk_fma_f16 v6, v44, v21, v6
	v_pk_fma_f16 v7, v45, v21, v7
	ds_read2_b64 v[64:67], v77 offset1:32
	ds_read_b128 v[68:71], v16 offset:19520
	ds_read_b128 v[72:75], v16 offset:19536
	v_pk_fma_f16 v6, v46, v36, v6
	v_pk_fma_f16 v7, v47, v36, v7
	v_mul_u32_u24_sdwa v21, v38, s6 dst_sel:DWORD dst_unused:UNUSED_PAD src0_sel:WORD_0 src1_sel:DWORD
	v_mul_u32_u24_sdwa v76, v38, s6 dst_sel:DWORD dst_unused:UNUSED_PAD src0_sel:WORD_1 src1_sel:DWORD
	s_waitcnt lgkmcnt(8)
	v_pk_fma_f16 v6, v48, v21, v6
	v_pk_fma_f16 v7, v49, v21, v7
	ds_read2_b64 v[1:4], v77 offset0:64 offset1:96
	ds_read2_b64 v[32:35], v77 offset0:128 offset1:160
	;; [unrolled: 1-line block ×3, first 2 shown]
	v_mul_u32_u24_sdwa v77, v39, s6 dst_sel:DWORD dst_unused:UNUSED_PAD src0_sel:WORD_0 src1_sel:DWORD
	v_pk_fma_f16 v6, v50, v76, v6
	v_pk_fma_f16 v7, v51, v76, v7
	v_mul_u32_u24_sdwa v80, v39, s6 dst_sel:DWORD dst_unused:UNUSED_PAD src0_sel:WORD_1 src1_sel:DWORD
	s_waitcnt lgkmcnt(10)
	v_pk_fma_f16 v6, v24, v77, v6
	v_pk_fma_f16 v7, v25, v77, v7
	s_waitcnt lgkmcnt(4)
	v_mul_u32_u24_sdwa v21, v68, s6 dst_sel:DWORD dst_unused:UNUSED_PAD src0_sel:WORD_0 src1_sel:DWORD
	v_pk_fma_f16 v6, v26, v80, v6
	v_pk_fma_f16 v7, v27, v80, v7
	v_mul_u32_u24_sdwa v68, v68, s6 dst_sel:DWORD dst_unused:UNUSED_PAD src0_sel:WORD_1 src1_sel:DWORD
	v_pk_fma_f16 v6, v52, v21, v6
	v_pk_fma_f16 v7, v53, v21, v7
	v_mul_u32_u24_sdwa v76, v69, s6 dst_sel:DWORD dst_unused:UNUSED_PAD src0_sel:WORD_0 src1_sel:DWORD
	v_pk_fma_f16 v6, v54, v68, v6
	v_pk_fma_f16 v7, v55, v68, v7
	v_mul_u32_u24_sdwa v69, v69, s6 dst_sel:DWORD dst_unused:UNUSED_PAD src0_sel:WORD_1 src1_sel:DWORD
	v_pk_fma_f16 v6, v56, v76, v6
	v_pk_fma_f16 v7, v57, v76, v7
	v_mul_u32_u24_sdwa v77, v70, s6 dst_sel:DWORD dst_unused:UNUSED_PAD src0_sel:WORD_0 src1_sel:DWORD
	v_pk_fma_f16 v6, v58, v69, v6
	v_pk_fma_f16 v7, v59, v69, v7
	v_mul_u32_u24_sdwa v70, v70, s6 dst_sel:DWORD dst_unused:UNUSED_PAD src0_sel:WORD_1 src1_sel:DWORD
	v_pk_fma_f16 v6, v60, v77, v6
	v_pk_fma_f16 v7, v61, v77, v7
	v_mul_u32_u24_sdwa v80, v71, s6 dst_sel:DWORD dst_unused:UNUSED_PAD src0_sel:WORD_0 src1_sel:DWORD
	v_pk_fma_f16 v6, v62, v70, v6
	v_pk_fma_f16 v7, v63, v70, v7
	v_mul_u32_u24_sdwa v71, v71, s6 dst_sel:DWORD dst_unused:UNUSED_PAD src0_sel:WORD_1 src1_sel:DWORD
	v_pk_fma_f16 v6, v28, v80, v6
	v_pk_fma_f16 v7, v29, v80, v7
	s_waitcnt lgkmcnt(3)
	v_mul_u32_u24_sdwa v21, v72, s6 dst_sel:DWORD dst_unused:UNUSED_PAD src0_sel:WORD_0 src1_sel:DWORD
	v_pk_fma_f16 v6, v30, v71, v6
	v_pk_fma_f16 v7, v31, v71, v7
	v_mul_u32_u24_sdwa v68, v72, s6 dst_sel:DWORD dst_unused:UNUSED_PAD src0_sel:WORD_1 src1_sel:DWORD
	v_pk_fma_f16 v6, v64, v21, v6
	v_pk_fma_f16 v7, v65, v21, v7
	v_mul_u32_u24_sdwa v72, v73, s6 dst_sel:DWORD dst_unused:UNUSED_PAD src0_sel:WORD_0 src1_sel:DWORD
	v_pk_fma_f16 v6, v66, v68, v6
	v_pk_fma_f16 v7, v67, v68, v7
	ds_read_b128 v[44:47], v16 offset:19552
	ds_read_b128 v[56:59], v16 offset:19568
	v_mul_u32_u24_sdwa v69, v73, s6 dst_sel:DWORD dst_unused:UNUSED_PAD src0_sel:WORD_1 src1_sel:DWORD
	s_waitcnt lgkmcnt(4)
	v_pk_fma_f16 v1, v1, v72, v6
	v_pk_fma_f16 v2, v2, v72, v7
	ds_read2_b64 v[17:20], v78 offset1:32
	v_mul_u32_u24_sdwa v73, v74, s6 dst_sel:DWORD dst_unused:UNUSED_PAD src0_sel:WORD_0 src1_sel:DWORD
	v_pk_fma_f16 v1, v3, v69, v1
	v_pk_fma_f16 v2, v4, v69, v2
	v_mul_u32_u24_sdwa v74, v74, s6 dst_sel:DWORD dst_unused:UNUSED_PAD src0_sel:WORD_1 src1_sel:DWORD
	s_waitcnt lgkmcnt(4)
	v_pk_fma_f16 v1, v32, v73, v1
	v_pk_fma_f16 v2, v33, v73, v2
	ds_read2_b64 v[36:39], v78 offset0:64 offset1:96
	v_mul_u32_u24_sdwa v76, v75, s6 dst_sel:DWORD dst_unused:UNUSED_PAD src0_sel:WORD_0 src1_sel:DWORD
	v_pk_fma_f16 v1, v34, v74, v1
	v_pk_fma_f16 v2, v35, v74, v2
	v_mul_u32_u24_sdwa v75, v75, s6 dst_sel:DWORD dst_unused:UNUSED_PAD src0_sel:WORD_1 src1_sel:DWORD
	s_waitcnt lgkmcnt(4)
	v_pk_fma_f16 v1, v40, v76, v1
	v_pk_fma_f16 v2, v41, v76, v2
	ds_read2_b64 v[48:51], v78 offset0:128 offset1:160
	s_waitcnt lgkmcnt(4)
	v_mul_u32_u24_sdwa v16, v44, s6 dst_sel:DWORD dst_unused:UNUSED_PAD src0_sel:WORD_0 src1_sel:DWORD
	v_pk_fma_f16 v1, v42, v75, v1
	v_pk_fma_f16 v2, v43, v75, v2
	v_mul_u32_u24_sdwa v60, v44, s6 dst_sel:DWORD dst_unused:UNUSED_PAD src0_sel:WORD_1 src1_sel:DWORD
	s_waitcnt lgkmcnt(2)
	v_pk_fma_f16 v1, v17, v16, v1
	v_pk_fma_f16 v2, v18, v16, v2
	ds_read2_b64 v[24:27], v78 offset0:192 offset1:224
	v_mul_u32_u24_sdwa v61, v45, s6 dst_sel:DWORD dst_unused:UNUSED_PAD src0_sel:WORD_0 src1_sel:DWORD
	v_pk_fma_f16 v1, v19, v60, v1
	v_pk_fma_f16 v2, v20, v60, v2
	v_mul_u32_u24_sdwa v62, v45, s6 dst_sel:DWORD dst_unused:UNUSED_PAD src0_sel:WORD_1 src1_sel:DWORD
	s_waitcnt lgkmcnt(2)
	v_pk_fma_f16 v1, v36, v61, v1
	v_pk_fma_f16 v2, v37, v61, v2
	ds_read2_b64 v[52:55], v79 offset1:32
	v_mul_u32_u24_sdwa v63, v46, s6 dst_sel:DWORD dst_unused:UNUSED_PAD src0_sel:WORD_0 src1_sel:DWORD
	v_pk_fma_f16 v1, v38, v62, v1
	v_pk_fma_f16 v2, v39, v62, v2
	v_mul_u32_u24_sdwa v70, v46, s6 dst_sel:DWORD dst_unused:UNUSED_PAD src0_sel:WORD_1 src1_sel:DWORD
	s_waitcnt lgkmcnt(2)
	v_pk_fma_f16 v1, v48, v63, v1
	v_pk_fma_f16 v2, v49, v63, v2
	v_mul_u32_u24_sdwa v77, v47, s6 dst_sel:DWORD dst_unused:UNUSED_PAD src0_sel:WORD_0 src1_sel:DWORD
	v_mul_u32_u24_sdwa v78, v47, s6 dst_sel:DWORD dst_unused:UNUSED_PAD src0_sel:WORD_1 src1_sel:DWORD
	ds_read2_b64 v[44:47], v79 offset0:64 offset1:96
	v_pk_fma_f16 v1, v50, v70, v1
	v_pk_fma_f16 v2, v51, v70, v2
	s_waitcnt lgkmcnt(2)
	v_pk_fma_f16 v1, v24, v77, v1
	v_pk_fma_f16 v2, v25, v77, v2
	ds_read2_b64 v[28:31], v79 offset0:128 offset1:160
	v_mul_u32_u24_sdwa v71, v56, s6 dst_sel:DWORD dst_unused:UNUSED_PAD src0_sel:WORD_0 src1_sel:DWORD
	v_pk_fma_f16 v1, v26, v78, v1
	v_pk_fma_f16 v2, v27, v78, v2
	v_mul_u32_u24_sdwa v21, v56, s6 dst_sel:DWORD dst_unused:UNUSED_PAD src0_sel:WORD_1 src1_sel:DWORD
	s_waitcnt lgkmcnt(2)
	v_pk_fma_f16 v1, v52, v71, v1
	v_pk_fma_f16 v2, v53, v71, v2
	v_mul_u32_u24_sdwa v64, v57, s6 dst_sel:DWORD dst_unused:UNUSED_PAD src0_sel:WORD_0 src1_sel:DWORD
	v_mul_u32_u24_sdwa v65, v57, s6 dst_sel:DWORD dst_unused:UNUSED_PAD src0_sel:WORD_1 src1_sel:DWORD
	v_mul_u32_u24_sdwa v66, v58, s6 dst_sel:DWORD dst_unused:UNUSED_PAD src0_sel:WORD_0 src1_sel:DWORD
	v_mul_u32_u24_sdwa v67, v58, s6 dst_sel:DWORD dst_unused:UNUSED_PAD src0_sel:WORD_1 src1_sel:DWORD
	;; [unrolled: 2-line block ×3, first 2 shown]
	ds_read2_b64 v[56:59], v79 offset0:192 offset1:224
	v_pk_fma_f16 v1, v54, v21, v1
	v_pk_fma_f16 v2, v55, v21, v2
	s_waitcnt lgkmcnt(2)
	v_pk_fma_f16 v1, v44, v64, v1
	v_pk_fma_f16 v2, v45, v64, v2
	v_pk_fma_f16 v1, v46, v65, v1
	v_pk_fma_f16 v2, v47, v65, v2
	s_waitcnt lgkmcnt(1)
	v_pk_fma_f16 v1, v28, v66, v1
	v_pk_fma_f16 v2, v29, v66, v2
	;; [unrolled: 5-line block ×3, first 2 shown]
	v_pk_fma_f16 v25, v58, v80, v1
	v_pk_fma_f16 v26, v59, v80, v2
	v_mov_b32_e32 v20, v15
	s_barrier
.LBB62_29:
	v_cmp_lt_i32_e32 vcc, v11, v9
	v_cndmask_b32_e32 v1, v8, v11, vcc
	v_lshlrev_b32_e32 v1, 2, v1
	ds_bpermute_b32 v1, v1, v20
	v_cmp_lt_i32_e32 vcc, v10, v9
	v_cndmask_b32_e32 v2, v8, v10, vcc
	v_lshlrev_b32_e32 v2, 2, v2
	v_cmp_lt_i32_e32 vcc, v12, v9
	s_waitcnt lgkmcnt(0)
	v_add_f32_e32 v1, v20, v1
	ds_bpermute_b32 v2, v2, v1
	v_cndmask_b32_e32 v3, v8, v12, vcc
	v_lshlrev_b32_e32 v3, 2, v3
	v_cmp_lt_i32_e32 vcc, v13, v9
	s_cmp_eq_u64 s[20:21], 0
	s_waitcnt lgkmcnt(0)
	v_add_f32_e32 v1, v1, v2
	ds_bpermute_b32 v2, v3, v1
	v_cndmask_b32_e32 v3, v8, v13, vcc
	v_lshlrev_b32_e32 v3, 2, v3
	v_cmp_lt_i32_e32 vcc, v14, v9
	s_cselect_b64 s[6:7], -1, 0
	s_waitcnt lgkmcnt(0)
	v_add_f32_e32 v1, v1, v2
	ds_bpermute_b32 v2, v3, v1
	v_cndmask_b32_e32 v3, v8, v14, vcc
	v_lshlrev_b32_e32 v3, 2, v3
	s_cmp_lg_u32 s9, 0
	s_cselect_b64 s[10:11], -1, 0
	s_waitcnt lgkmcnt(0)
	v_add_f32_e32 v1, v1, v2
	ds_bpermute_b32 v2, v3, v1
	s_or_b64 s[6:7], s[10:11], s[6:7]
	s_and_b64 vcc, exec, s[6:7]
	s_waitcnt lgkmcnt(0)
	v_add_f32_e32 v6, v1, v2
	s_cbranch_vccnz .LBB62_31
; %bb.30:
	s_lshl_b64 s[6:7], s[34:35], 2
	s_add_u32 s6, s20, s6
	s_addc_u32 s7, s21, s7
	v_mov_b32_e32 v1, 0
	global_load_dword v1, v1, s[6:7]
	v_max_f32_e32 v2, v5, v5
	s_mov_b32 s6, 0x3fb8aa3b
	s_mov_b32 s7, 0xc2ce8ed0
	s_waitcnt vmcnt(0)
	v_max_f32_e32 v3, v1, v1
	v_max_f32_e32 v2, v2, v3
	v_sub_f32_e32 v3, v5, v2
	v_sub_f32_e32 v1, v1, v2
	v_mul_f32_e32 v4, 0x3fb8aa3b, v3
	v_mul_f32_e32 v5, 0x3fb8aa3b, v1
	v_fma_f32 v7, v3, s6, -v4
	v_rndne_f32_e32 v8, v4
	v_fma_f32 v9, v1, s6, -v5
	v_rndne_f32_e32 v10, v5
	v_fmac_f32_e32 v7, 0x32a5705f, v3
	v_sub_f32_e32 v4, v4, v8
	v_fmac_f32_e32 v9, 0x32a5705f, v1
	v_sub_f32_e32 v5, v5, v10
	v_add_f32_e32 v4, v4, v7
	v_cvt_i32_f32_e32 v8, v8
	v_add_f32_e32 v5, v5, v9
	v_exp_f32_e32 v4, v4
	v_cvt_i32_f32_e32 v10, v10
	v_exp_f32_e32 v5, v5
	v_cmp_ngt_f32_e32 vcc, s7, v3
	v_ldexp_f32 v4, v4, v8
	s_mov_b32 s6, 0x42b17218
	v_ldexp_f32 v5, v5, v10
	v_cndmask_b32_e32 v4, 0, v4, vcc
	v_cmp_ngt_f32_e32 vcc, s7, v1
	v_mov_b32_e32 v7, 0x7f800000
	v_cndmask_b32_e32 v5, 0, v5, vcc
	v_cmp_nlt_f32_e32 vcc, s6, v3
	v_cndmask_b32_e32 v3, v7, v4, vcc
	v_cvt_f16_f32_e32 v4, v3
	v_cmp_nlt_f32_e32 vcc, s6, v1
	v_cndmask_b32_e32 v1, v7, v5, vcc
	v_fmac_f32_e32 v1, v6, v3
	v_mov_b32_e32 v6, v1
	v_mul_u32_u24_e32 v1, 0x10001, v4
	v_pk_mul_f16 v25, v25, v1
	v_pk_mul_f16 v26, v26, v1
	v_mov_b32_e32 v5, v2
.LBB62_31:
	v_cmp_gt_i32_e32 vcc, s30, v22
	s_and_saveexec_b64 s[6:7], vcc
	s_cbranch_execz .LBB62_34
; %bb.32:
	v_div_scale_f32 v1, s[6:7], v6, v6, 1.0
	v_div_scale_f32 v3, vcc, 1.0, v6, 1.0
	s_mul_i32 s33, s33, s30
	v_add_u32_e32 v7, s33, v22
	s_load_dword s4, s[4:5], 0xd4
	v_mul_lo_u32 v7, v7, s31
	v_mov_b32_e32 v2, 0
	v_mov_b32_e32 v8, s25
	v_cvt_f32_f16_sdwa v11, v26 dst_sel:DWORD dst_unused:UNUSED_PAD src0_sel:WORD_1
	s_waitcnt lgkmcnt(0)
	s_cmp_lg_u32 s4, 1
	v_rcp_f32_e32 v4, v1
	v_fma_f32 v9, -v1, v4, 1.0
	v_fmac_f32_e32 v4, v9, v4
	v_mul_f32_e32 v9, v3, v4
	v_fma_f32 v10, -v1, v9, v3
	v_fmac_f32_e32 v9, v10, v4
	v_fma_f32 v1, -v1, v9, v3
	v_div_fmas_f32 v3, v1, v4, v9
	v_cmp_eq_u32_e32 vcc, 0, v0
	v_add_u32_e32 v0, s34, v7
	v_mul_lo_u32 v0, s4, v0
	v_cvt_f32_f16_e32 v4, v25
	v_cvt_f32_f16_sdwa v9, v25 dst_sel:DWORD dst_unused:UNUSED_PAD src0_sel:WORD_1
	v_cvt_f32_f16_e32 v10, v26
	v_add_u32_e32 v0, s9, v0
	v_lshl_add_u32 v1, v0, 7, v23
	v_lshlrev_b64 v[1:2], 2, v[1:2]
	v_add_co_u32_e64 v7, s[4:5], s24, v1
	v_addc_co_u32_e64 v8, s[4:5], v8, v2, s[4:5]
	s_cselect_b64 s[4:5], -1, 0
	v_div_fixup_f32 v1, v3, v6, 1.0
	v_cndmask_b32_e64 v12, v1, 1.0, s[4:5]
	s_and_b64 s[4:5], vcc, s[4:5]
	v_mul_f32_e32 v1, v12, v4
	v_mul_f32_e32 v2, v12, v9
	v_mul_f32_e32 v3, v12, v10
	v_mul_f32_e32 v4, v12, v11
	global_store_dwordx4 v[7:8], v[1:4], off
	s_and_b64 exec, exec, s[4:5]
	s_cbranch_execz .LBB62_34
; %bb.33:
	v_ashrrev_i32_e32 v1, 31, v0
	v_lshlrev_b64 v[0:1], 3, v[0:1]
	v_mov_b32_e32 v2, s27
	v_add_co_u32_e32 v0, vcc, s26, v0
	v_addc_co_u32_e32 v1, vcc, v2, v1, vcc
	global_store_dwordx2 v[0:1], v[5:6], off
.LBB62_34:
	s_endpgm
	.section	.rodata,"a",@progbits
	.p2align	6, 0x0
	.amdhsa_kernel _ZL15flash_attn_tileILi128ELi128ELi8ELi1ELb0EEvPKcS1_S1_S1_S1_PKiPfP15HIP_vector_typeIfLj2EEffffjfiS5_IjLj3EEiiiiiiiiiiiliiliiiiil
		.amdhsa_group_segment_fixed_size 20480
		.amdhsa_private_segment_fixed_size 32
		.amdhsa_kernarg_size 464
		.amdhsa_user_sgpr_count 8
		.amdhsa_user_sgpr_private_segment_buffer 1
		.amdhsa_user_sgpr_dispatch_ptr 0
		.amdhsa_user_sgpr_queue_ptr 0
		.amdhsa_user_sgpr_kernarg_segment_ptr 1
		.amdhsa_user_sgpr_dispatch_id 0
		.amdhsa_user_sgpr_flat_scratch_init 1
		.amdhsa_user_sgpr_private_segment_size 0
		.amdhsa_uses_dynamic_stack 0
		.amdhsa_system_sgpr_private_segment_wavefront_offset 1
		.amdhsa_system_sgpr_workgroup_id_x 1
		.amdhsa_system_sgpr_workgroup_id_y 1
		.amdhsa_system_sgpr_workgroup_id_z 1
		.amdhsa_system_sgpr_workgroup_info 0
		.amdhsa_system_vgpr_workitem_id 1
		.amdhsa_next_free_vgpr 81
		.amdhsa_next_free_sgpr 96
		.amdhsa_reserve_vcc 1
		.amdhsa_reserve_flat_scratch 1
		.amdhsa_float_round_mode_32 0
		.amdhsa_float_round_mode_16_64 0
		.amdhsa_float_denorm_mode_32 3
		.amdhsa_float_denorm_mode_16_64 3
		.amdhsa_dx10_clamp 1
		.amdhsa_ieee_mode 1
		.amdhsa_fp16_overflow 0
		.amdhsa_exception_fp_ieee_invalid_op 0
		.amdhsa_exception_fp_denorm_src 0
		.amdhsa_exception_fp_ieee_div_zero 0
		.amdhsa_exception_fp_ieee_overflow 0
		.amdhsa_exception_fp_ieee_underflow 0
		.amdhsa_exception_fp_ieee_inexact 0
		.amdhsa_exception_int_div_zero 0
	.end_amdhsa_kernel
	.section	.text._ZL15flash_attn_tileILi128ELi128ELi8ELi1ELb0EEvPKcS1_S1_S1_S1_PKiPfP15HIP_vector_typeIfLj2EEffffjfiS5_IjLj3EEiiiiiiiiiiiliiliiiiil,"axG",@progbits,_ZL15flash_attn_tileILi128ELi128ELi8ELi1ELb0EEvPKcS1_S1_S1_S1_PKiPfP15HIP_vector_typeIfLj2EEffffjfiS5_IjLj3EEiiiiiiiiiiiliiliiiiil,comdat
.Lfunc_end62:
	.size	_ZL15flash_attn_tileILi128ELi128ELi8ELi1ELb0EEvPKcS1_S1_S1_S1_PKiPfP15HIP_vector_typeIfLj2EEffffjfiS5_IjLj3EEiiiiiiiiiiiliiliiiiil, .Lfunc_end62-_ZL15flash_attn_tileILi128ELi128ELi8ELi1ELb0EEvPKcS1_S1_S1_S1_PKiPfP15HIP_vector_typeIfLj2EEffffjfiS5_IjLj3EEiiiiiiiiiiiliiliiiiil
                                        ; -- End function
	.set _ZL15flash_attn_tileILi128ELi128ELi8ELi1ELb0EEvPKcS1_S1_S1_S1_PKiPfP15HIP_vector_typeIfLj2EEffffjfiS5_IjLj3EEiiiiiiiiiiiliiliiiiil.num_vgpr, 81
	.set _ZL15flash_attn_tileILi128ELi128ELi8ELi1ELb0EEvPKcS1_S1_S1_S1_PKiPfP15HIP_vector_typeIfLj2EEffffjfiS5_IjLj3EEiiiiiiiiiiiliiliiiiil.num_agpr, 0
	.set _ZL15flash_attn_tileILi128ELi128ELi8ELi1ELb0EEvPKcS1_S1_S1_S1_PKiPfP15HIP_vector_typeIfLj2EEffffjfiS5_IjLj3EEiiiiiiiiiiiliiliiiiil.numbered_sgpr, 52
	.set _ZL15flash_attn_tileILi128ELi128ELi8ELi1ELb0EEvPKcS1_S1_S1_S1_PKiPfP15HIP_vector_typeIfLj2EEffffjfiS5_IjLj3EEiiiiiiiiiiiliiliiiiil.num_named_barrier, 0
	.set _ZL15flash_attn_tileILi128ELi128ELi8ELi1ELb0EEvPKcS1_S1_S1_S1_PKiPfP15HIP_vector_typeIfLj2EEffffjfiS5_IjLj3EEiiiiiiiiiiiliiliiiiil.private_seg_size, 32
	.set _ZL15flash_attn_tileILi128ELi128ELi8ELi1ELb0EEvPKcS1_S1_S1_S1_PKiPfP15HIP_vector_typeIfLj2EEffffjfiS5_IjLj3EEiiiiiiiiiiiliiliiiiil.uses_vcc, 1
	.set _ZL15flash_attn_tileILi128ELi128ELi8ELi1ELb0EEvPKcS1_S1_S1_S1_PKiPfP15HIP_vector_typeIfLj2EEffffjfiS5_IjLj3EEiiiiiiiiiiiliiliiiiil.uses_flat_scratch, 1
	.set _ZL15flash_attn_tileILi128ELi128ELi8ELi1ELb0EEvPKcS1_S1_S1_S1_PKiPfP15HIP_vector_typeIfLj2EEffffjfiS5_IjLj3EEiiiiiiiiiiiliiliiiiil.has_dyn_sized_stack, 0
	.set _ZL15flash_attn_tileILi128ELi128ELi8ELi1ELb0EEvPKcS1_S1_S1_S1_PKiPfP15HIP_vector_typeIfLj2EEffffjfiS5_IjLj3EEiiiiiiiiiiiliiliiiiil.has_recursion, 0
	.set _ZL15flash_attn_tileILi128ELi128ELi8ELi1ELb0EEvPKcS1_S1_S1_S1_PKiPfP15HIP_vector_typeIfLj2EEffffjfiS5_IjLj3EEiiiiiiiiiiiliiliiiiil.has_indirect_call, 0
	.section	.AMDGPU.csdata,"",@progbits
; Kernel info:
; codeLenInByte = 13224
; TotalNumSgprs: 58
; NumVgprs: 81
; ScratchSize: 32
; MemoryBound: 0
; FloatMode: 240
; IeeeMode: 1
; LDSByteSize: 20480 bytes/workgroup (compile time only)
; SGPRBlocks: 12
; VGPRBlocks: 20
; NumSGPRsForWavesPerEU: 102
; NumVGPRsForWavesPerEU: 81
; Occupancy: 3
; WaveLimiterHint : 1
; COMPUTE_PGM_RSRC2:SCRATCH_EN: 1
; COMPUTE_PGM_RSRC2:USER_SGPR: 8
; COMPUTE_PGM_RSRC2:TRAP_HANDLER: 0
; COMPUTE_PGM_RSRC2:TGID_X_EN: 1
; COMPUTE_PGM_RSRC2:TGID_Y_EN: 1
; COMPUTE_PGM_RSRC2:TGID_Z_EN: 1
; COMPUTE_PGM_RSRC2:TIDIG_COMP_CNT: 1
	.section	.text._ZL33flash_attn_stream_k_fixup_uniformILi128ELi8ELi1EEvPfPK15HIP_vector_typeIfLj2EEiiiiiiS1_IjLj3EES5_S5_,"axG",@progbits,_ZL33flash_attn_stream_k_fixup_uniformILi128ELi8ELi1EEvPfPK15HIP_vector_typeIfLj2EEiiiiiiS1_IjLj3EES5_S5_,comdat
	.globl	_ZL33flash_attn_stream_k_fixup_uniformILi128ELi8ELi1EEvPfPK15HIP_vector_typeIfLj2EEiiiiiiS1_IjLj3EES5_S5_ ; -- Begin function _ZL33flash_attn_stream_k_fixup_uniformILi128ELi8ELi1EEvPfPK15HIP_vector_typeIfLj2EEiiiiiiS1_IjLj3EES5_S5_
	.p2align	8
	.type	_ZL33flash_attn_stream_k_fixup_uniformILi128ELi8ELi1EEvPfPK15HIP_vector_typeIfLj2EEiiiiiiS1_IjLj3EES5_S5_,@function
_ZL33flash_attn_stream_k_fixup_uniformILi128ELi8ELi1EEvPfPK15HIP_vector_typeIfLj2EEiiiiiiS1_IjLj3EES5_S5_: ; @_ZL33flash_attn_stream_k_fixup_uniformILi128ELi8ELi1EEvPfPK15HIP_vector_typeIfLj2EEiiiiiiS1_IjLj3EES5_S5_
; %bb.0:
	s_load_dwordx8 s[12:19], s[4:5], 0x1c
	s_load_dwordx2 s[10:11], s[4:5], 0x10
	s_load_dwordx4 s[0:3], s[4:5], 0x3c
	s_waitcnt lgkmcnt(0)
	s_mul_hi_u32 s9, s15, s6
	s_add_i32 s9, s6, s9
	s_lshr_b32 s9, s9, s16
	s_mul_i32 s15, s9, s17
	s_sub_i32 s15, s6, s15
	s_mul_hi_u32 s16, s15, s18
	s_add_i32 s16, s15, s16
	s_lshr_b32 s16, s16, s19
	s_mul_i32 s0, s16, s0
	s_sub_i32 s0, s15, s0
	;; [unrolled: 5-line block ×3, first 2 shown]
	s_lshl_b32 s0, s17, 3
	s_add_i32 s0, s0, s7
	s_cmp_lt_i32 s0, s10
	s_cselect_b64 s[0:1], -1, 0
	s_add_i32 s2, s15, s8
	s_cmp_lt_i32 s2, s13
	s_cselect_b64 s[2:3], -1, 0
	s_and_b64 s[0:1], s[0:1], s[2:3]
	s_andn2_b64 vcc, exec, s[0:1]
	s_cbranch_vccnz .LBB63_6
; %bb.1:
	s_load_dwordx4 s[0:3], s[4:5], 0x0
	s_mul_i32 s4, s9, s10
	s_add_i32 s4, s4, s7
	s_mul_i32 s4, s4, s11
	s_mul_i32 s16, s16, s13
	s_add_i32 s4, s4, s8
	s_add_i32 s4, s4, s16
	s_mul_i32 s5, s11, s17
	s_add_i32 s4, s4, s15
	s_lshl_b32 s5, s5, 10
	s_lshl_b32 s4, s4, 7
	s_add_i32 s5, s5, s4
	v_or_b32_e32 v1, s5, v0
	v_ashrrev_i32_e32 v2, 31, v1
	v_lshlrev_b64 v[1:2], 2, v[1:2]
	s_waitcnt lgkmcnt(0)
	v_mov_b32_e32 v3, s1
	v_add_co_u32_e32 v1, vcc, s0, v1
	v_addc_co_u32_e32 v2, vcc, v3, v2, vcc
	global_load_dword v8, v[1:2], off
	s_add_i32 s4, s7, s8
	s_mul_i32 s7, s14, s6
	s_add_i32 s5, s7, s14
	s_lshl_b32 s0, s5, 3
	s_add_i32 s0, s4, s0
	s_add_i32 s0, s0, -8
	s_ashr_i32 s1, s0, 31
	s_lshl_b64 s[0:1], s[0:1], 3
	s_add_u32 s0, s2, s0
	s_addc_u32 s1, s3, s1
	s_load_dword s10, s[0:1], 0x4
	s_add_i32 s8, s5, -2
	s_cmp_lt_i32 s8, s7
	s_cbranch_scc1 .LBB63_4
; %bb.2:
	s_lshl_b32 s8, s12, 5
	s_ashr_i32 s9, s8, 31
	s_lshl_b64 s[8:9], s[8:9], 2
	s_add_u32 s8, s2, s8
	s_addc_u32 s11, s3, s9
	s_add_i32 s6, s6, 1
	s_add_i32 s9, s5, -1
	s_mul_i32 s5, s14, s6
	s_load_dword s0, s[0:1], 0x0
	s_lshl_b32 s1, s4, 7
	s_lshl_b32 s6, s5, 10
	s_add_i32 s1, s1, s6
	v_or_b32_e32 v0, s1, v0
	s_lshl_b32 s1, s5, 3
	s_add_i32 s1, s4, s1
	s_lshl_b32 s4, s12, 3
	s_add_i32 s1, s1, s4
	v_add_u32_e32 v3, 0xfffff800, v0
	s_add_i32 s4, s1, -16
	s_waitcnt lgkmcnt(0)
	v_mov_b32_e32 v7, s10
	v_mov_b32_e32 v6, s0
	;; [unrolled: 1-line block ×3, first 2 shown]
	s_mov_b32 s6, 0x3fb8aa3b
	s_mov_b32 s10, 0xc2ce8ed0
	;; [unrolled: 1-line block ×3, first 2 shown]
	v_mov_b32_e32 v5, 0x7f800000
	s_mov_b32 s12, 0xc1a00000
.LBB63_3:                               ; =>This Inner Loop Header: Depth=1
	v_ashrrev_i32_e32 v4, 31, v3
	v_lshlrev_b64 v[9:10], 2, v[3:4]
	s_ashr_i32 s5, s4, 31
	v_add_co_u32_e32 v9, vcc, s8, v9
	v_addc_co_u32_e32 v10, vcc, v0, v10, vcc
	global_load_dword v4, v[9:10], off
	s_lshl_b64 s[0:1], s[4:5], 3
	s_add_u32 s0, s2, s0
	s_addc_u32 s1, s3, s1
	s_load_dwordx2 s[14:15], s[0:1], 0x0
	s_waitcnt vmcnt(1)
	v_mov_b32_e32 v9, v8
	v_max_f32_e32 v8, v6, v6
	v_mov_b32_e32 v10, v7
	s_add_i32 s9, s9, -1
	s_waitcnt lgkmcnt(0)
	v_max_f32_e64 v7, s14, s14
	v_max_f32_e32 v7, v8, v7
	v_sub_f32_e32 v11, s14, v7
	v_sub_f32_e32 v8, v6, v7
	v_mul_f32_e32 v12, 0x3fb8aa3b, v11
	v_mov_b32_e32 v6, v7
	v_mul_f32_e32 v7, 0x3fb8aa3b, v8
	v_fma_f32 v15, v11, s6, -v12
	v_rndne_f32_e32 v16, v12
	v_fma_f32 v13, v8, s6, -v7
	v_rndne_f32_e32 v14, v7
	v_fmac_f32_e32 v15, 0x32a5705f, v11
	v_sub_f32_e32 v12, v12, v16
	v_fmac_f32_e32 v13, 0x32a5705f, v8
	v_sub_f32_e32 v7, v7, v14
	v_add_f32_e32 v12, v12, v15
	v_cvt_i32_f32_e32 v16, v16
	v_add_f32_e32 v7, v7, v13
	v_exp_f32_e32 v12, v12
	v_cvt_i32_f32_e32 v14, v14
	v_exp_f32_e32 v7, v7
	v_cmp_ngt_f32_e32 vcc, s10, v11
	v_ldexp_f32 v12, v12, v16
	v_cmp_ngt_f32_e64 s[0:1], s10, v8
	v_ldexp_f32 v7, v7, v14
	v_cndmask_b32_e32 v12, 0, v12, vcc
	v_cmp_nlt_f32_e32 vcc, s11, v11
	v_cndmask_b32_e64 v7, 0, v7, s[0:1]
	v_cmp_nlt_f32_e64 s[0:1], s11, v8
	v_cndmask_b32_e32 v12, v5, v12, vcc
	v_cmp_le_f32_e32 vcc, s12, v11
	v_cndmask_b32_e64 v7, v5, v7, s[0:1]
	v_cmp_le_f32_e64 s[0:1], s12, v8
	v_cndmask_b32_e32 v8, 0, v12, vcc
	s_add_i32 s4, s4, -8
	v_cndmask_b32_e64 v11, 0, v7, s[0:1]
	v_mul_f32_e32 v7, s15, v8
	v_add_u32_e32 v3, 0xfffffc00, v3
	s_cmp_le_i32 s9, s7
	v_fmac_f32_e32 v7, v10, v11
	s_waitcnt vmcnt(0)
	v_mul_f32_e32 v8, v4, v8
	v_fmac_f32_e32 v8, v9, v11
	s_cbranch_scc0 .LBB63_3
	s_branch .LBB63_5
.LBB63_4:
	s_waitcnt lgkmcnt(0)
	v_mov_b32_e32 v7, s10
.LBB63_5:
	s_waitcnt vmcnt(0)
	v_div_scale_f32 v0, s[0:1], v7, v7, v8
	v_div_scale_f32 v3, vcc, v8, v7, v8
	v_rcp_f32_e32 v4, v0
	v_fma_f32 v5, -v0, v4, 1.0
	v_fmac_f32_e32 v4, v5, v4
	v_mul_f32_e32 v5, v3, v4
	v_fma_f32 v6, -v0, v5, v3
	v_fmac_f32_e32 v5, v6, v4
	v_fma_f32 v0, -v0, v5, v3
	v_div_fmas_f32 v0, v0, v4, v5
	v_div_fixup_f32 v0, v0, v7, v8
	global_store_dword v[1:2], v0, off
.LBB63_6:
	s_endpgm
	.section	.rodata,"a",@progbits
	.p2align	6, 0x0
	.amdhsa_kernel _ZL33flash_attn_stream_k_fixup_uniformILi128ELi8ELi1EEvPfPK15HIP_vector_typeIfLj2EEiiiiiiS1_IjLj3EES5_S5_
		.amdhsa_group_segment_fixed_size 0
		.amdhsa_private_segment_fixed_size 0
		.amdhsa_kernarg_size 76
		.amdhsa_user_sgpr_count 6
		.amdhsa_user_sgpr_private_segment_buffer 1
		.amdhsa_user_sgpr_dispatch_ptr 0
		.amdhsa_user_sgpr_queue_ptr 0
		.amdhsa_user_sgpr_kernarg_segment_ptr 1
		.amdhsa_user_sgpr_dispatch_id 0
		.amdhsa_user_sgpr_flat_scratch_init 0
		.amdhsa_user_sgpr_private_segment_size 0
		.amdhsa_uses_dynamic_stack 0
		.amdhsa_system_sgpr_private_segment_wavefront_offset 0
		.amdhsa_system_sgpr_workgroup_id_x 1
		.amdhsa_system_sgpr_workgroup_id_y 1
		.amdhsa_system_sgpr_workgroup_id_z 1
		.amdhsa_system_sgpr_workgroup_info 0
		.amdhsa_system_vgpr_workitem_id 0
		.amdhsa_next_free_vgpr 17
		.amdhsa_next_free_sgpr 20
		.amdhsa_reserve_vcc 1
		.amdhsa_reserve_flat_scratch 0
		.amdhsa_float_round_mode_32 0
		.amdhsa_float_round_mode_16_64 0
		.amdhsa_float_denorm_mode_32 3
		.amdhsa_float_denorm_mode_16_64 3
		.amdhsa_dx10_clamp 1
		.amdhsa_ieee_mode 1
		.amdhsa_fp16_overflow 0
		.amdhsa_exception_fp_ieee_invalid_op 0
		.amdhsa_exception_fp_denorm_src 0
		.amdhsa_exception_fp_ieee_div_zero 0
		.amdhsa_exception_fp_ieee_overflow 0
		.amdhsa_exception_fp_ieee_underflow 0
		.amdhsa_exception_fp_ieee_inexact 0
		.amdhsa_exception_int_div_zero 0
	.end_amdhsa_kernel
	.section	.text._ZL33flash_attn_stream_k_fixup_uniformILi128ELi8ELi1EEvPfPK15HIP_vector_typeIfLj2EEiiiiiiS1_IjLj3EES5_S5_,"axG",@progbits,_ZL33flash_attn_stream_k_fixup_uniformILi128ELi8ELi1EEvPfPK15HIP_vector_typeIfLj2EEiiiiiiS1_IjLj3EES5_S5_,comdat
.Lfunc_end63:
	.size	_ZL33flash_attn_stream_k_fixup_uniformILi128ELi8ELi1EEvPfPK15HIP_vector_typeIfLj2EEiiiiiiS1_IjLj3EES5_S5_, .Lfunc_end63-_ZL33flash_attn_stream_k_fixup_uniformILi128ELi8ELi1EEvPfPK15HIP_vector_typeIfLj2EEiiiiiiS1_IjLj3EES5_S5_
                                        ; -- End function
	.set _ZL33flash_attn_stream_k_fixup_uniformILi128ELi8ELi1EEvPfPK15HIP_vector_typeIfLj2EEiiiiiiS1_IjLj3EES5_S5_.num_vgpr, 17
	.set _ZL33flash_attn_stream_k_fixup_uniformILi128ELi8ELi1EEvPfPK15HIP_vector_typeIfLj2EEiiiiiiS1_IjLj3EES5_S5_.num_agpr, 0
	.set _ZL33flash_attn_stream_k_fixup_uniformILi128ELi8ELi1EEvPfPK15HIP_vector_typeIfLj2EEiiiiiiS1_IjLj3EES5_S5_.numbered_sgpr, 20
	.set _ZL33flash_attn_stream_k_fixup_uniformILi128ELi8ELi1EEvPfPK15HIP_vector_typeIfLj2EEiiiiiiS1_IjLj3EES5_S5_.num_named_barrier, 0
	.set _ZL33flash_attn_stream_k_fixup_uniformILi128ELi8ELi1EEvPfPK15HIP_vector_typeIfLj2EEiiiiiiS1_IjLj3EES5_S5_.private_seg_size, 0
	.set _ZL33flash_attn_stream_k_fixup_uniformILi128ELi8ELi1EEvPfPK15HIP_vector_typeIfLj2EEiiiiiiS1_IjLj3EES5_S5_.uses_vcc, 1
	.set _ZL33flash_attn_stream_k_fixup_uniformILi128ELi8ELi1EEvPfPK15HIP_vector_typeIfLj2EEiiiiiiS1_IjLj3EES5_S5_.uses_flat_scratch, 0
	.set _ZL33flash_attn_stream_k_fixup_uniformILi128ELi8ELi1EEvPfPK15HIP_vector_typeIfLj2EEiiiiiiS1_IjLj3EES5_S5_.has_dyn_sized_stack, 0
	.set _ZL33flash_attn_stream_k_fixup_uniformILi128ELi8ELi1EEvPfPK15HIP_vector_typeIfLj2EEiiiiiiS1_IjLj3EES5_S5_.has_recursion, 0
	.set _ZL33flash_attn_stream_k_fixup_uniformILi128ELi8ELi1EEvPfPK15HIP_vector_typeIfLj2EEiiiiiiS1_IjLj3EES5_S5_.has_indirect_call, 0
	.section	.AMDGPU.csdata,"",@progbits
; Kernel info:
; codeLenInByte = 836
; TotalNumSgprs: 24
; NumVgprs: 17
; ScratchSize: 0
; MemoryBound: 0
; FloatMode: 240
; IeeeMode: 1
; LDSByteSize: 0 bytes/workgroup (compile time only)
; SGPRBlocks: 2
; VGPRBlocks: 4
; NumSGPRsForWavesPerEU: 24
; NumVGPRsForWavesPerEU: 17
; Occupancy: 10
; WaveLimiterHint : 0
; COMPUTE_PGM_RSRC2:SCRATCH_EN: 0
; COMPUTE_PGM_RSRC2:USER_SGPR: 6
; COMPUTE_PGM_RSRC2:TRAP_HANDLER: 0
; COMPUTE_PGM_RSRC2:TGID_X_EN: 1
; COMPUTE_PGM_RSRC2:TGID_Y_EN: 1
; COMPUTE_PGM_RSRC2:TGID_Z_EN: 1
; COMPUTE_PGM_RSRC2:TIDIG_COMP_CNT: 0
	.section	.text._ZL33flash_attn_stream_k_fixup_generalILi128ELi8ELi1EEvPfPK15HIP_vector_typeIfLj2EEiiiiS1_IjLj3EES5_S5_S5_,"axG",@progbits,_ZL33flash_attn_stream_k_fixup_generalILi128ELi8ELi1EEvPfPK15HIP_vector_typeIfLj2EEiiiiS1_IjLj3EES5_S5_S5_,comdat
	.globl	_ZL33flash_attn_stream_k_fixup_generalILi128ELi8ELi1EEvPfPK15HIP_vector_typeIfLj2EEiiiiS1_IjLj3EES5_S5_S5_ ; -- Begin function _ZL33flash_attn_stream_k_fixup_generalILi128ELi8ELi1EEvPfPK15HIP_vector_typeIfLj2EEiiiiS1_IjLj3EES5_S5_S5_
	.p2align	8
	.type	_ZL33flash_attn_stream_k_fixup_generalILi128ELi8ELi1EEvPfPK15HIP_vector_typeIfLj2EEiiiiS1_IjLj3EES5_S5_S5_,@function
_ZL33flash_attn_stream_k_fixup_generalILi128ELi8ELi1EEvPfPK15HIP_vector_typeIfLj2EEiiiiS1_IjLj3EES5_S5_S5_: ; @_ZL33flash_attn_stream_k_fixup_generalILi128ELi8ELi1EEvPfPK15HIP_vector_typeIfLj2EEiiiiS1_IjLj3EES5_S5_S5_
; %bb.0:
	s_load_dwordx4 s[0:3], s[4:5], 0x10
	s_load_dword s22, s[4:5], 0x50
	s_mov_b32 s12, 0
	s_waitcnt lgkmcnt(0)
	s_mul_hi_i32 s13, s3, s6
	s_cmp_lg_u64 s[12:13], 0
	s_mul_i32 s9, s3, s6
	s_cbranch_scc0 .LBB64_20
; %bb.1:
	s_add_u32 s10, s22, 0
	s_addc_u32 s11, 0, 0
	s_xor_b64 s[10:11], s[10:11], 0
	v_cvt_f32_u32_e32 v1, s10
	v_cvt_f32_u32_e32 v2, s11
	s_sub_u32 s12, 0, s10
	s_subb_u32 s18, 0, s11
	v_madmk_f32 v1, v2, 0x4f800000, v1
	v_rcp_f32_e32 v1, v1
	v_mul_f32_e32 v1, 0x5f7ffffc, v1
	v_mul_f32_e32 v2, 0x2f800000, v1
	v_trunc_f32_e32 v2, v2
	v_madmk_f32 v1, v2, 0xcf800000, v1
	v_cvt_u32_f32_e32 v2, v2
	v_cvt_u32_f32_e32 v1, v1
	v_readfirstlane_b32 s19, v2
	v_readfirstlane_b32 s14, v1
	s_mul_i32 s15, s12, s19
	s_mul_hi_u32 s21, s12, s14
	s_mul_i32 s20, s18, s14
	s_add_i32 s15, s21, s15
	s_add_i32 s15, s15, s20
	s_mul_i32 s23, s12, s14
	s_mul_i32 s21, s14, s15
	s_mul_hi_u32 s24, s14, s23
	s_mul_hi_u32 s20, s14, s15
	s_add_u32 s21, s24, s21
	s_addc_u32 s20, 0, s20
	s_mul_hi_u32 s25, s19, s23
	s_mul_i32 s23, s19, s23
	s_add_u32 s21, s21, s23
	s_mul_hi_u32 s24, s19, s15
	s_addc_u32 s20, s20, s25
	s_addc_u32 s21, s24, 0
	s_mul_i32 s15, s19, s15
	s_add_u32 s15, s20, s15
	s_addc_u32 s20, 0, s21
	s_add_u32 s21, s14, s15
	s_cselect_b64 s[14:15], -1, 0
	s_cmp_lg_u64 s[14:15], 0
	s_addc_u32 s19, s19, s20
	s_mul_i32 s14, s12, s19
	s_mul_hi_u32 s15, s12, s21
	s_add_i32 s14, s15, s14
	s_mul_i32 s18, s18, s21
	s_add_i32 s14, s14, s18
	s_mul_i32 s12, s12, s21
	s_mul_hi_u32 s18, s19, s12
	s_mul_i32 s20, s19, s12
	s_mul_i32 s24, s21, s14
	s_mul_hi_u32 s12, s21, s12
	s_mul_hi_u32 s23, s21, s14
	s_add_u32 s12, s12, s24
	s_addc_u32 s23, 0, s23
	s_add_u32 s12, s12, s20
	s_mul_hi_u32 s15, s19, s14
	s_addc_u32 s12, s23, s18
	s_addc_u32 s15, s15, 0
	s_mul_i32 s14, s19, s14
	s_add_u32 s12, s12, s14
	s_addc_u32 s18, 0, s15
	s_add_u32 s20, s21, s12
	s_cselect_b64 s[14:15], -1, 0
	s_cmp_lg_u64 s[14:15], 0
	s_addc_u32 s18, s19, s18
	s_ashr_i32 s14, s13, 31
	s_add_u32 s12, s9, s14
	s_mov_b32 s15, s14
	s_addc_u32 s13, s13, s14
	s_xor_b64 s[12:13], s[12:13], s[14:15]
	s_mul_i32 s21, s12, s18
	s_mul_hi_u32 s23, s12, s20
	s_mul_hi_u32 s19, s12, s18
	s_add_u32 s21, s23, s21
	s_addc_u32 s19, 0, s19
	s_mul_hi_u32 s24, s13, s20
	s_mul_i32 s20, s13, s20
	s_add_u32 s20, s21, s20
	s_mul_hi_u32 s23, s13, s18
	s_addc_u32 s19, s19, s24
	s_addc_u32 s20, s23, 0
	s_mul_i32 s18, s13, s18
	s_add_u32 s23, s19, s18
	s_addc_u32 s24, 0, s20
	s_mul_i32 s18, s10, s24
	s_mul_hi_u32 s19, s10, s23
	s_add_i32 s18, s19, s18
	s_mul_i32 s19, s11, s23
	s_add_i32 s25, s18, s19
	s_sub_i32 s20, s13, s25
	s_mul_i32 s18, s10, s23
	s_sub_u32 s12, s12, s18
	s_cselect_b64 s[18:19], -1, 0
	s_cmp_lg_u64 s[18:19], 0
	s_subb_u32 s26, s20, s11
	s_sub_u32 s27, s12, s10
	s_cselect_b64 s[20:21], -1, 0
	s_cmp_lg_u64 s[20:21], 0
	s_subb_u32 s20, s26, 0
	s_cmp_ge_u32 s20, s11
	s_cselect_b32 s21, -1, 0
	s_cmp_ge_u32 s27, s10
	s_cselect_b32 s26, -1, 0
	s_cmp_eq_u32 s20, s11
	s_cselect_b32 s20, s26, s21
	s_add_u32 s21, s23, 1
	s_addc_u32 s26, s24, 0
	s_add_u32 s27, s23, 2
	s_addc_u32 s28, s24, 0
	s_cmp_lg_u32 s20, 0
	s_cselect_b32 s20, s27, s21
	s_cselect_b32 s21, s28, s26
	s_cmp_lg_u64 s[18:19], 0
	s_subb_u32 s13, s13, s25
	s_cmp_ge_u32 s13, s11
	s_cselect_b32 s18, -1, 0
	s_cmp_ge_u32 s12, s10
	s_cselect_b32 s10, -1, 0
	s_cmp_eq_u32 s13, s11
	s_cselect_b32 s10, s10, s18
	s_cmp_lg_u32 s10, 0
	s_cselect_b32 s11, s21, s24
	s_cselect_b32 s10, s20, s23
	s_xor_b64 s[12:13], s[14:15], 0
	s_xor_b64 s[10:11], s[10:11], s[12:13]
	s_sub_u32 s10, s10, s12
	s_load_dwordx4 s[12:15], s[4:5], 0x44
	s_cbranch_execnz .LBB64_3
.LBB64_2:
	v_cvt_f32_u32_e32 v1, s22
	s_sub_i32 s10, 0, s22
	v_rcp_iflag_f32_e32 v1, v1
	v_mul_f32_e32 v1, 0x4f7ffffe, v1
	v_cvt_u32_f32_e32 v1, v1
	v_readfirstlane_b32 s11, v1
	s_mul_i32 s10, s10, s11
	s_mul_hi_u32 s10, s11, s10
	s_add_i32 s11, s11, s10
	s_mul_hi_u32 s10, s9, s11
	s_waitcnt lgkmcnt(0)
	s_mul_i32 s15, s10, s22
	s_sub_i32 s9, s9, s15
	s_add_i32 s11, s10, 1
	s_sub_i32 s15, s9, s22
	s_cmp_ge_u32 s9, s22
	s_cselect_b32 s10, s11, s10
	s_cselect_b32 s9, s15, s9
	s_add_i32 s11, s10, 1
	s_cmp_ge_u32 s9, s22
	s_cselect_b32 s10, s11, s10
.LBB64_3:
	s_add_i32 s9, s6, 1
	s_mul_hi_i32 s21, s3, s9
	s_mov_b32 s20, 0
	s_cmp_lg_u64 s[20:21], 0
	s_mul_i32 s9, s3, s9
	s_cbranch_scc0 .LBB64_21
; %bb.4:
	s_add_u32 s16, s22, 0
	s_addc_u32 s17, 0, 0
	s_xor_b64 s[18:19], s[16:17], 0
	v_cvt_f32_u32_e32 v1, s18
	v_cvt_f32_u32_e32 v2, s19
	s_sub_u32 s11, 0, s18
	s_waitcnt lgkmcnt(0)
	s_subb_u32 s15, 0, s19
	v_madmk_f32 v1, v2, 0x4f800000, v1
	v_rcp_f32_e32 v1, v1
	v_mul_f32_e32 v1, 0x5f7ffffc, v1
	v_mul_f32_e32 v2, 0x2f800000, v1
	v_trunc_f32_e32 v2, v2
	v_madmk_f32 v1, v2, 0xcf800000, v1
	v_cvt_u32_f32_e32 v2, v2
	v_cvt_u32_f32_e32 v1, v1
	v_readfirstlane_b32 s20, v2
	v_readfirstlane_b32 s23, v1
	s_mul_i32 s24, s11, s20
	s_mul_hi_u32 s26, s11, s23
	s_mul_i32 s25, s15, s23
	s_add_i32 s24, s26, s24
	s_add_i32 s24, s24, s25
	s_mul_i32 s27, s11, s23
	s_mul_i32 s26, s23, s24
	s_mul_hi_u32 s28, s23, s27
	s_mul_hi_u32 s25, s23, s24
	s_add_u32 s26, s28, s26
	s_addc_u32 s25, 0, s25
	s_mul_hi_u32 s29, s20, s27
	s_mul_i32 s27, s20, s27
	s_add_u32 s26, s26, s27
	s_mul_hi_u32 s28, s20, s24
	s_addc_u32 s25, s25, s29
	s_addc_u32 s26, s28, 0
	s_mul_i32 s24, s20, s24
	s_add_u32 s24, s25, s24
	s_addc_u32 s26, 0, s26
	s_add_u32 s23, s23, s24
	s_cselect_b64 s[24:25], -1, 0
	s_cmp_lg_u64 s[24:25], 0
	s_addc_u32 s20, s20, s26
	s_mul_i32 s24, s11, s20
	s_mul_hi_u32 s25, s11, s23
	s_add_i32 s24, s25, s24
	s_mul_i32 s15, s15, s23
	s_add_i32 s24, s24, s15
	s_mul_i32 s11, s11, s23
	s_mul_hi_u32 s25, s20, s11
	s_mul_i32 s26, s20, s11
	s_mul_i32 s28, s23, s24
	s_mul_hi_u32 s11, s23, s11
	s_mul_hi_u32 s27, s23, s24
	s_add_u32 s11, s11, s28
	s_addc_u32 s27, 0, s27
	s_add_u32 s11, s11, s26
	s_mul_hi_u32 s15, s20, s24
	s_addc_u32 s11, s27, s25
	s_addc_u32 s15, s15, 0
	s_mul_i32 s24, s20, s24
	s_add_u32 s11, s11, s24
	s_addc_u32 s15, 0, s15
	s_add_u32 s11, s23, s11
	s_cselect_b64 s[24:25], -1, 0
	s_cmp_lg_u64 s[24:25], 0
	s_addc_u32 s15, s20, s15
	s_ashr_i32 s24, s21, 31
	s_add_u32 s20, s9, s24
	s_mov_b32 s25, s24
	s_addc_u32 s21, s21, s24
	s_xor_b64 s[20:21], s[20:21], s[24:25]
	s_mul_i32 s26, s20, s15
	s_mul_hi_u32 s27, s20, s11
	s_mul_hi_u32 s23, s20, s15
	s_add_u32 s26, s27, s26
	s_addc_u32 s23, 0, s23
	s_mul_hi_u32 s28, s21, s11
	s_mul_i32 s11, s21, s11
	s_add_u32 s11, s26, s11
	s_mul_hi_u32 s27, s21, s15
	s_addc_u32 s11, s23, s28
	s_addc_u32 s23, s27, 0
	s_mul_i32 s15, s21, s15
	s_add_u32 s11, s11, s15
	s_addc_u32 s15, 0, s23
	s_mul_i32 s23, s18, s15
	s_mul_hi_u32 s26, s18, s11
	s_add_i32 s23, s26, s23
	s_mul_i32 s26, s19, s11
	s_add_i32 s23, s23, s26
	s_sub_i32 s28, s21, s23
	s_mul_i32 s26, s18, s11
	s_sub_u32 s20, s20, s26
	s_cselect_b64 s[26:27], -1, 0
	s_cmp_lg_u64 s[26:27], 0
	s_subb_u32 s30, s28, s19
	s_sub_u32 s31, s20, s18
	s_cselect_b64 s[28:29], -1, 0
	s_cmp_lg_u64 s[28:29], 0
	s_subb_u32 s28, s30, 0
	s_cmp_ge_u32 s28, s19
	s_cselect_b32 s29, -1, 0
	s_cmp_ge_u32 s31, s18
	s_cselect_b32 s30, -1, 0
	s_cmp_eq_u32 s28, s19
	s_cselect_b32 s28, s30, s29
	s_add_u32 s29, s11, 1
	s_addc_u32 s30, s15, 0
	s_add_u32 s31, s11, 2
	s_addc_u32 s33, s15, 0
	s_cmp_lg_u32 s28, 0
	s_cselect_b32 s28, s31, s29
	s_cselect_b32 s29, s33, s30
	s_cmp_lg_u64 s[26:27], 0
	s_subb_u32 s21, s21, s23
	s_cmp_ge_u32 s21, s19
	s_cselect_b32 s23, -1, 0
	s_cmp_ge_u32 s20, s18
	s_cselect_b32 s18, -1, 0
	s_cmp_eq_u32 s21, s19
	s_cselect_b32 s18, s18, s23
	s_cmp_lg_u32 s18, 0
	s_cselect_b32 s19, s29, s15
	s_cselect_b32 s18, s28, s11
	s_xor_b64 s[20:21], s[24:25], 0
	s_xor_b64 s[18:19], s[18:19], s[20:21]
	s_sub_u32 s18, s18, s20
	s_cbranch_execnz .LBB64_6
.LBB64_5:
	v_cvt_f32_u32_e32 v1, s22
	s_sub_i32 s11, 0, s22
	v_rcp_iflag_f32_e32 v1, v1
	v_mul_f32_e32 v1, 0x4f7ffffe, v1
	v_cvt_u32_f32_e32 v1, v1
	s_waitcnt lgkmcnt(0)
	v_readfirstlane_b32 s15, v1
	s_mul_i32 s11, s11, s15
	s_mul_hi_u32 s11, s15, s11
	s_add_i32 s15, s15, s11
	s_mul_hi_u32 s11, s9, s15
	s_mul_i32 s16, s11, s22
	s_sub_i32 s9, s9, s16
	s_add_i32 s15, s11, 1
	s_sub_i32 s16, s9, s22
	s_cmp_ge_u32 s9, s22
	s_cselect_b32 s11, s15, s11
	s_cselect_b32 s9, s16, s9
	s_add_i32 s15, s11, 1
	s_cmp_ge_u32 s9, s22
	s_cselect_b32 s18, s15, s11
.LBB64_6:
	s_cmp_eq_u32 s10, s18
	s_waitcnt lgkmcnt(0)
	s_mul_hi_u32 s9, s10, s12
	s_cselect_b64 s[16:17], -1, 0
	s_add_i32 s9, s9, s10
	s_lshr_b32 s11, s9, s13
	s_mul_i32 s9, s11, s14
	s_cmp_eq_u32 s9, s10
	s_mul_hi_u32 s9, s18, s12
	s_cselect_b64 s[20:21], -1, 0
	s_add_i32 s9, s9, s18
	s_lshr_b32 s9, s9, s13
	s_cmp_eq_u32 s11, s9
	s_mul_i32 s9, s9, s14
	s_cselect_b64 s[24:25], -1, 0
	s_cmp_lg_u32 s9, s18
	s_cselect_b64 s[18:19], -1, 0
	s_and_b64 s[18:19], s[24:25], s[18:19]
	s_or_b64 s[16:17], s[16:17], s[20:21]
	s_or_b64 s[16:17], s[16:17], s[18:19]
	s_and_b64 vcc, exec, s[16:17]
	s_cbranch_vccnz .LBB64_23
; %bb.7:
	s_load_dwordx8 s[24:31], s[4:5], 0x20
	s_load_dword s15, s[4:5], 0x40
	s_waitcnt lgkmcnt(0)
	s_mul_hi_u32 s9, s10, s24
	s_add_i32 s9, s9, s10
	s_lshr_b32 s9, s9, s25
	s_mul_i32 s16, s9, s26
	s_sub_i32 s16, s10, s16
	s_mul_hi_u32 s17, s16, s27
	s_add_i32 s17, s16, s17
	s_lshr_b32 s24, s17, s28
	s_mul_i32 s17, s24, s29
	s_sub_i32 s16, s16, s17
	;; [unrolled: 5-line block ×3, first 2 shown]
	s_mul_hi_u32 s16, s15, s12
	s_add_i32 s15, s15, s16
	s_lshr_b32 s25, s15, s13
	s_lshl_b32 s15, s25, 3
	s_add_i32 s15, s15, s7
	s_cmp_lt_i32 s15, s0
	s_cselect_b64 s[16:17], -1, 0
	s_add_i32 s15, s23, s8
	s_cmp_lt_i32 s15, s2
	s_cselect_b64 s[18:19], -1, 0
	s_and_b64 s[16:17], s[16:17], s[18:19]
	s_andn2_b64 vcc, exec, s[16:17]
	s_cbranch_vccnz .LBB64_23
; %bb.8:
	s_load_dwordx4 s[16:19], s[4:5], 0x0
	s_mov_b32 s4, 0
	s_lshl_b32 s20, s22, 5
	s_mov_b32 s21, s4
	s_add_i32 s15, s7, s8
	s_lshl_b64 s[20:21], s[20:21], 2
	s_waitcnt lgkmcnt(0)
	s_add_u32 s20, s18, s20
	s_mul_i32 s0, s9, s0
	s_addc_u32 s21, s19, s21
	s_add_i32 s0, s0, s7
	s_mul_i32 s0, s0, s1
	s_mul_i32 s24, s24, s2
	s_add_i32 s0, s0, s8
	s_add_i32 s0, s0, s24
	s_mul_i32 s2, s1, s25
	s_add_i32 s0, s0, s23
	s_lshl_b32 s2, s2, 10
	s_lshl_b32 s0, s0, 7
	s_add_i32 s2, s2, s0
	v_or_b32_e32 v1, s2, v0
	v_ashrrev_i32_e32 v2, 31, v1
	v_lshlrev_b64 v[1:2], 2, v[1:2]
	v_mov_b32_e32 v3, s17
	v_add_co_u32_e32 v1, vcc, s16, v1
	v_addc_co_u32_e32 v2, vcc, v3, v2, vcc
	global_load_dword v3, v[1:2], off
	v_cvt_f32_u32_e32 v4, s22
	s_lshl_b32 s0, s6, 3
	s_add_i32 s0, s0, s15
	s_ashr_i32 s1, s0, 31
	s_lshl_b64 s[0:1], s[0:1], 3
	v_rcp_iflag_f32_e32 v4, v4
	s_add_u32 s0, s18, s0
	s_addc_u32 s1, s19, s1
	s_load_dwordx2 s[0:1], s[0:1], 0x0
	v_mul_f32_e32 v4, 0x4f7ffffe, v4
	v_cvt_u32_f32_e32 v4, v4
	s_add_i32 s24, s6, -1
	v_lshl_or_b32 v0, s15, 7, v0
	s_waitcnt lgkmcnt(0)
	v_mov_b32_e32 v6, s1
	v_mov_b32_e32 v7, s0
	s_mov_b32 s2, 0x3fb8aa3b
	s_mov_b32 s16, 0xc2ce8ed0
	;; [unrolled: 1-line block ×4, first 2 shown]
	v_mov_b32_e32 v5, 0x7f800000
	s_mul_hi_i32 s5, s24, s3
	s_cmp_lg_u64 s[4:5], 0
	s_mul_i32 s8, s24, s3
	s_cbranch_scc0 .LBB64_19
.LBB64_9:
	s_add_u32 s0, s22, 0
	s_addc_u32 s1, 0, 0
	s_xor_b64 s[0:1], s[0:1], 0
	v_cvt_f32_u32_e32 v8, s0
	v_cvt_f32_u32_e32 v9, s1
	s_sub_u32 s9, 0, s0
	s_subb_u32 s25, 0, s1
	v_mac_f32_e32 v8, 0x4f800000, v9
	v_rcp_f32_e32 v8, v8
	v_mul_f32_e32 v8, 0x5f7ffffc, v8
	v_mul_f32_e32 v9, 0x2f800000, v8
	v_trunc_f32_e32 v9, v9
	v_mac_f32_e32 v8, 0xcf800000, v9
	v_cvt_u32_f32_e32 v9, v9
	v_cvt_u32_f32_e32 v8, v8
	v_readfirstlane_b32 s26, v9
	v_readfirstlane_b32 s6, v8
	s_mul_i32 s7, s9, s26
	s_mul_hi_u32 s28, s9, s6
	s_mul_i32 s27, s25, s6
	s_add_i32 s7, s28, s7
	s_mul_i32 s29, s9, s6
	s_add_i32 s7, s7, s27
	s_mul_i32 s28, s6, s7
	s_mul_hi_u32 s30, s6, s29
	s_mul_hi_u32 s27, s6, s7
	s_add_u32 s28, s30, s28
	s_addc_u32 s27, 0, s27
	s_mul_hi_u32 s31, s26, s29
	s_mul_i32 s29, s26, s29
	s_add_u32 s28, s28, s29
	s_mul_hi_u32 s30, s26, s7
	s_addc_u32 s27, s27, s31
	s_addc_u32 s28, s30, 0
	s_mul_i32 s7, s26, s7
	s_add_u32 s7, s27, s7
	s_addc_u32 s27, 0, s28
	s_add_u32 s28, s6, s7
	s_cselect_b64 s[6:7], -1, 0
	s_cmp_lg_u64 s[6:7], 0
	s_addc_u32 s26, s26, s27
	s_mul_i32 s6, s9, s26
	s_mul_hi_u32 s7, s9, s28
	s_add_i32 s6, s7, s6
	s_mul_i32 s25, s25, s28
	s_add_i32 s6, s6, s25
	s_mul_i32 s9, s9, s28
	s_mul_hi_u32 s25, s26, s9
	s_mul_i32 s27, s26, s9
	s_mul_i32 s30, s28, s6
	s_mul_hi_u32 s9, s28, s9
	s_mul_hi_u32 s29, s28, s6
	s_add_u32 s9, s9, s30
	s_addc_u32 s29, 0, s29
	s_add_u32 s9, s9, s27
	s_mul_hi_u32 s7, s26, s6
	s_addc_u32 s9, s29, s25
	s_addc_u32 s7, s7, 0
	s_mul_i32 s6, s26, s6
	s_add_u32 s6, s9, s6
	s_addc_u32 s9, 0, s7
	s_add_u32 s25, s28, s6
	s_cselect_b64 s[6:7], -1, 0
	s_cmp_lg_u64 s[6:7], 0
	s_addc_u32 s9, s26, s9
	s_ashr_i32 s6, s5, 31
	s_add_u32 s26, s8, s6
	s_mov_b32 s7, s6
	s_addc_u32 s27, s5, s6
	s_xor_b64 s[26:27], s[26:27], s[6:7]
	s_mul_i32 s28, s26, s9
	s_mul_hi_u32 s29, s26, s25
	s_mul_hi_u32 s5, s26, s9
	s_add_u32 s28, s29, s28
	s_addc_u32 s5, 0, s5
	s_mul_hi_u32 s30, s27, s25
	s_mul_i32 s25, s27, s25
	s_add_u32 s25, s28, s25
	s_mul_hi_u32 s29, s27, s9
	s_addc_u32 s5, s5, s30
	s_addc_u32 s25, s29, 0
	s_mul_i32 s9, s27, s9
	s_add_u32 s5, s5, s9
	s_addc_u32 s9, 0, s25
	s_mul_i32 s25, s0, s9
	s_mul_hi_u32 s28, s0, s5
	s_add_i32 s25, s28, s25
	s_mul_i32 s28, s1, s5
	s_add_i32 s25, s25, s28
	s_sub_i32 s30, s27, s25
	s_mul_i32 s28, s0, s5
	s_sub_u32 s26, s26, s28
	s_cselect_b64 s[28:29], -1, 0
	s_cmp_lg_u64 s[28:29], 0
	s_subb_u32 s33, s30, s1
	s_sub_u32 s34, s26, s0
	s_cselect_b64 s[30:31], -1, 0
	s_cmp_lg_u64 s[30:31], 0
	s_subb_u32 s30, s33, 0
	s_cmp_ge_u32 s30, s1
	s_cselect_b32 s31, -1, 0
	s_cmp_ge_u32 s34, s0
	s_cselect_b32 s33, -1, 0
	s_cmp_eq_u32 s30, s1
	s_cselect_b32 s30, s33, s31
	s_add_u32 s31, s5, 1
	s_addc_u32 s33, s9, 0
	s_add_u32 s34, s5, 2
	s_addc_u32 s35, s9, 0
	s_cmp_lg_u32 s30, 0
	s_cselect_b32 s30, s34, s31
	s_cselect_b32 s31, s35, s33
	s_cmp_lg_u64 s[28:29], 0
	s_subb_u32 s25, s27, s25
	s_cmp_ge_u32 s25, s1
	s_cselect_b32 s27, -1, 0
	s_cmp_ge_u32 s26, s0
	s_cselect_b32 s0, -1, 0
	s_cmp_eq_u32 s25, s1
	s_cselect_b32 s0, s0, s27
	s_cmp_lg_u32 s0, 0
	s_cselect_b32 s1, s31, s9
	s_cselect_b32 s0, s30, s5
	s_xor_b64 s[6:7], s[6:7], 0
	s_xor_b64 s[0:1], s[0:1], s[6:7]
	s_sub_u32 s6, s0, s6
	s_cbranch_execnz .LBB64_11
.LBB64_10:
	s_sub_i32 s0, 0, s22
	v_readfirstlane_b32 s1, v4
	s_mul_i32 s0, s0, s1
	s_mul_hi_u32 s0, s1, s0
	s_add_i32 s1, s1, s0
	s_mul_hi_u32 s0, s8, s1
	s_mul_i32 s5, s0, s22
	s_sub_i32 s5, s8, s5
	s_add_i32 s1, s0, 1
	s_sub_i32 s6, s5, s22
	s_cmp_ge_u32 s5, s22
	s_cselect_b32 s0, s1, s0
	s_cselect_b32 s5, s6, s5
	s_add_i32 s1, s0, 1
	s_cmp_ge_u32 s5, s22
	s_cselect_b32 s6, s1, s0
.LBB64_11:
	s_cmp_lg_u32 s10, s6
	s_mov_b64 s[8:9], -1
                                        ; implicit-def: $sgpr0_sgpr1
                                        ; implicit-def: $vgpr10
                                        ; implicit-def: $vgpr8
                                        ; implicit-def: $vgpr9
                                        ; implicit-def: $sgpr5
                                        ; implicit-def: $sgpr7
	s_cbranch_scc1 .LBB64_14
; %bb.12:
	s_andn2_b64 vcc, exec, s[8:9]
	s_cbranch_vccz .LBB64_17
.LBB64_13:
	s_andn2_b64 vcc, exec, s[0:1]
	s_cbranch_vccnz .LBB64_18
	s_branch .LBB64_22
.LBB64_14:
	s_add_i32 s0, s24, s22
	s_lshl_b32 s0, s0, 3
	s_add_i32 s0, s0, s15
	s_mov_b32 s1, s4
	s_lshl_b64 s[0:1], s[0:1], 3
	s_add_u32 s8, s18, s0
	s_mul_hi_u32 s0, s6, s12
	s_addc_u32 s9, s19, s1
	s_add_i32 s0, s0, s6
	s_lshr_b32 s5, s0, s13
	s_mul_i32 s0, s5, s14
	s_cmp_eq_u32 s0, s6
	s_cselect_b64 s[0:1], -1, 0
	s_cmp_lt_u32 s5, s11
	s_cselect_b64 s[26:27], -1, 0
	s_or_b64 s[26:27], s[26:27], s[0:1]
	s_mov_b64 s[0:1], -1
	s_and_b64 vcc, exec, s[26:27]
	s_mov_b32 s5, s24
	s_mov_b32 s7, s10
	s_cbranch_vccnz .LBB64_16
; %bb.15:
	s_add_i32 s5, s24, -1
	s_mov_b64 s[0:1], 0
	s_mov_b32 s7, s6
.LBB64_16:
	v_lshl_add_u32 v8, s24, 10, v0
	v_ashrrev_i32_e32 v9, 31, v8
	v_lshlrev_b64 v[8:9], 2, v[8:9]
	v_mov_b32_e32 v10, s21
	v_add_co_u32_e32 v8, vcc, s20, v8
	v_addc_co_u32_e32 v9, vcc, v10, v9, vcc
	global_load_dword v10, v[8:9], off
	s_load_dwordx2 s[8:9], s[8:9], 0x0
	v_max_f32_e32 v8, v7, v7
	s_waitcnt lgkmcnt(0)
	v_max_f32_e64 v9, s8, s8
	v_max_f32_e32 v8, v8, v9
	v_sub_f32_e32 v9, v7, v8
	v_sub_f32_e32 v11, s8, v8
	v_mul_f32_e32 v12, 0x3fb8aa3b, v9
	v_mul_f32_e32 v13, 0x3fb8aa3b, v11
	v_fma_f32 v14, v9, s2, -v12
	v_rndne_f32_e32 v15, v12
	v_fma_f32 v16, v11, s2, -v13
	v_rndne_f32_e32 v17, v13
	v_fmac_f32_e32 v14, 0x32a5705f, v9
	v_sub_f32_e32 v12, v12, v15
	v_fmac_f32_e32 v16, 0x32a5705f, v11
	v_sub_f32_e32 v13, v13, v17
	v_add_f32_e32 v12, v12, v14
	v_cvt_i32_f32_e32 v15, v15
	v_add_f32_e32 v13, v13, v16
	v_exp_f32_e32 v12, v12
	v_cvt_i32_f32_e32 v17, v17
	v_exp_f32_e32 v13, v13
	v_cmp_ngt_f32_e32 vcc, s16, v9
	v_ldexp_f32 v12, v12, v15
	v_cndmask_b32_e32 v12, 0, v12, vcc
	v_ldexp_f32 v13, v13, v17
	v_cmp_ngt_f32_e32 vcc, s16, v11
	v_cndmask_b32_e32 v13, 0, v13, vcc
	v_cmp_nlt_f32_e32 vcc, s17, v9
	v_cndmask_b32_e32 v12, v5, v12, vcc
	v_cmp_nlt_f32_e32 vcc, s17, v11
	v_cndmask_b32_e32 v13, v5, v13, vcc
	v_cmp_le_f32_e32 vcc, s23, v9
	v_cndmask_b32_e32 v12, 0, v12, vcc
	v_cmp_le_f32_e32 vcc, s23, v11
	v_cndmask_b32_e32 v11, 0, v13, vcc
	v_mul_f32_e32 v9, s9, v11
	v_fmac_f32_e32 v9, v6, v12
	s_waitcnt vmcnt(0)
	v_mul_f32_e32 v10, v10, v11
	v_fmac_f32_e32 v10, v3, v12
	s_cbranch_execnz .LBB64_13
.LBB64_17:
	s_add_i32 s5, s24, -1
	s_mov_b32 s7, s10
	v_mov_b32_e32 v9, v6
	v_mov_b32_e32 v8, v7
	s_waitcnt vmcnt(0)
	v_mov_b32_e32 v10, v3
	s_cbranch_execz .LBB64_22
.LBB64_18:
	s_mov_b32 s10, s7
	s_mov_b32 s24, s5
	v_mov_b32_e32 v6, v9
	v_mov_b32_e32 v7, v8
	s_waitcnt vmcnt(0)
	v_mov_b32_e32 v3, v10
	s_mul_hi_i32 s5, s24, s3
	s_cmp_lg_u64 s[4:5], 0
	s_mul_i32 s8, s24, s3
	s_cbranch_scc1 .LBB64_9
.LBB64_19:
                                        ; implicit-def: $sgpr6_sgpr7
	s_branch .LBB64_10
.LBB64_20:
                                        ; implicit-def: $sgpr10_sgpr11
	s_load_dwordx4 s[12:15], s[4:5], 0x44
	s_branch .LBB64_2
.LBB64_21:
                                        ; implicit-def: $sgpr18_sgpr19
	s_branch .LBB64_5
.LBB64_22:
	v_div_scale_f32 v0, s[0:1], v9, v9, v10
	s_waitcnt vmcnt(0)
	v_div_scale_f32 v3, vcc, v10, v9, v10
	v_rcp_f32_e32 v4, v0
	v_fma_f32 v5, -v0, v4, 1.0
	v_fmac_f32_e32 v4, v5, v4
	v_mul_f32_e32 v5, v3, v4
	v_fma_f32 v6, -v0, v5, v3
	v_fmac_f32_e32 v5, v6, v4
	v_fma_f32 v0, -v0, v5, v3
	v_div_fmas_f32 v0, v0, v4, v5
	v_div_fixup_f32 v0, v0, v9, v10
	global_store_dword v[1:2], v0, off
.LBB64_23:
	s_endpgm
	.section	.rodata,"a",@progbits
	.p2align	6, 0x0
	.amdhsa_kernel _ZL33flash_attn_stream_k_fixup_generalILi128ELi8ELi1EEvPfPK15HIP_vector_typeIfLj2EEiiiiS1_IjLj3EES5_S5_S5_
		.amdhsa_group_segment_fixed_size 0
		.amdhsa_private_segment_fixed_size 0
		.amdhsa_kernarg_size 336
		.amdhsa_user_sgpr_count 6
		.amdhsa_user_sgpr_private_segment_buffer 1
		.amdhsa_user_sgpr_dispatch_ptr 0
		.amdhsa_user_sgpr_queue_ptr 0
		.amdhsa_user_sgpr_kernarg_segment_ptr 1
		.amdhsa_user_sgpr_dispatch_id 0
		.amdhsa_user_sgpr_flat_scratch_init 0
		.amdhsa_user_sgpr_private_segment_size 0
		.amdhsa_uses_dynamic_stack 0
		.amdhsa_system_sgpr_private_segment_wavefront_offset 0
		.amdhsa_system_sgpr_workgroup_id_x 1
		.amdhsa_system_sgpr_workgroup_id_y 1
		.amdhsa_system_sgpr_workgroup_id_z 1
		.amdhsa_system_sgpr_workgroup_info 0
		.amdhsa_system_vgpr_workitem_id 0
		.amdhsa_next_free_vgpr 18
		.amdhsa_next_free_sgpr 36
		.amdhsa_reserve_vcc 1
		.amdhsa_reserve_flat_scratch 0
		.amdhsa_float_round_mode_32 0
		.amdhsa_float_round_mode_16_64 0
		.amdhsa_float_denorm_mode_32 3
		.amdhsa_float_denorm_mode_16_64 3
		.amdhsa_dx10_clamp 1
		.amdhsa_ieee_mode 1
		.amdhsa_fp16_overflow 0
		.amdhsa_exception_fp_ieee_invalid_op 0
		.amdhsa_exception_fp_denorm_src 0
		.amdhsa_exception_fp_ieee_div_zero 0
		.amdhsa_exception_fp_ieee_overflow 0
		.amdhsa_exception_fp_ieee_underflow 0
		.amdhsa_exception_fp_ieee_inexact 0
		.amdhsa_exception_int_div_zero 0
	.end_amdhsa_kernel
	.section	.text._ZL33flash_attn_stream_k_fixup_generalILi128ELi8ELi1EEvPfPK15HIP_vector_typeIfLj2EEiiiiS1_IjLj3EES5_S5_S5_,"axG",@progbits,_ZL33flash_attn_stream_k_fixup_generalILi128ELi8ELi1EEvPfPK15HIP_vector_typeIfLj2EEiiiiS1_IjLj3EES5_S5_S5_,comdat
.Lfunc_end64:
	.size	_ZL33flash_attn_stream_k_fixup_generalILi128ELi8ELi1EEvPfPK15HIP_vector_typeIfLj2EEiiiiS1_IjLj3EES5_S5_S5_, .Lfunc_end64-_ZL33flash_attn_stream_k_fixup_generalILi128ELi8ELi1EEvPfPK15HIP_vector_typeIfLj2EEiiiiS1_IjLj3EES5_S5_S5_
                                        ; -- End function
	.set _ZL33flash_attn_stream_k_fixup_generalILi128ELi8ELi1EEvPfPK15HIP_vector_typeIfLj2EEiiiiS1_IjLj3EES5_S5_S5_.num_vgpr, 18
	.set _ZL33flash_attn_stream_k_fixup_generalILi128ELi8ELi1EEvPfPK15HIP_vector_typeIfLj2EEiiiiS1_IjLj3EES5_S5_S5_.num_agpr, 0
	.set _ZL33flash_attn_stream_k_fixup_generalILi128ELi8ELi1EEvPfPK15HIP_vector_typeIfLj2EEiiiiS1_IjLj3EES5_S5_S5_.numbered_sgpr, 36
	.set _ZL33flash_attn_stream_k_fixup_generalILi128ELi8ELi1EEvPfPK15HIP_vector_typeIfLj2EEiiiiS1_IjLj3EES5_S5_S5_.num_named_barrier, 0
	.set _ZL33flash_attn_stream_k_fixup_generalILi128ELi8ELi1EEvPfPK15HIP_vector_typeIfLj2EEiiiiS1_IjLj3EES5_S5_S5_.private_seg_size, 0
	.set _ZL33flash_attn_stream_k_fixup_generalILi128ELi8ELi1EEvPfPK15HIP_vector_typeIfLj2EEiiiiS1_IjLj3EES5_S5_S5_.uses_vcc, 1
	.set _ZL33flash_attn_stream_k_fixup_generalILi128ELi8ELi1EEvPfPK15HIP_vector_typeIfLj2EEiiiiS1_IjLj3EES5_S5_S5_.uses_flat_scratch, 0
	.set _ZL33flash_attn_stream_k_fixup_generalILi128ELi8ELi1EEvPfPK15HIP_vector_typeIfLj2EEiiiiS1_IjLj3EES5_S5_S5_.has_dyn_sized_stack, 0
	.set _ZL33flash_attn_stream_k_fixup_generalILi128ELi8ELi1EEvPfPK15HIP_vector_typeIfLj2EEiiiiS1_IjLj3EES5_S5_S5_.has_recursion, 0
	.set _ZL33flash_attn_stream_k_fixup_generalILi128ELi8ELi1EEvPfPK15HIP_vector_typeIfLj2EEiiiiS1_IjLj3EES5_S5_S5_.has_indirect_call, 0
	.section	.AMDGPU.csdata,"",@progbits
; Kernel info:
; codeLenInByte = 2932
; TotalNumSgprs: 40
; NumVgprs: 18
; ScratchSize: 0
; MemoryBound: 0
; FloatMode: 240
; IeeeMode: 1
; LDSByteSize: 0 bytes/workgroup (compile time only)
; SGPRBlocks: 4
; VGPRBlocks: 4
; NumSGPRsForWavesPerEU: 40
; NumVGPRsForWavesPerEU: 18
; Occupancy: 10
; WaveLimiterHint : 0
; COMPUTE_PGM_RSRC2:SCRATCH_EN: 0
; COMPUTE_PGM_RSRC2:USER_SGPR: 6
; COMPUTE_PGM_RSRC2:TRAP_HANDLER: 0
; COMPUTE_PGM_RSRC2:TGID_X_EN: 1
; COMPUTE_PGM_RSRC2:TGID_Y_EN: 1
; COMPUTE_PGM_RSRC2:TGID_Z_EN: 1
; COMPUTE_PGM_RSRC2:TIDIG_COMP_CNT: 0
	.section	.text._ZL15flash_attn_tileILi128ELi128ELi4ELi1ELb0EEvPKcS1_S1_S1_S1_PKiPfP15HIP_vector_typeIfLj2EEffffjfiS5_IjLj3EEiiiiiiiiiiiliiliiiiil,"axG",@progbits,_ZL15flash_attn_tileILi128ELi128ELi4ELi1ELb0EEvPKcS1_S1_S1_S1_PKiPfP15HIP_vector_typeIfLj2EEffffjfiS5_IjLj3EEiiiiiiiiiiiliiliiiiil,comdat
	.globl	_ZL15flash_attn_tileILi128ELi128ELi4ELi1ELb0EEvPKcS1_S1_S1_S1_PKiPfP15HIP_vector_typeIfLj2EEffffjfiS5_IjLj3EEiiiiiiiiiiiliiliiiiil ; -- Begin function _ZL15flash_attn_tileILi128ELi128ELi4ELi1ELb0EEvPKcS1_S1_S1_S1_PKiPfP15HIP_vector_typeIfLj2EEffffjfiS5_IjLj3EEiiiiiiiiiiiliiliiiiil
	.p2align	8
	.type	_ZL15flash_attn_tileILi128ELi128ELi4ELi1ELb0EEvPKcS1_S1_S1_S1_PKiPfP15HIP_vector_typeIfLj2EEffffjfiS5_IjLj3EEiiiiiiiiiiiliiliiiiil,@function
_ZL15flash_attn_tileILi128ELi128ELi4ELi1ELb0EEvPKcS1_S1_S1_S1_PKiPfP15HIP_vector_typeIfLj2EEffffjfiS5_IjLj3EEiiiiiiiiiiiliiliiiiil: ; @_ZL15flash_attn_tileILi128ELi128ELi4ELi1ELb0EEvPKcS1_S1_S1_S1_PKiPfP15HIP_vector_typeIfLj2EEffffjfiS5_IjLj3EEiiiiiiiiiiiliiliiiiil
; %bb.0:
	s_load_dwordx4 s[24:27], s[4:5], 0x5c
	s_load_dwordx2 s[16:17], s[4:5], 0x80
	s_add_u32 flat_scratch_lo, s6, s11
	s_addc_u32 flat_scratch_hi, s7, 0
	s_add_u32 s0, s0, s11
	s_waitcnt lgkmcnt(0)
	v_cvt_f32_u32_e32 v2, s27
	s_addc_u32 s1, s1, 0
	s_sub_i32 s6, 0, s27
	s_load_dwordx16 s[36:51], s[4:5], 0x0
	v_rcp_iflag_f32_e32 v2, v2
	s_load_dwordx2 s[18:19], s[4:5], 0xb8
	v_mov_b32_e32 v38, v0
	s_mov_b64 s[30:31], 0
	v_mul_f32_e32 v2, 0x4f7ffffe, v2
	v_cvt_u32_f32_e32 v2, v2
	v_readfirstlane_b32 s7, v2
	s_mul_i32 s6, s6, s7
	s_mul_hi_u32 s6, s7, s6
	s_add_i32 s7, s7, s6
	s_mul_hi_u32 s6, s10, s7
	s_mul_i32 s7, s6, s27
	s_sub_i32 s7, s10, s7
	s_add_i32 s11, s6, 1
	s_sub_i32 s12, s7, s27
	s_cmp_ge_u32 s7, s27
	s_cselect_b32 s6, s11, s6
	s_cselect_b32 s7, s12, s7
	s_add_i32 s11, s6, 1
	s_cmp_ge_u32 s7, s27
	s_cselect_b32 s33, s11, s6
	s_abs_i32 s6, s17
	v_cvt_f32_u32_e32 v2, s6
	s_mul_i32 s12, s33, s27
	s_sub_i32 s13, 0, s6
	s_sub_i32 s28, s10, s12
	v_rcp_iflag_f32_e32 v2, v2
	s_abs_i32 s11, s27
	s_xor_b32 s7, s27, s17
	s_ashr_i32 s7, s7, 31
	v_mul_f32_e32 v2, 0x4f7ffffe, v2
	v_cvt_u32_f32_e32 v2, v2
	v_readfirstlane_b32 s10, v2
	s_mul_i32 s13, s13, s10
	s_mul_hi_u32 s12, s10, s13
	s_add_i32 s10, s10, s12
	s_mul_hi_u32 s10, s11, s10
	s_mul_i32 s12, s10, s6
	s_sub_i32 s11, s11, s12
	s_add_i32 s13, s10, 1
	s_sub_i32 s12, s11, s6
	s_cmp_ge_u32 s11, s6
	s_cselect_b32 s10, s13, s10
	s_cselect_b32 s11, s12, s11
	s_add_i32 s12, s10, 1
	s_cmp_ge_u32 s11, s6
	s_cselect_b32 s6, s12, s10
	s_xor_b32 s6, s6, s7
	s_sub_i32 s21, s6, s7
	s_abs_i32 s17, s21
	v_cvt_f32_u32_e32 v2, s17
	s_sub_i32 s6, 0, s17
	s_abs_i32 s20, s28
	v_rcp_iflag_f32_e32 v2, v2
	v_mul_f32_e32 v2, 0x4f7ffffe, v2
	v_cvt_u32_f32_e32 v2, v2
	v_readfirstlane_b32 s7, v2
	s_mul_i32 s6, s6, s7
	s_mul_hi_u32 s6, s7, s6
	s_add_i32 s6, s7, s6
	s_waitcnt lgkmcnt(0)
	s_cmp_eq_u64 s[42:43], 0
	s_cbranch_scc1 .LBB65_2
; %bb.1:
	s_abs_i32 s7, s18
	v_cvt_f32_u32_e32 v2, s7
	s_sub_i32 s14, 0, s7
	s_abs_i32 s13, s33
	s_ashr_i32 s12, s33, 31
	v_rcp_iflag_f32_e32 v2, v2
	s_load_dwordx2 s[10:11], s[4:5], 0xc8
	v_mul_f32_e32 v2, 0x4f7ffffe, v2
	v_cvt_u32_f32_e32 v2, v2
	v_readfirstlane_b32 s15, v2
	s_mul_i32 s14, s14, s15
	s_mul_hi_u32 s14, s15, s14
	s_add_i32 s15, s15, s14
	s_mul_hi_u32 s14, s13, s15
	s_mul_i32 s14, s14, s7
	s_sub_i32 s13, s13, s14
	s_sub_i32 s14, s13, s7
	s_cmp_ge_u32 s13, s7
	s_cselect_b32 s13, s14, s13
	s_sub_i32 s14, s13, s7
	s_cmp_ge_u32 s13, s7
	s_cselect_b32 s7, s14, s13
	s_xor_b32 s7, s7, s12
	s_sub_i32 s7, s7, s12
	s_ashr_i32 s12, s7, 31
	s_waitcnt lgkmcnt(0)
	s_mul_hi_u32 s13, s10, s7
	s_mul_i32 s12, s10, s12
	s_mul_i32 s11, s11, s7
	s_add_i32 s12, s13, s12
	s_add_i32 s12, s12, s11
	s_mul_i32 s7, s10, s7
	s_add_u32 s30, s42, s7
	s_addc_u32 s31, s43, s12
.LBB65_2:
	s_load_dwordx4 s[12:15], s[4:5], 0x40
	s_mul_hi_u32 s18, s20, s6
	s_load_dword s6, s[4:5], 0x50
	v_mov_b32_e32 v43, 1.0
	s_waitcnt lgkmcnt(0)
	v_cmp_le_f32_e64 s[10:11], s13, 0
	s_and_b64 vcc, exec, s[10:11]
	s_cbranch_vccnz .LBB65_4
; %bb.3:
	v_mov_b32_e32 v2, s6
	v_sub_co_u32_e32 v2, vcc, s28, v2
	v_mov_b32_e32 v3, s15
	v_mov_b32_e32 v4, s14
	s_add_i32 s6, s28, 1
	v_lshlrev_b32_e32 v2, 1, v2
	v_cndmask_b32_e32 v3, v3, v4, vcc
	v_or_b32_e32 v2, 1, v2
	v_mov_b32_e32 v4, s6
	v_cndmask_b32_e32 v2, v2, v4, vcc
	v_cvt_f32_i32_e32 v2, v2
	v_cmp_neq_f32_e32 vcc, 1.0, v3
	s_mov_b32 s6, 0x3f2aaaab
	s_movk_i32 s10, 0x204
	v_cndmask_b32_e32 v4, 1.0, v2, vcc
	v_cmp_neq_f32_e32 vcc, 0, v4
	v_cndmask_b32_e32 v5, 1.0, v3, vcc
	v_frexp_mant_f32_e64 v2, |v5|
	v_cmp_gt_f32_e32 vcc, s6, v2
	v_cndmask_b32_e64 v3, 1.0, 2.0, vcc
	v_mul_f32_e32 v2, v2, v3
	v_add_f32_e32 v3, 1.0, v2
	v_rcp_f32_e32 v6, v3
	v_add_f32_e32 v7, -1.0, v2
	v_add_f32_e32 v8, -1.0, v3
	v_sub_f32_e32 v2, v2, v8
	v_mul_f32_e32 v8, v7, v6
	v_mul_f32_e32 v9, v3, v8
	v_fma_f32 v3, v8, v3, -v9
	v_fmac_f32_e32 v3, v8, v2
	v_add_f32_e32 v2, v9, v3
	v_sub_f32_e32 v10, v7, v2
	v_sub_f32_e32 v9, v2, v9
	;; [unrolled: 1-line block ×5, first 2 shown]
	v_add_f32_e32 v2, v3, v2
	v_add_f32_e32 v2, v10, v2
	v_mul_f32_e32 v2, v6, v2
	v_add_f32_e32 v6, v8, v2
	v_sub_f32_e32 v3, v6, v8
	v_sub_f32_e32 v7, v2, v3
	v_mul_f32_e32 v2, v6, v6
	v_fma_f32 v3, v6, v6, -v2
	v_add_f32_e32 v8, v7, v7
	v_fmac_f32_e32 v3, v6, v8
	v_add_f32_e32 v8, v2, v3
	v_mov_b32_e32 v9, 0x3e91f4c4
	v_sub_f32_e32 v2, v8, v2
	v_fmac_f32_e32 v9, 0x3e76c4e1, v8
	v_mov_b32_e32 v10, 0x3ecccdef
	v_sub_f32_e32 v2, v3, v2
	v_mul_f32_e32 v3, v6, v8
	v_fmac_f32_e32 v10, v8, v9
	v_fma_f32 v9, v8, v6, -v3
	v_fmac_f32_e32 v9, v8, v7
	v_fmac_f32_e32 v9, v2, v6
	v_add_f32_e32 v11, v3, v9
	v_sub_f32_e32 v3, v11, v3
	v_sub_f32_e32 v9, v9, v3
	v_mul_f32_e32 v3, v8, v10
	v_fma_f32 v8, v8, v10, -v3
	v_fmac_f32_e32 v8, v2, v10
	v_add_f32_e32 v10, v3, v8
	v_sub_f32_e32 v2, v10, v3
	v_sub_f32_e32 v8, v8, v2
	v_cvt_f64_f32_e64 v[2:3], |v5|
	v_add_f32_e32 v12, 0x3f2aaaaa, v10
	v_add_f32_e32 v13, 0xbf2aaaaa, v12
	;; [unrolled: 1-line block ×3, first 2 shown]
	v_frexp_exp_i32_f64_e32 v2, v[2:3]
	v_sub_f32_e32 v10, v10, v13
	v_add_f32_e32 v3, v8, v10
	v_add_f32_e32 v8, v12, v3
	v_sub_f32_e32 v10, v12, v8
	v_add_f32_e32 v3, v3, v10
	v_mul_f32_e32 v10, v11, v8
	v_fma_f32 v12, v11, v8, -v10
	v_subbrev_co_u32_e32 v2, vcc, 0, v2, vcc
	v_cvt_f32_i32_e32 v2, v2
	v_fmac_f32_e32 v12, v11, v3
	s_mov_b32 s6, 0x3f317218
	v_fmac_f32_e32 v12, v9, v8
	v_mul_f32_e32 v3, 0x3f317218, v2
	v_fma_f32 v8, v2, s6, -v3
	v_fmac_f32_e32 v8, 0xb102e308, v2
	v_ldexp_f32 v2, v7, 1
	v_add_f32_e32 v7, v3, v8
	v_sub_f32_e32 v3, v7, v3
	v_ldexp_f32 v6, v6, 1
	v_sub_f32_e32 v3, v8, v3
	v_add_f32_e32 v8, v10, v12
	v_sub_f32_e32 v9, v8, v10
	v_add_f32_e32 v10, v6, v8
	v_sub_f32_e32 v9, v12, v9
	v_sub_f32_e32 v6, v10, v6
	;; [unrolled: 1-line block ×3, first 2 shown]
	v_add_f32_e32 v2, v2, v9
	v_add_f32_e32 v2, v2, v6
	;; [unrolled: 1-line block ×3, first 2 shown]
	v_sub_f32_e32 v8, v6, v10
	v_sub_f32_e32 v2, v2, v8
	v_add_f32_e32 v8, v7, v6
	v_sub_f32_e32 v9, v8, v7
	v_sub_f32_e32 v10, v8, v9
	;; [unrolled: 1-line block ×4, first 2 shown]
	v_add_f32_e32 v6, v6, v7
	v_add_f32_e32 v7, v3, v2
	v_sub_f32_e32 v9, v7, v3
	v_sub_f32_e32 v10, v7, v9
	;; [unrolled: 1-line block ×4, first 2 shown]
	v_add_f32_e32 v2, v2, v3
	v_add_f32_e32 v3, v7, v6
	;; [unrolled: 1-line block ×3, first 2 shown]
	v_sub_f32_e32 v7, v6, v8
	v_sub_f32_e32 v3, v3, v7
	v_add_f32_e32 v2, v2, v3
	v_add_f32_e32 v3, v6, v2
	v_sub_f32_e32 v6, v3, v6
	v_sub_f32_e32 v2, v2, v6
	v_mul_f32_e32 v6, v4, v3
	v_fma_f32 v3, v4, v3, -v6
	v_fmac_f32_e32 v3, v4, v2
	v_add_f32_e32 v2, v6, v3
	v_cmp_class_f32_e64 vcc, v6, s10
	v_sub_f32_e32 v7, v2, v6
	v_cndmask_b32_e32 v2, v2, v6, vcc
	s_mov_b32 s7, 0x42b17218
	v_mov_b32_e32 v6, 0x37000000
	v_cmp_eq_f32_e32 vcc, s7, v2
	v_cndmask_b32_e32 v6, 0, v6, vcc
	v_sub_f32_e32 v3, v3, v7
	v_sub_f32_e32 v7, v2, v6
	s_mov_b32 s11, 0x3fb8aa3b
	v_mul_f32_e32 v8, 0x3fb8aa3b, v7
	v_fma_f32 v9, v7, s11, -v8
	v_rndne_f32_e32 v10, v8
	v_fmac_f32_e32 v9, 0x32a5705f, v7
	v_sub_f32_e32 v8, v8, v10
	v_add_f32_e32 v8, v8, v9
	v_exp_f32_e32 v8, v8
	v_cvt_i32_f32_e32 v9, v10
	s_mov_b32 s6, 0x7f800000
	v_cmp_neq_f32_e64 vcc, |v2|, s6
	s_mov_b32 s6, 0xc2ce8ed0
	v_cndmask_b32_e32 v2, 0, v3, vcc
	v_ldexp_f32 v3, v8, v9
	v_cmp_ngt_f32_e32 vcc, s6, v7
	v_add_f32_e32 v2, v6, v2
	v_cndmask_b32_e32 v3, 0, v3, vcc
	v_mov_b32_e32 v6, 0x7f800000
	v_cmp_nlt_f32_e32 vcc, s7, v7
	v_cndmask_b32_e32 v3, v6, v3, vcc
	v_fma_f32 v2, v3, v2, v3
	v_cmp_class_f32_e64 vcc, v3, s10
	v_cndmask_b32_e32 v2, v2, v3, vcc
	v_trunc_f32_e32 v3, v4
	v_cmp_eq_f32_e32 vcc, v3, v4
	v_mul_f32_e32 v3, 0.5, v4
	v_trunc_f32_e32 v8, v3
	v_cmp_neq_f32_e64 s[6:7], v8, v3
	s_and_b64 s[6:7], vcc, s[6:7]
	v_cndmask_b32_e64 v3, 1.0, v5, s[6:7]
	s_brev_b32 s13, -2
	v_mov_b32_e32 v7, 0x7fc00000
	v_bfi_b32 v2, s13, v2, v3
	v_cndmask_b32_e32 v3, v7, v2, vcc
	v_cmp_gt_f32_e32 vcc, 0, v5
	v_cndmask_b32_e32 v2, v2, v3, vcc
	v_cmp_class_f32_e64 s[14:15], v5, s10
	v_cmp_eq_f32_e32 vcc, 0, v5
	v_cmp_gt_f32_e64 s[10:11], 0, v4
	s_xor_b64 s[10:11], s[10:11], vcc
	v_cndmask_b32_e64 v3, v6, 0, s[10:11]
	v_cndmask_b32_e64 v4, 0, v5, s[6:7]
	v_bfi_b32 v3, s13, v3, v4
	s_or_b64 vcc, vcc, s[14:15]
	v_cndmask_b32_e32 v2, v2, v3, vcc
	v_cmp_o_f32_e32 vcc, v5, v5
	v_cndmask_b32_e32 v43, v7, v2, vcc
.LBB65_4:
	s_load_dwordx4 s[52:55], s[4:5], 0x70
	v_lshl_add_u32 v39, s8, 2, v1
	v_mul_hi_u32 v2, s24, v39
	s_ashr_i32 s29, s28, 31
	s_ashr_i32 s6, s21, 31
	s_waitcnt lgkmcnt(0)
	s_mul_i32 s7, s33, s54
	v_add_u32_e32 v2, v39, v2
	s_ashr_i32 s10, s7, 31
	v_lshrrev_b32_e32 v2, s25, v2
	s_add_u32 s7, s36, s7
	s_mul_i32 s11, s28, s53
	v_mul_lo_u32 v2, v2, s26
	s_addc_u32 s10, s37, s10
	s_ashr_i32 s13, s11, 31
	s_add_u32 s7, s7, s11
	s_addc_u32 s13, s10, s13
	s_ashr_i32 s53, s52, 31
	v_sub_u32_e32 v45, v39, v2
	s_lshr_b64 s[10:11], s[52:53], 2
	v_mad_u64_u32 v[2:3], s[10:11], s10, v45, 0
	s_lshr_b32 s10, s53, 2
	v_mov_b32_e32 v6, 0x4400
	v_mad_u64_u32 v[3:4], s[10:11], s10, v45, v[3:4]
	v_mov_b32_e32 v4, s13
	v_lshlrev_b32_e32 v40, 3, v38
	v_lshlrev_b64 v[2:3], 2, v[2:3]
	v_lshl_add_u32 v46, v1, 8, v6
	v_add_co_u32_e32 v2, vcc, s7, v2
	v_addc_co_u32_e32 v3, vcc, v4, v3, vcc
	v_lshlrev_b32_e32 v4, 4, v38
	v_add_co_u32_e32 v2, vcc, v2, v4
	v_addc_co_u32_e32 v3, vcc, 0, v3, vcc
	global_load_dwordx4 v[2:5], v[2:3], off
	v_mov_b32_e32 v36, 0
	v_add_u32_e32 v6, v46, v40
	s_cmp_eq_u64 s[46:47], 0
	s_waitcnt vmcnt(0)
	v_fma_mixlo_f16 v2, s12, v2, 0
	v_fma_mixlo_f16 v3, s12, v3, 0
	;; [unrolled: 1-line block ×4, first 2 shown]
	v_lshlrev_b32_e32 v3, 16, v3
	v_and_b32_e32 v2, 0xffff, v2
	v_lshlrev_b32_e32 v5, 16, v5
	v_and_b32_e32 v4, 0xffff, v4
	v_or_b32_e32 v2, v3, v2
	v_or3_b32 v3, v5, v4, 0
	v_or3_b32 v2, 0, 0, v2
	ds_write_b64 v6, v[2:3]
	s_waitcnt lgkmcnt(0)
	s_barrier
	s_cbranch_scc1 .LBB65_6
; %bb.5:
	s_load_dword s7, s[4:5], 0xd0
	s_mov_b32 s11, 0
	s_waitcnt lgkmcnt(0)
	s_mul_i32 s7, s7, s33
	s_add_i32 s10, s7, s8
	s_lshl_b64 s[10:11], s[10:11], 2
	s_add_u32 s10, s46, s10
	s_addc_u32 s11, s47, s11
	s_load_dword s16, s[10:11], 0x0
.LBB65_6:
	s_nop 0
	s_load_dwordx2 s[10:11], s[4:5], 0x8c
	s_load_dwordx4 s[52:55], s[4:5], 0x98
	s_ashr_i32 s7, s33, 31
	s_ashr_i32 s22, s19, 1
	s_mul_i32 s14, s18, s17
	s_waitcnt lgkmcnt(0)
	s_ashr_i32 s12, s10, 2
	s_mul_hi_u32 s10, s52, s33
	s_mul_i32 s13, s52, s7
	s_add_i32 s10, s10, s13
	s_mul_i32 s13, s53, s33
	s_ashr_i32 s8, s54, 2
	s_add_i32 s10, s10, s13
	s_mul_i32 s13, s52, s33
	s_add_u32 s13, s38, s13
	s_addc_u32 s10, s39, s10
	s_sub_i32 s14, s20, s14
	s_xor_b32 s6, s29, s6
	s_add_i32 s15, s18, 1
	s_sub_i32 s19, s14, s17
	s_cmp_ge_u32 s14, s17
	s_cselect_b32 s15, s15, s18
	s_cselect_b32 s14, s19, s14
	s_add_i32 s18, s15, 1
	s_cmp_ge_u32 s14, s17
	s_cselect_b32 s14, s18, s15
	s_load_dwordx2 s[24:25], s[4:5], 0xa8
	s_xor_b32 s14, s14, s6
	s_sub_i32 s6, s14, s6
	s_mul_i32 s11, s6, s11
	s_ashr_i32 s15, s11, 31
	s_add_u32 s14, s13, s11
	s_addc_u32 s13, s10, s15
	s_waitcnt lgkmcnt(0)
	s_mul_hi_u32 s10, s24, s33
	s_mul_i32 s7, s24, s7
	s_add_i32 s7, s10, s7
	s_mul_i32 s10, s25, s33
	s_add_i32 s7, s7, s10
	s_mul_i32 s10, s24, s33
	s_add_u32 s10, s40, s10
	s_mul_i32 s6, s6, s55
	s_addc_u32 s7, s41, s7
	s_ashr_i32 s11, s6, 31
	s_add_u32 s36, s10, s6
	v_lshlrev_b32_e32 v110, 2, v38
	s_addc_u32 s37, s7, s11
	s_lshl_b32 s38, s9, 6
	s_sub_i32 s15, s16, 64
	s_cmp_ge_i32 s38, s15
	v_lshrrev_b32_e32 v48, 4, v38
	v_and_b32_e32 v47, 60, v110
	v_mbcnt_lo_u32_b32 v44, -1, 0
	s_cbranch_scc1 .LBB65_15
; %bb.7:
	v_lshl_add_u32 v21, v1, 1, v48
	v_mul_lo_u32 v4, s12, v21
	v_lshlrev_b32_e32 v22, 2, v47
	s_movk_i32 s6, 0x110
	v_mad_u32_u24 v49, v21, s6, v22
	s_lshl_b32 s6, s12, 3
	v_add_u32_e32 v6, s6, v4
	v_add_u32_e32 v8, s6, v6
	;; [unrolled: 1-line block ×4, first 2 shown]
	v_mul_lo_u32 v20, s8, v21
	v_add_u32_e32 v14, s6, v12
	v_add_u32_e32 v16, s6, v14
	s_cmp_lg_u64 s[30:31], 0
	v_mad_u64_u32 v[2:3], s[10:11], v45, s22, v[38:39]
	v_add_u32_e32 v18, s6, v16
	s_cselect_b64 s[6:7], -1, 0
	s_lshl_b32 s10, s8, 3
	v_lshl_or_b32 v60, v21, 8, v22
	v_add_u32_e32 v22, s10, v20
	v_add_u32_e32 v24, s10, v22
	;; [unrolled: 1-line block ×7, first 2 shown]
	v_ashrrev_i32_e32 v5, 31, v4
	v_ashrrev_i32_e32 v7, 31, v6
	;; [unrolled: 1-line block ×8, first 2 shown]
	v_mov_b32_e32 v3, 0x4800
	v_ashrrev_i32_e32 v21, 31, v20
	v_ashrrev_i32_e32 v23, 31, v22
	;; [unrolled: 1-line block ×8, first 2 shown]
	v_lshl_add_u32 v58, v1, 7, v3
	s_add_u32 s10, s4, 0xd0
	v_lshlrev_b64 v[3:4], 2, v[4:5]
	v_lshlrev_b64 v[6:7], 2, v[6:7]
	;; [unrolled: 1-line block ×8, first 2 shown]
	v_cndmask_b32_e64 v5, 0, 1, s[6:7]
	v_lshlrev_b64 v[20:21], 2, v[20:21]
	v_lshlrev_b64 v[22:23], 2, v[22:23]
	;; [unrolled: 1-line block ×8, first 2 shown]
	v_mov_b32_e32 v41, 0
	v_add_u32_e32 v50, 0x880, v49
	v_add_u32_e32 v51, 0x1100, v49
	v_add_u32_e32 v52, 0x1980, v49
	v_add_u32_e32 v53, 0x2200, v49
	v_add_u32_e32 v54, 0x2a80, v49
	v_add_u32_e32 v55, 0x3300, v49
	v_add_u32_e32 v56, 0x3b80, v49
	v_mul_u32_u24_e32 v57, 0x110, v38
	v_lshl_add_u32 v59, v38, 1, v58
	v_add_u32_e32 v61, 0x800, v60
	v_add_u32_e32 v62, 0x1000, v60
	;; [unrolled: 1-line block ×7, first 2 shown]
	s_addc_u32 s11, s5, 0
	v_mov_b32_e32 v72, 0xfeffffff
	v_lshlrev_b32_e32 v68, 2, v47
	s_mov_b32 s17, 0x3fb8aa3b
	s_mov_b32 s18, 0xc2ce8ed0
	;; [unrolled: 1-line block ×4, first 2 shown]
	v_cmp_ne_u32_e64 s[6:7], 1, v5
	v_mbcnt_hi_u32_b32 v69, -1, v44
	v_mov_b32_e32 v70, 0x7f800000
	v_mov_b32_e32 v42, 0
	;; [unrolled: 1-line block ×3, first 2 shown]
.LBB65_8:                               ; =>This Inner Loop Header: Depth=1
	s_mul_hi_i32 s25, s38, s12
	s_mul_i32 s24, s38, s12
	s_lshl_b64 s[24:25], s[24:25], 2
	s_add_u32 s21, s14, s24
	s_addc_u32 s23, s13, s25
	v_mov_b32_e32 v5, s23
	v_add_co_u32_e32 v36, vcc, s21, v3
	v_addc_co_u32_e32 v5, vcc, v5, v4, vcc
	v_add_co_u32_e32 v36, vcc, v36, v68
	v_addc_co_u32_e32 v37, vcc, 0, v5, vcc
	v_mov_b32_e32 v5, s23
	v_add_co_u32_e32 v73, vcc, s21, v6
	v_addc_co_u32_e32 v5, vcc, v5, v7, vcc
	v_add_co_u32_e32 v77, vcc, v73, v68
	v_addc_co_u32_e32 v78, vcc, 0, v5, vcc
	global_load_dwordx4 v[73:76], v[36:37], off
	s_nop 0
	global_load_dwordx4 v[77:80], v[77:78], off
	v_mov_b32_e32 v5, s23
	v_add_co_u32_e32 v36, vcc, s21, v8
	v_addc_co_u32_e32 v5, vcc, v5, v9, vcc
	v_add_co_u32_e32 v36, vcc, v36, v68
	v_addc_co_u32_e32 v37, vcc, 0, v5, vcc
	v_mov_b32_e32 v5, s23
	v_add_co_u32_e32 v81, vcc, s21, v10
	v_addc_co_u32_e32 v5, vcc, v5, v11, vcc
	v_add_co_u32_e32 v85, vcc, v81, v68
	v_addc_co_u32_e32 v86, vcc, 0, v5, vcc
	global_load_dwordx4 v[81:84], v[36:37], off
	s_nop 0
	global_load_dwordx4 v[85:88], v[85:86], off
	;; [unrolled: 13-line block ×4, first 2 shown]
	v_mov_b32_e32 v5, 0
	v_add_u32_e32 v36, s38, v2
	s_and_b64 vcc, exec, s[6:7]
	v_ashrrev_i32_e32 v37, 31, v36
	s_waitcnt vmcnt(7)
	ds_write_b128 v49, v[73:76]
	s_waitcnt vmcnt(6)
	ds_write_b128 v50, v[77:80]
	;; [unrolled: 2-line block ×8, first 2 shown]
	s_waitcnt lgkmcnt(0)
	s_barrier
	ds_read_b128 v[74:77], v57
	ds_read_b128 v[78:81], v46
	ds_read_b128 v[82:85], v57 offset:8704
	v_mov_b32_e32 v73, 0
	s_waitcnt lgkmcnt(1)
	;;#ASMSTART
	v_dot2_f32_f16 v73, v74, v78, v73
	;;#ASMEND
	;;#ASMSTART
	v_dot2_f32_f16 v73, v75, v79, v73
	;;#ASMEND
	;;#ASMSTART
	v_dot2_f32_f16 v73, v76, v80, v73
	;;#ASMEND
	;;#ASMSTART
	v_dot2_f32_f16 v73, v77, v81, v73
	;;#ASMEND
	s_waitcnt lgkmcnt(0)
	;;#ASMSTART
	v_dot2_f32_f16 v5, v82, v78, v5
	;;#ASMEND
	;;#ASMSTART
	v_dot2_f32_f16 v5, v83, v79, v5
	;;#ASMEND
	;;#ASMSTART
	v_dot2_f32_f16 v5, v84, v80, v5
	;;#ASMEND
	;;#ASMSTART
	v_dot2_f32_f16 v5, v85, v81, v5
	;;#ASMEND
	ds_read_b128 v[74:77], v57 offset:16
	ds_read_b128 v[78:81], v46 offset:16
	ds_read_b128 v[82:85], v57 offset:8720
	s_waitcnt lgkmcnt(1)
	;;#ASMSTART
	v_dot2_f32_f16 v73, v74, v78, v73
	;;#ASMEND
	;;#ASMSTART
	v_dot2_f32_f16 v73, v75, v79, v73
	;;#ASMEND
	;;#ASMSTART
	v_dot2_f32_f16 v73, v76, v80, v73
	;;#ASMEND
	;;#ASMSTART
	v_dot2_f32_f16 v73, v77, v81, v73
	;;#ASMEND
	s_waitcnt lgkmcnt(0)
	;;#ASMSTART
	v_dot2_f32_f16 v5, v82, v78, v5
	;;#ASMEND
	;;#ASMSTART
	v_dot2_f32_f16 v5, v83, v79, v5
	;;#ASMEND
	;;#ASMSTART
	v_dot2_f32_f16 v5, v84, v80, v5
	;;#ASMEND
	;;#ASMSTART
	v_dot2_f32_f16 v5, v85, v81, v5
	;;#ASMEND
	ds_read_b128 v[74:77], v57 offset:32
	ds_read_b128 v[78:81], v46 offset:32
	ds_read_b128 v[82:85], v57 offset:8736
	s_waitcnt lgkmcnt(1)
	;;#ASMSTART
	v_dot2_f32_f16 v73, v74, v78, v73
	;;#ASMEND
	;;#ASMSTART
	v_dot2_f32_f16 v73, v75, v79, v73
	;;#ASMEND
	;;#ASMSTART
	v_dot2_f32_f16 v73, v76, v80, v73
	;;#ASMEND
	;;#ASMSTART
	v_dot2_f32_f16 v73, v77, v81, v73
	;;#ASMEND
	s_waitcnt lgkmcnt(0)
	;;#ASMSTART
	v_dot2_f32_f16 v5, v82, v78, v5
	;;#ASMEND
	;;#ASMSTART
	v_dot2_f32_f16 v5, v83, v79, v5
	;;#ASMEND
	;;#ASMSTART
	v_dot2_f32_f16 v5, v84, v80, v5
	;;#ASMEND
	;;#ASMSTART
	v_dot2_f32_f16 v5, v85, v81, v5
	;;#ASMEND
	ds_read_b128 v[74:77], v57 offset:48
	ds_read_b128 v[78:81], v46 offset:48
	ds_read_b128 v[82:85], v57 offset:8752
	s_waitcnt lgkmcnt(1)
	;;#ASMSTART
	v_dot2_f32_f16 v73, v74, v78, v73
	;;#ASMEND
	;;#ASMSTART
	v_dot2_f32_f16 v73, v75, v79, v73
	;;#ASMEND
	;;#ASMSTART
	v_dot2_f32_f16 v73, v76, v80, v73
	;;#ASMEND
	;;#ASMSTART
	v_dot2_f32_f16 v73, v77, v81, v73
	;;#ASMEND
	s_waitcnt lgkmcnt(0)
	;;#ASMSTART
	v_dot2_f32_f16 v5, v82, v78, v5
	;;#ASMEND
	;;#ASMSTART
	v_dot2_f32_f16 v5, v83, v79, v5
	;;#ASMEND
	;;#ASMSTART
	v_dot2_f32_f16 v5, v84, v80, v5
	;;#ASMEND
	;;#ASMSTART
	v_dot2_f32_f16 v5, v85, v81, v5
	;;#ASMEND
	ds_read_b128 v[74:77], v57 offset:64
	ds_read_b128 v[78:81], v46 offset:64
	ds_read_b128 v[82:85], v57 offset:8768
	s_waitcnt lgkmcnt(1)
	;;#ASMSTART
	v_dot2_f32_f16 v73, v74, v78, v73
	;;#ASMEND
	;;#ASMSTART
	v_dot2_f32_f16 v73, v75, v79, v73
	;;#ASMEND
	;;#ASMSTART
	v_dot2_f32_f16 v73, v76, v80, v73
	;;#ASMEND
	;;#ASMSTART
	v_dot2_f32_f16 v73, v77, v81, v73
	;;#ASMEND
	s_waitcnt lgkmcnt(0)
	;;#ASMSTART
	v_dot2_f32_f16 v5, v82, v78, v5
	;;#ASMEND
	;;#ASMSTART
	v_dot2_f32_f16 v5, v83, v79, v5
	;;#ASMEND
	;;#ASMSTART
	v_dot2_f32_f16 v5, v84, v80, v5
	;;#ASMEND
	;;#ASMSTART
	v_dot2_f32_f16 v5, v85, v81, v5
	;;#ASMEND
	ds_read_b128 v[74:77], v57 offset:80
	ds_read_b128 v[78:81], v46 offset:80
	ds_read_b128 v[82:85], v57 offset:8784
	s_waitcnt lgkmcnt(1)
	;;#ASMSTART
	v_dot2_f32_f16 v73, v74, v78, v73
	;;#ASMEND
	;;#ASMSTART
	v_dot2_f32_f16 v73, v75, v79, v73
	;;#ASMEND
	;;#ASMSTART
	v_dot2_f32_f16 v73, v76, v80, v73
	;;#ASMEND
	;;#ASMSTART
	v_dot2_f32_f16 v73, v77, v81, v73
	;;#ASMEND
	s_waitcnt lgkmcnt(0)
	;;#ASMSTART
	v_dot2_f32_f16 v5, v82, v78, v5
	;;#ASMEND
	;;#ASMSTART
	v_dot2_f32_f16 v5, v83, v79, v5
	;;#ASMEND
	;;#ASMSTART
	v_dot2_f32_f16 v5, v84, v80, v5
	;;#ASMEND
	;;#ASMSTART
	v_dot2_f32_f16 v5, v85, v81, v5
	;;#ASMEND
	ds_read_b128 v[74:77], v57 offset:96
	ds_read_b128 v[78:81], v46 offset:96
	ds_read_b128 v[82:85], v57 offset:8800
	s_waitcnt lgkmcnt(1)
	;;#ASMSTART
	v_dot2_f32_f16 v73, v74, v78, v73
	;;#ASMEND
	;;#ASMSTART
	v_dot2_f32_f16 v73, v75, v79, v73
	;;#ASMEND
	;;#ASMSTART
	v_dot2_f32_f16 v73, v76, v80, v73
	;;#ASMEND
	;;#ASMSTART
	v_dot2_f32_f16 v73, v77, v81, v73
	;;#ASMEND
	s_waitcnt lgkmcnt(0)
	;;#ASMSTART
	v_dot2_f32_f16 v5, v82, v78, v5
	;;#ASMEND
	;;#ASMSTART
	v_dot2_f32_f16 v5, v83, v79, v5
	;;#ASMEND
	;;#ASMSTART
	v_dot2_f32_f16 v5, v84, v80, v5
	;;#ASMEND
	;;#ASMSTART
	v_dot2_f32_f16 v5, v85, v81, v5
	;;#ASMEND
	ds_read_b128 v[74:77], v57 offset:112
	ds_read_b128 v[78:81], v46 offset:112
	ds_read_b128 v[82:85], v57 offset:8816
	s_waitcnt lgkmcnt(1)
	;;#ASMSTART
	v_dot2_f32_f16 v73, v74, v78, v73
	;;#ASMEND
	;;#ASMSTART
	v_dot2_f32_f16 v73, v75, v79, v73
	;;#ASMEND
	;;#ASMSTART
	v_dot2_f32_f16 v73, v76, v80, v73
	;;#ASMEND
	;;#ASMSTART
	v_dot2_f32_f16 v73, v77, v81, v73
	;;#ASMEND
	s_waitcnt lgkmcnt(0)
	;;#ASMSTART
	v_dot2_f32_f16 v5, v82, v78, v5
	;;#ASMEND
	;;#ASMSTART
	v_dot2_f32_f16 v5, v83, v79, v5
	;;#ASMEND
	;;#ASMSTART
	v_dot2_f32_f16 v5, v84, v80, v5
	;;#ASMEND
	;;#ASMSTART
	v_dot2_f32_f16 v5, v85, v81, v5
	;;#ASMEND
	ds_read_b128 v[74:77], v57 offset:128
	ds_read_b128 v[78:81], v46 offset:128
	ds_read_b128 v[82:85], v57 offset:8832
	s_waitcnt lgkmcnt(1)
	;;#ASMSTART
	v_dot2_f32_f16 v73, v74, v78, v73
	;;#ASMEND
	;;#ASMSTART
	v_dot2_f32_f16 v73, v75, v79, v73
	;;#ASMEND
	;;#ASMSTART
	v_dot2_f32_f16 v73, v76, v80, v73
	;;#ASMEND
	;;#ASMSTART
	v_dot2_f32_f16 v73, v77, v81, v73
	;;#ASMEND
	s_waitcnt lgkmcnt(0)
	;;#ASMSTART
	v_dot2_f32_f16 v5, v82, v78, v5
	;;#ASMEND
	;;#ASMSTART
	v_dot2_f32_f16 v5, v83, v79, v5
	;;#ASMEND
	;;#ASMSTART
	v_dot2_f32_f16 v5, v84, v80, v5
	;;#ASMEND
	;;#ASMSTART
	v_dot2_f32_f16 v5, v85, v81, v5
	;;#ASMEND
	ds_read_b128 v[74:77], v57 offset:144
	ds_read_b128 v[78:81], v46 offset:144
	ds_read_b128 v[82:85], v57 offset:8848
	s_waitcnt lgkmcnt(1)
	;;#ASMSTART
	v_dot2_f32_f16 v73, v74, v78, v73
	;;#ASMEND
	;;#ASMSTART
	v_dot2_f32_f16 v73, v75, v79, v73
	;;#ASMEND
	;;#ASMSTART
	v_dot2_f32_f16 v73, v76, v80, v73
	;;#ASMEND
	;;#ASMSTART
	v_dot2_f32_f16 v73, v77, v81, v73
	;;#ASMEND
	s_waitcnt lgkmcnt(0)
	;;#ASMSTART
	v_dot2_f32_f16 v5, v82, v78, v5
	;;#ASMEND
	;;#ASMSTART
	v_dot2_f32_f16 v5, v83, v79, v5
	;;#ASMEND
	;;#ASMSTART
	v_dot2_f32_f16 v5, v84, v80, v5
	;;#ASMEND
	;;#ASMSTART
	v_dot2_f32_f16 v5, v85, v81, v5
	;;#ASMEND
	ds_read_b128 v[74:77], v57 offset:160
	ds_read_b128 v[78:81], v46 offset:160
	ds_read_b128 v[82:85], v57 offset:8864
	s_waitcnt lgkmcnt(1)
	;;#ASMSTART
	v_dot2_f32_f16 v73, v74, v78, v73
	;;#ASMEND
	;;#ASMSTART
	v_dot2_f32_f16 v73, v75, v79, v73
	;;#ASMEND
	;;#ASMSTART
	v_dot2_f32_f16 v73, v76, v80, v73
	;;#ASMEND
	;;#ASMSTART
	v_dot2_f32_f16 v73, v77, v81, v73
	;;#ASMEND
	s_waitcnt lgkmcnt(0)
	;;#ASMSTART
	v_dot2_f32_f16 v5, v82, v78, v5
	;;#ASMEND
	;;#ASMSTART
	v_dot2_f32_f16 v5, v83, v79, v5
	;;#ASMEND
	;;#ASMSTART
	v_dot2_f32_f16 v5, v84, v80, v5
	;;#ASMEND
	;;#ASMSTART
	v_dot2_f32_f16 v5, v85, v81, v5
	;;#ASMEND
	ds_read_b128 v[74:77], v57 offset:176
	ds_read_b128 v[78:81], v46 offset:176
	ds_read_b128 v[82:85], v57 offset:8880
	s_waitcnt lgkmcnt(1)
	;;#ASMSTART
	v_dot2_f32_f16 v73, v74, v78, v73
	;;#ASMEND
	;;#ASMSTART
	v_dot2_f32_f16 v73, v75, v79, v73
	;;#ASMEND
	;;#ASMSTART
	v_dot2_f32_f16 v73, v76, v80, v73
	;;#ASMEND
	;;#ASMSTART
	v_dot2_f32_f16 v73, v77, v81, v73
	;;#ASMEND
	s_waitcnt lgkmcnt(0)
	;;#ASMSTART
	v_dot2_f32_f16 v5, v82, v78, v5
	;;#ASMEND
	;;#ASMSTART
	v_dot2_f32_f16 v5, v83, v79, v5
	;;#ASMEND
	;;#ASMSTART
	v_dot2_f32_f16 v5, v84, v80, v5
	;;#ASMEND
	;;#ASMSTART
	v_dot2_f32_f16 v5, v85, v81, v5
	;;#ASMEND
	ds_read_b128 v[74:77], v57 offset:192
	ds_read_b128 v[78:81], v46 offset:192
	ds_read_b128 v[82:85], v57 offset:8896
	s_waitcnt lgkmcnt(1)
	;;#ASMSTART
	v_dot2_f32_f16 v73, v74, v78, v73
	;;#ASMEND
	;;#ASMSTART
	v_dot2_f32_f16 v73, v75, v79, v73
	;;#ASMEND
	;;#ASMSTART
	v_dot2_f32_f16 v73, v76, v80, v73
	;;#ASMEND
	;;#ASMSTART
	v_dot2_f32_f16 v73, v77, v81, v73
	;;#ASMEND
	s_waitcnt lgkmcnt(0)
	;;#ASMSTART
	v_dot2_f32_f16 v5, v82, v78, v5
	;;#ASMEND
	;;#ASMSTART
	v_dot2_f32_f16 v5, v83, v79, v5
	;;#ASMEND
	;;#ASMSTART
	v_dot2_f32_f16 v5, v84, v80, v5
	;;#ASMEND
	;;#ASMSTART
	v_dot2_f32_f16 v5, v85, v81, v5
	;;#ASMEND
	ds_read_b128 v[74:77], v57 offset:208
	ds_read_b128 v[78:81], v46 offset:208
	ds_read_b128 v[82:85], v57 offset:8912
	s_waitcnt lgkmcnt(1)
	;;#ASMSTART
	v_dot2_f32_f16 v73, v74, v78, v73
	;;#ASMEND
	;;#ASMSTART
	v_dot2_f32_f16 v73, v75, v79, v73
	;;#ASMEND
	;;#ASMSTART
	v_dot2_f32_f16 v73, v76, v80, v73
	;;#ASMEND
	;;#ASMSTART
	v_dot2_f32_f16 v73, v77, v81, v73
	;;#ASMEND
	s_waitcnt lgkmcnt(0)
	;;#ASMSTART
	v_dot2_f32_f16 v5, v82, v78, v5
	;;#ASMEND
	;;#ASMSTART
	v_dot2_f32_f16 v5, v83, v79, v5
	;;#ASMEND
	;;#ASMSTART
	v_dot2_f32_f16 v5, v84, v80, v5
	;;#ASMEND
	;;#ASMSTART
	v_dot2_f32_f16 v5, v85, v81, v5
	;;#ASMEND
	ds_read_b128 v[74:77], v57 offset:224
	ds_read_b128 v[78:81], v46 offset:224
	ds_read_b128 v[82:85], v57 offset:8928
	s_waitcnt lgkmcnt(1)
	;;#ASMSTART
	v_dot2_f32_f16 v73, v74, v78, v73
	;;#ASMEND
	;;#ASMSTART
	v_dot2_f32_f16 v73, v75, v79, v73
	;;#ASMEND
	;;#ASMSTART
	v_dot2_f32_f16 v73, v76, v80, v73
	;;#ASMEND
	;;#ASMSTART
	v_dot2_f32_f16 v73, v77, v81, v73
	;;#ASMEND
	s_waitcnt lgkmcnt(0)
	;;#ASMSTART
	v_dot2_f32_f16 v5, v82, v78, v5
	;;#ASMEND
	;;#ASMSTART
	v_dot2_f32_f16 v5, v83, v79, v5
	;;#ASMEND
	;;#ASMSTART
	v_dot2_f32_f16 v5, v84, v80, v5
	;;#ASMEND
	;;#ASMSTART
	v_dot2_f32_f16 v5, v85, v81, v5
	;;#ASMEND
	ds_read_b128 v[74:77], v57 offset:240
	ds_read_b128 v[78:81], v46 offset:240
	ds_read_b128 v[82:85], v57 offset:8944
	s_waitcnt lgkmcnt(1)
	;;#ASMSTART
	v_dot2_f32_f16 v73, v74, v78, v73
	;;#ASMEND
	;;#ASMSTART
	v_dot2_f32_f16 v73, v75, v79, v73
	;;#ASMEND
	;; [unrolled: 3-line block ×4, first 2 shown]
	s_waitcnt lgkmcnt(0)
	;;#ASMSTART
	v_dot2_f32_f16 v5, v82, v78, v5
	;;#ASMEND
	;;#ASMSTART
	v_dot2_f32_f16 v5, v83, v79, v5
	;;#ASMEND
	;;#ASMSTART
	v_dot2_f32_f16 v5, v84, v80, v5
	;;#ASMEND
	v_mov_b32_e32 v74, 0
	;;#ASMSTART
	v_dot2_f32_f16 v5, v85, v81, v5
	;;#ASMEND
	s_cbranch_vccnz .LBB65_10
; %bb.9:                                ;   in Loop: Header=BB65_8 Depth=1
	v_lshlrev_b64 v[74:75], 1, v[36:37]
	v_mov_b32_e32 v76, s31
	v_add_co_u32_e32 v74, vcc, s30, v74
	v_addc_co_u32_e32 v75, vcc, v76, v75, vcc
	global_load_ushort v74, v[74:75], off
	s_waitcnt vmcnt(0)
	v_cvt_f32_f16_e32 v74, v74
	v_mul_f32_e32 v74, v43, v74
.LBB65_10:                              ;   in Loop: Header=BB65_8 Depth=1
	s_and_b64 vcc, exec, s[6:7]
	s_cbranch_vccnz .LBB65_12
; %bb.11:                               ;   in Loop: Header=BB65_8 Depth=1
	v_lshlrev_b64 v[36:37], 1, v[36:37]
	v_mov_b32_e32 v75, s31
	v_add_co_u32_e32 v36, vcc, s30, v36
	v_addc_co_u32_e32 v37, vcc, v75, v37, vcc
	global_load_ushort v36, v[36:37], off offset:64
	s_waitcnt vmcnt(0)
	v_cvt_f32_f16_e32 v36, v36
	v_mul_f32_e32 v36, v43, v36
	s_branch .LBB65_13
.LBB65_12:                              ;   in Loop: Header=BB65_8 Depth=1
	v_mov_b32_e32 v36, 0
.LBB65_13:                              ;   in Loop: Header=BB65_8 Depth=1
	v_add_f32_e32 v105, v73, v74
	v_and_b32_e32 v73, 0x60, v69
	v_add_u32_e32 v106, 32, v73
	v_xor_b32_e32 v73, 16, v69
	v_cmp_lt_i32_e32 vcc, v73, v106
	v_add_f32_e32 v107, v5, v36
	v_add_f32_e32 v37, 0x40051340, v105
	v_cndmask_b32_e32 v73, v69, v73, vcc
	v_add_f32_e32 v5, 0x40051340, v107
	v_max3_f32 v5, v72, v37, v5
	v_lshlrev_b32_e32 v36, 2, v73
	ds_bpermute_b32 v36, v36, v5
	v_xor_b32_e32 v37, 8, v69
	v_cmp_lt_i32_e32 vcc, v37, v106
	v_cndmask_b32_e32 v37, v69, v37, vcc
	v_lshlrev_b32_e32 v37, 2, v37
	s_waitcnt lgkmcnt(0)
	v_max_f32_e32 v36, v36, v36
	v_max_f32_e32 v5, v5, v36
	ds_bpermute_b32 v36, v37, v5
	v_xor_b32_e32 v37, 4, v69
	s_mul_hi_i32 s25, s38, s8
	s_mul_i32 s24, s38, s8
	v_cmp_lt_i32_e32 vcc, v37, v106
	s_lshl_b64 s[24:25], s[24:25], 2
	v_cndmask_b32_e32 v37, v69, v37, vcc
	s_waitcnt lgkmcnt(0)
	v_max_f32_e32 v36, v36, v36
	s_add_u32 s21, s36, s24
	v_lshlrev_b32_e32 v37, 2, v37
	v_max_f32_e32 v5, v5, v36
	s_addc_u32 s23, s37, s25
	ds_bpermute_b32 v108, v37, v5
	v_mov_b32_e32 v36, s23
	v_add_co_u32_e32 v37, vcc, s21, v20
	v_addc_co_u32_e32 v73, vcc, v36, v21, vcc
	v_add_co_u32_e32 v36, vcc, v37, v68
	v_addc_co_u32_e32 v37, vcc, 0, v73, vcc
	v_mov_b32_e32 v73, s23
	v_add_co_u32_e32 v74, vcc, s21, v22
	v_addc_co_u32_e32 v73, vcc, v73, v23, vcc
	v_add_co_u32_e32 v77, vcc, v74, v68
	v_addc_co_u32_e32 v78, vcc, 0, v73, vcc
	;; [unrolled: 5-line block ×8, first 2 shown]
	s_waitcnt lgkmcnt(0)
	s_barrier
	global_load_dwordx4 v[73:76], v[36:37], off
	s_nop 0
	global_load_dwordx4 v[77:80], v[77:78], off
	s_nop 0
	;; [unrolled: 2-line block ×7, first 2 shown]
	global_load_dwordx4 v[101:104], v[101:102], off
	v_xor_b32_e32 v36, 2, v69
	v_cmp_lt_i32_e32 vcc, v36, v106
	v_cndmask_b32_e32 v36, v69, v36, vcc
	v_max_f32_e32 v37, v108, v108
	v_lshlrev_b32_e32 v36, 2, v36
	v_max_f32_e32 v5, v5, v37
	ds_bpermute_b32 v36, v36, v5
	v_xor_b32_e32 v37, 1, v69
	v_cmp_lt_i32_e32 vcc, v37, v106
	v_cndmask_b32_e32 v37, v69, v37, vcc
	v_lshlrev_b32_e32 v37, 2, v37
	s_waitcnt lgkmcnt(0)
	v_max_f32_e32 v36, v36, v36
	v_max_f32_e32 v5, v5, v36
	ds_bpermute_b32 v36, v37, v5
	s_waitcnt lgkmcnt(0)
	v_max_f32_e32 v36, v36, v36
	v_max_f32_e32 v5, v5, v36
	v_sub_f32_e32 v36, v105, v5
	v_mul_f32_e32 v37, 0x3fb8aa3b, v36
	v_fma_f32 v105, v36, s17, -v37
	v_rndne_f32_e32 v106, v37
	v_fmac_f32_e32 v105, 0x32a5705f, v36
	v_sub_f32_e32 v37, v37, v106
	v_add_f32_e32 v37, v37, v105
	v_exp_f32_e32 v37, v37
	v_cvt_i32_f32_e32 v105, v106
	v_sub_f32_e32 v72, v72, v5
	v_cmp_ngt_f32_e32 vcc, s18, v36
	v_ldexp_f32 v37, v37, v105
	v_sub_f32_e32 v105, v107, v5
	v_mul_f32_e32 v106, 0x3fb8aa3b, v105
	v_fma_f32 v107, v105, s17, -v106
	v_rndne_f32_e32 v108, v106
	v_fmac_f32_e32 v107, 0x32a5705f, v105
	v_sub_f32_e32 v106, v106, v108
	v_add_f32_e32 v106, v106, v107
	v_exp_f32_e32 v106, v106
	v_cvt_i32_f32_e32 v107, v108
	v_cndmask_b32_e32 v37, 0, v37, vcc
	v_cmp_nlt_f32_e32 vcc, s19, v36
	v_cndmask_b32_e32 v36, v70, v37, vcc
	v_ldexp_f32 v106, v106, v107
	v_mul_f32_e32 v107, 0x3fb8aa3b, v72
	v_fma_f32 v108, v72, s17, -v107
	v_rndne_f32_e32 v109, v107
	v_fmac_f32_e32 v108, 0x32a5705f, v72
	v_sub_f32_e32 v107, v107, v109
	v_add_f32_e32 v107, v107, v108
	v_exp_f32_e32 v107, v107
	v_cvt_i32_f32_e32 v108, v109
	v_cmp_ngt_f32_e32 vcc, s18, v105
	v_cndmask_b32_e32 v106, 0, v106, vcc
	v_cmp_nlt_f32_e32 vcc, s19, v105
	v_cndmask_b32_e32 v105, v70, v106, vcc
	v_ldexp_f32 v106, v107, v108
	v_cmp_ngt_f32_e32 vcc, s18, v72
	v_cvt_f16_f32_e32 v37, v36
	v_cndmask_b32_e32 v106, 0, v106, vcc
	v_cmp_nlt_f32_e32 vcc, s19, v72
	v_cndmask_b32_e32 v72, v70, v106, vcc
	v_add_f32_e32 v36, v36, v105
	v_cvt_f16_f32_e32 v105, v105
	v_cvt_f16_f32_e32 v106, v72
	v_fmac_f32_e32 v36, v71, v72
	ds_write_b16 v59, v37
	ds_write_b16 v59, v105 offset:64
	s_waitcnt vmcnt(7)
	ds_write_b128 v60, v[73:76]
	s_waitcnt vmcnt(6)
	ds_write_b128 v61, v[77:80]
	;; [unrolled: 2-line block ×8, first 2 shown]
	s_waitcnt lgkmcnt(0)
	s_barrier
	ds_read_b128 v[71:74], v58
	ds_read2_b64 v[75:78], v40 offset1:32
	ds_read_b128 v[79:82], v58 offset:16
	ds_read_b128 v[83:86], v58 offset:32
	;; [unrolled: 1-line block ×3, first 2 shown]
	ds_read2_b64 v[91:94], v40 offset0:64 offset1:96
	s_waitcnt lgkmcnt(5)
	v_mul_u32_u24_sdwa v37, v71, s20 dst_sel:DWORD dst_unused:UNUSED_PAD src0_sel:WORD_0 src1_sel:DWORD
	v_mul_u32_u24_e32 v106, 0x10001, v106
	s_waitcnt lgkmcnt(4)
	v_pk_mul_f16 v75, v75, v37
	v_pk_mul_f16 v37, v76, v37
	v_pk_fma_f16 v41, v41, v106, v75
	v_pk_fma_f16 v37, v42, v106, v37
	v_mul_u32_u24_sdwa v42, v71, s20 dst_sel:DWORD dst_unused:UNUSED_PAD src0_sel:WORD_1 src1_sel:DWORD
	v_pk_fma_f16 v41, v77, v42, v41
	v_pk_fma_f16 v37, v78, v42, v37
	v_mul_u32_u24_sdwa v42, v72, s20 dst_sel:DWORD dst_unused:UNUSED_PAD src0_sel:WORD_0 src1_sel:DWORD
	ds_read2_b64 v[75:78], v40 offset0:128 offset1:160
	s_waitcnt lgkmcnt(1)
	v_pk_fma_f16 v41, v91, v42, v41
	v_pk_fma_f16 v37, v92, v42, v37
	v_mul_u32_u24_sdwa v42, v72, s20 dst_sel:DWORD dst_unused:UNUSED_PAD src0_sel:WORD_1 src1_sel:DWORD
	v_pk_fma_f16 v41, v93, v42, v41
	v_pk_fma_f16 v37, v94, v42, v37
	ds_read2_b64 v[91:94], v40 offset0:192 offset1:224
	v_mul_u32_u24_sdwa v42, v73, s20 dst_sel:DWORD dst_unused:UNUSED_PAD src0_sel:WORD_0 src1_sel:DWORD
	s_waitcnt lgkmcnt(1)
	v_pk_fma_f16 v41, v75, v42, v41
	v_pk_fma_f16 v37, v76, v42, v37
	v_mul_u32_u24_sdwa v42, v73, s20 dst_sel:DWORD dst_unused:UNUSED_PAD src0_sel:WORD_1 src1_sel:DWORD
	v_pk_fma_f16 v41, v77, v42, v41
	v_pk_fma_f16 v37, v78, v42, v37
	v_mul_u32_u24_sdwa v42, v74, s20 dst_sel:DWORD dst_unused:UNUSED_PAD src0_sel:WORD_0 src1_sel:DWORD
	s_waitcnt lgkmcnt(0)
	v_pk_fma_f16 v41, v91, v42, v41
	v_pk_fma_f16 v37, v92, v42, v37
	v_add_u32_e32 v42, 0x800, v40
	ds_read2_b64 v[75:78], v42 offset1:32
	v_mul_u32_u24_sdwa v71, v74, s20 dst_sel:DWORD dst_unused:UNUSED_PAD src0_sel:WORD_1 src1_sel:DWORD
	v_pk_fma_f16 v41, v93, v71, v41
	v_pk_fma_f16 v37, v94, v71, v37
	v_mul_u32_u24_sdwa v71, v79, s20 dst_sel:DWORD dst_unused:UNUSED_PAD src0_sel:WORD_0 src1_sel:DWORD
	s_waitcnt lgkmcnt(0)
	v_pk_fma_f16 v41, v75, v71, v41
	v_pk_fma_f16 v37, v76, v71, v37
	ds_read2_b64 v[71:74], v42 offset0:64 offset1:96
	v_mul_u32_u24_sdwa v75, v79, s20 dst_sel:DWORD dst_unused:UNUSED_PAD src0_sel:WORD_1 src1_sel:DWORD
	v_pk_fma_f16 v41, v77, v75, v41
	v_pk_fma_f16 v37, v78, v75, v37
	v_mul_u32_u24_sdwa v75, v80, s20 dst_sel:DWORD dst_unused:UNUSED_PAD src0_sel:WORD_0 src1_sel:DWORD
	s_waitcnt lgkmcnt(0)
	v_pk_fma_f16 v41, v71, v75, v41
	v_pk_fma_f16 v37, v72, v75, v37
	ds_read2_b64 v[75:78], v42 offset0:128 offset1:160
	v_mul_u32_u24_sdwa v71, v80, s20 dst_sel:DWORD dst_unused:UNUSED_PAD src0_sel:WORD_1 src1_sel:DWORD
	v_pk_fma_f16 v41, v73, v71, v41
	v_pk_fma_f16 v37, v74, v71, v37
	v_mul_u32_u24_sdwa v71, v81, s20 dst_sel:DWORD dst_unused:UNUSED_PAD src0_sel:WORD_0 src1_sel:DWORD
	s_waitcnt lgkmcnt(0)
	v_pk_fma_f16 v41, v75, v71, v41
	v_pk_fma_f16 v37, v76, v71, v37
	ds_read2_b64 v[71:74], v42 offset0:192 offset1:224
	v_mul_u32_u24_sdwa v42, v81, s20 dst_sel:DWORD dst_unused:UNUSED_PAD src0_sel:WORD_1 src1_sel:DWORD
	v_pk_fma_f16 v41, v77, v42, v41
	v_pk_fma_f16 v37, v78, v42, v37
	v_mul_u32_u24_sdwa v42, v82, s20 dst_sel:DWORD dst_unused:UNUSED_PAD src0_sel:WORD_0 src1_sel:DWORD
	s_waitcnt lgkmcnt(0)
	v_pk_fma_f16 v41, v71, v42, v41
	v_pk_fma_f16 v37, v72, v42, v37
	v_add_u32_e32 v42, 0x1000, v40
	ds_read2_b64 v[75:78], v42 offset1:32
	v_mul_u32_u24_sdwa v71, v82, s20 dst_sel:DWORD dst_unused:UNUSED_PAD src0_sel:WORD_1 src1_sel:DWORD
	v_pk_fma_f16 v41, v73, v71, v41
	v_pk_fma_f16 v37, v74, v71, v37
	v_mul_u32_u24_sdwa v71, v83, s20 dst_sel:DWORD dst_unused:UNUSED_PAD src0_sel:WORD_0 src1_sel:DWORD
	s_waitcnt lgkmcnt(0)
	v_pk_fma_f16 v41, v75, v71, v41
	v_pk_fma_f16 v37, v76, v71, v37
	ds_read2_b64 v[71:74], v42 offset0:64 offset1:96
	v_mul_u32_u24_sdwa v75, v83, s20 dst_sel:DWORD dst_unused:UNUSED_PAD src0_sel:WORD_1 src1_sel:DWORD
	v_pk_fma_f16 v41, v77, v75, v41
	v_pk_fma_f16 v37, v78, v75, v37
	v_mul_u32_u24_sdwa v75, v84, s20 dst_sel:DWORD dst_unused:UNUSED_PAD src0_sel:WORD_0 src1_sel:DWORD
	s_waitcnt lgkmcnt(0)
	v_pk_fma_f16 v41, v71, v75, v41
	v_pk_fma_f16 v37, v72, v75, v37
	ds_read2_b64 v[75:78], v42 offset0:128 offset1:160
	v_mul_u32_u24_sdwa v71, v84, s20 dst_sel:DWORD dst_unused:UNUSED_PAD src0_sel:WORD_1 src1_sel:DWORD
	v_pk_fma_f16 v41, v73, v71, v41
	v_pk_fma_f16 v37, v74, v71, v37
	v_mul_u32_u24_sdwa v71, v85, s20 dst_sel:DWORD dst_unused:UNUSED_PAD src0_sel:WORD_0 src1_sel:DWORD
	s_waitcnt lgkmcnt(0)
	v_pk_fma_f16 v41, v75, v71, v41
	v_pk_fma_f16 v37, v76, v71, v37
	ds_read2_b64 v[71:74], v42 offset0:192 offset1:224
	v_mul_u32_u24_sdwa v42, v85, s20 dst_sel:DWORD dst_unused:UNUSED_PAD src0_sel:WORD_1 src1_sel:DWORD
	v_pk_fma_f16 v41, v77, v42, v41
	v_pk_fma_f16 v37, v78, v42, v37
	v_mul_u32_u24_sdwa v42, v86, s20 dst_sel:DWORD dst_unused:UNUSED_PAD src0_sel:WORD_0 src1_sel:DWORD
	s_waitcnt lgkmcnt(0)
	v_pk_fma_f16 v41, v71, v42, v41
	v_pk_fma_f16 v37, v72, v42, v37
	v_add_u32_e32 v42, 0x1800, v40
	ds_read2_b64 v[75:78], v42 offset1:32
	v_mul_u32_u24_sdwa v71, v86, s20 dst_sel:DWORD dst_unused:UNUSED_PAD src0_sel:WORD_1 src1_sel:DWORD
	v_pk_fma_f16 v41, v73, v71, v41
	v_pk_fma_f16 v37, v74, v71, v37
	v_mul_u32_u24_sdwa v71, v87, s20 dst_sel:DWORD dst_unused:UNUSED_PAD src0_sel:WORD_0 src1_sel:DWORD
	s_waitcnt lgkmcnt(0)
	v_pk_fma_f16 v41, v75, v71, v41
	v_pk_fma_f16 v37, v76, v71, v37
	ds_read2_b64 v[71:74], v42 offset0:64 offset1:96
	v_mul_u32_u24_sdwa v75, v87, s20 dst_sel:DWORD dst_unused:UNUSED_PAD src0_sel:WORD_1 src1_sel:DWORD
	v_pk_fma_f16 v41, v77, v75, v41
	v_pk_fma_f16 v37, v78, v75, v37
	v_mul_u32_u24_sdwa v75, v88, s20 dst_sel:DWORD dst_unused:UNUSED_PAD src0_sel:WORD_0 src1_sel:DWORD
	s_waitcnt lgkmcnt(0)
	v_pk_fma_f16 v41, v71, v75, v41
	v_pk_fma_f16 v37, v72, v75, v37
	ds_read2_b64 v[75:78], v42 offset0:128 offset1:160
	v_mul_u32_u24_sdwa v71, v88, s20 dst_sel:DWORD dst_unused:UNUSED_PAD src0_sel:WORD_1 src1_sel:DWORD
	v_pk_fma_f16 v41, v73, v71, v41
	v_pk_fma_f16 v37, v74, v71, v37
	v_mul_u32_u24_sdwa v71, v89, s20 dst_sel:DWORD dst_unused:UNUSED_PAD src0_sel:WORD_0 src1_sel:DWORD
	s_waitcnt lgkmcnt(0)
	v_pk_fma_f16 v41, v75, v71, v41
	v_pk_fma_f16 v37, v76, v71, v37
	ds_read2_b64 v[71:74], v42 offset0:192 offset1:224
	v_mul_u32_u24_sdwa v42, v89, s20 dst_sel:DWORD dst_unused:UNUSED_PAD src0_sel:WORD_1 src1_sel:DWORD
	v_pk_fma_f16 v41, v77, v42, v41
	v_pk_fma_f16 v37, v78, v42, v37
	v_add_u32_e32 v87, 0x2000, v40
	ds_read_b128 v[75:78], v58 offset:64
	ds_read2_b64 v[79:82], v87 offset1:32
	v_mul_u32_u24_sdwa v42, v90, s20 dst_sel:DWORD dst_unused:UNUSED_PAD src0_sel:WORD_0 src1_sel:DWORD
	ds_read2_b64 v[83:86], v87 offset0:64 offset1:96
	s_waitcnt lgkmcnt(3)
	v_pk_fma_f16 v41, v71, v42, v41
	v_pk_fma_f16 v37, v72, v42, v37
	v_mul_u32_u24_sdwa v42, v90, s20 dst_sel:DWORD dst_unused:UNUSED_PAD src0_sel:WORD_1 src1_sel:DWORD
	v_pk_fma_f16 v41, v73, v42, v41
	v_pk_fma_f16 v37, v74, v42, v37
	s_waitcnt lgkmcnt(2)
	v_mul_u32_u24_sdwa v42, v75, s20 dst_sel:DWORD dst_unused:UNUSED_PAD src0_sel:WORD_0 src1_sel:DWORD
	s_waitcnt lgkmcnt(1)
	v_pk_fma_f16 v41, v79, v42, v41
	v_pk_fma_f16 v37, v80, v42, v37
	v_mul_u32_u24_sdwa v42, v75, s20 dst_sel:DWORD dst_unused:UNUSED_PAD src0_sel:WORD_1 src1_sel:DWORD
	v_pk_fma_f16 v41, v81, v42, v41
	v_pk_fma_f16 v37, v82, v42, v37
	v_mul_u32_u24_sdwa v42, v76, s20 dst_sel:DWORD dst_unused:UNUSED_PAD src0_sel:WORD_0 src1_sel:DWORD
	ds_read2_b64 v[79:82], v87 offset0:128 offset1:160
	s_waitcnt lgkmcnt(1)
	v_pk_fma_f16 v41, v83, v42, v41
	v_pk_fma_f16 v37, v84, v42, v37
	v_mul_u32_u24_sdwa v42, v76, s20 dst_sel:DWORD dst_unused:UNUSED_PAD src0_sel:WORD_1 src1_sel:DWORD
	v_pk_fma_f16 v41, v85, v42, v41
	v_pk_fma_f16 v37, v86, v42, v37
	ds_read2_b64 v[83:86], v87 offset0:192 offset1:224
	v_mul_u32_u24_sdwa v42, v77, s20 dst_sel:DWORD dst_unused:UNUSED_PAD src0_sel:WORD_0 src1_sel:DWORD
	s_waitcnt lgkmcnt(1)
	v_pk_fma_f16 v41, v79, v42, v41
	v_pk_fma_f16 v37, v80, v42, v37
	v_mul_u32_u24_sdwa v42, v77, s20 dst_sel:DWORD dst_unused:UNUSED_PAD src0_sel:WORD_1 src1_sel:DWORD
	v_pk_fma_f16 v41, v81, v42, v41
	v_pk_fma_f16 v37, v82, v42, v37
	v_mul_u32_u24_sdwa v42, v78, s20 dst_sel:DWORD dst_unused:UNUSED_PAD src0_sel:WORD_0 src1_sel:DWORD
	ds_read_b128 v[71:74], v58 offset:80
	s_waitcnt lgkmcnt(1)
	v_pk_fma_f16 v41, v83, v42, v41
	v_pk_fma_f16 v37, v84, v42, v37
	v_add_u32_e32 v42, 0x2800, v40
	ds_read2_b64 v[79:82], v42 offset1:32
	v_mul_u32_u24_sdwa v75, v78, s20 dst_sel:DWORD dst_unused:UNUSED_PAD src0_sel:WORD_1 src1_sel:DWORD
	v_pk_fma_f16 v41, v85, v75, v41
	v_pk_fma_f16 v37, v86, v75, v37
	s_waitcnt lgkmcnt(1)
	v_mul_u32_u24_sdwa v75, v71, s20 dst_sel:DWORD dst_unused:UNUSED_PAD src0_sel:WORD_0 src1_sel:DWORD
	s_waitcnt lgkmcnt(0)
	v_pk_fma_f16 v41, v79, v75, v41
	v_pk_fma_f16 v37, v80, v75, v37
	ds_read2_b64 v[75:78], v42 offset0:64 offset1:96
	v_mul_u32_u24_sdwa v71, v71, s20 dst_sel:DWORD dst_unused:UNUSED_PAD src0_sel:WORD_1 src1_sel:DWORD
	v_pk_fma_f16 v41, v81, v71, v41
	v_pk_fma_f16 v37, v82, v71, v37
	v_mul_u32_u24_sdwa v71, v72, s20 dst_sel:DWORD dst_unused:UNUSED_PAD src0_sel:WORD_0 src1_sel:DWORD
	ds_read2_b64 v[79:82], v42 offset0:128 offset1:160
	s_waitcnt lgkmcnt(1)
	v_pk_fma_f16 v41, v75, v71, v41
	v_pk_fma_f16 v37, v76, v71, v37
	v_mul_u32_u24_sdwa v71, v72, s20 dst_sel:DWORD dst_unused:UNUSED_PAD src0_sel:WORD_1 src1_sel:DWORD
	v_pk_fma_f16 v41, v77, v71, v41
	v_pk_fma_f16 v37, v78, v71, v37
	ds_read2_b64 v[75:78], v42 offset0:192 offset1:224
	v_mul_u32_u24_sdwa v71, v73, s20 dst_sel:DWORD dst_unused:UNUSED_PAD src0_sel:WORD_0 src1_sel:DWORD
	s_waitcnt lgkmcnt(1)
	v_pk_fma_f16 v41, v79, v71, v41
	v_pk_fma_f16 v37, v80, v71, v37
	v_mul_u32_u24_sdwa v42, v73, s20 dst_sel:DWORD dst_unused:UNUSED_PAD src0_sel:WORD_1 src1_sel:DWORD
	v_pk_fma_f16 v41, v81, v42, v41
	v_pk_fma_f16 v37, v82, v42, v37
	v_mul_u32_u24_sdwa v42, v74, s20 dst_sel:DWORD dst_unused:UNUSED_PAD src0_sel:WORD_0 src1_sel:DWORD
	s_waitcnt lgkmcnt(0)
	v_pk_fma_f16 v41, v75, v42, v41
	v_pk_fma_f16 v37, v76, v42, v37
	v_mul_u32_u24_sdwa v42, v74, s20 dst_sel:DWORD dst_unused:UNUSED_PAD src0_sel:WORD_1 src1_sel:DWORD
	v_add_u32_e32 v87, 0x3000, v40
	ds_read_b128 v[71:74], v58 offset:96
	ds_read2_b64 v[79:82], v87 offset1:32
	ds_read2_b64 v[83:86], v87 offset0:64 offset1:96
	v_pk_fma_f16 v41, v77, v42, v41
	v_pk_fma_f16 v37, v78, v42, v37
	s_waitcnt lgkmcnt(2)
	v_mul_u32_u24_sdwa v42, v71, s20 dst_sel:DWORD dst_unused:UNUSED_PAD src0_sel:WORD_0 src1_sel:DWORD
	s_waitcnt lgkmcnt(1)
	v_pk_fma_f16 v41, v79, v42, v41
	v_pk_fma_f16 v37, v80, v42, v37
	v_mul_u32_u24_sdwa v42, v71, s20 dst_sel:DWORD dst_unused:UNUSED_PAD src0_sel:WORD_1 src1_sel:DWORD
	v_pk_fma_f16 v41, v81, v42, v41
	v_pk_fma_f16 v37, v82, v42, v37
	v_mul_u32_u24_sdwa v42, v72, s20 dst_sel:DWORD dst_unused:UNUSED_PAD src0_sel:WORD_0 src1_sel:DWORD
	ds_read2_b64 v[79:82], v87 offset0:128 offset1:160
	s_waitcnt lgkmcnt(1)
	v_pk_fma_f16 v41, v83, v42, v41
	v_pk_fma_f16 v37, v84, v42, v37
	v_mul_u32_u24_sdwa v42, v72, s20 dst_sel:DWORD dst_unused:UNUSED_PAD src0_sel:WORD_1 src1_sel:DWORD
	v_pk_fma_f16 v41, v85, v42, v41
	v_pk_fma_f16 v37, v86, v42, v37
	ds_read2_b64 v[83:86], v87 offset0:192 offset1:224
	v_mul_u32_u24_sdwa v42, v73, s20 dst_sel:DWORD dst_unused:UNUSED_PAD src0_sel:WORD_0 src1_sel:DWORD
	s_waitcnt lgkmcnt(1)
	v_pk_fma_f16 v41, v79, v42, v41
	v_pk_fma_f16 v37, v80, v42, v37
	v_mul_u32_u24_sdwa v42, v73, s20 dst_sel:DWORD dst_unused:UNUSED_PAD src0_sel:WORD_1 src1_sel:DWORD
	v_pk_fma_f16 v41, v81, v42, v41
	v_pk_fma_f16 v37, v82, v42, v37
	v_mul_u32_u24_sdwa v42, v74, s20 dst_sel:DWORD dst_unused:UNUSED_PAD src0_sel:WORD_0 src1_sel:DWORD
	ds_read_b128 v[75:78], v58 offset:112
	s_waitcnt lgkmcnt(1)
	v_pk_fma_f16 v41, v83, v42, v41
	v_pk_fma_f16 v37, v84, v42, v37
	v_add_u32_e32 v42, 0x3800, v40
	ds_read2_b64 v[79:82], v42 offset1:32
	v_mul_u32_u24_sdwa v71, v74, s20 dst_sel:DWORD dst_unused:UNUSED_PAD src0_sel:WORD_1 src1_sel:DWORD
	v_pk_fma_f16 v41, v85, v71, v41
	v_pk_fma_f16 v37, v86, v71, v37
	s_waitcnt lgkmcnt(1)
	v_mul_u32_u24_sdwa v71, v75, s20 dst_sel:DWORD dst_unused:UNUSED_PAD src0_sel:WORD_0 src1_sel:DWORD
	s_waitcnt lgkmcnt(0)
	v_pk_fma_f16 v41, v79, v71, v41
	v_pk_fma_f16 v37, v80, v71, v37
	ds_read2_b64 v[71:74], v42 offset0:64 offset1:96
	v_mul_u32_u24_sdwa v75, v75, s20 dst_sel:DWORD dst_unused:UNUSED_PAD src0_sel:WORD_1 src1_sel:DWORD
	v_pk_fma_f16 v41, v81, v75, v41
	v_pk_fma_f16 v37, v82, v75, v37
	ds_read2_b64 v[79:82], v42 offset0:128 offset1:160
	v_mul_u32_u24_sdwa v75, v76, s20 dst_sel:DWORD dst_unused:UNUSED_PAD src0_sel:WORD_0 src1_sel:DWORD
	s_waitcnt lgkmcnt(1)
	v_pk_fma_f16 v41, v71, v75, v41
	v_pk_fma_f16 v37, v72, v75, v37
	v_mul_u32_u24_sdwa v71, v76, s20 dst_sel:DWORD dst_unused:UNUSED_PAD src0_sel:WORD_1 src1_sel:DWORD
	v_pk_fma_f16 v41, v73, v71, v41
	v_pk_fma_f16 v37, v74, v71, v37
	v_mul_u32_u24_sdwa v71, v77, s20 dst_sel:DWORD dst_unused:UNUSED_PAD src0_sel:WORD_0 src1_sel:DWORD
	s_waitcnt lgkmcnt(0)
	v_pk_fma_f16 v41, v79, v71, v41
	v_pk_fma_f16 v37, v80, v71, v37
	v_mul_u32_u24_sdwa v71, v77, s20 dst_sel:DWORD dst_unused:UNUSED_PAD src0_sel:WORD_1 src1_sel:DWORD
	v_pk_fma_f16 v41, v81, v71, v41
	v_pk_fma_f16 v37, v82, v71, v37
	ds_read2_b64 v[71:74], v42 offset0:192 offset1:224
	s_waitcnt lgkmcnt(0)
	s_barrier
	s_load_dword s21, s[10:11], 0x4
	v_mul_u32_u24_sdwa v42, v78, s20 dst_sel:DWORD dst_unused:UNUSED_PAD src0_sel:WORD_0 src1_sel:DWORD
	v_pk_fma_f16 v41, v71, v42, v41
	v_pk_fma_f16 v37, v72, v42, v37
	v_mul_u32_u24_sdwa v42, v78, s20 dst_sel:DWORD dst_unused:UNUSED_PAD src0_sel:WORD_1 src1_sel:DWORD
	s_waitcnt lgkmcnt(0)
	s_lshl_b32 s21, s21, 6
	s_add_i32 s38, s21, s38
	v_pk_fma_f16 v41, v73, v42, v41
	s_cmp_lt_i32 s38, s15
	v_pk_fma_f16 v42, v74, v42, v37
	s_cbranch_scc0 .LBB65_16
; %bb.14:                               ;   in Loop: Header=BB65_8 Depth=1
	v_mov_b32_e32 v72, v5
	v_mov_b32_e32 v71, v36
	s_branch .LBB65_8
.LBB65_15:
	v_mov_b32_e32 v42, 0
	v_mov_b32_e32 v5, 0xfeffffff
	;; [unrolled: 1-line block ×3, first 2 shown]
.LBB65_16:
	s_cmp_gt_i32 s16, s38
	s_cbranch_scc1 .LBB65_18
; %bb.17:
	v_mbcnt_hi_u32_b32 v12, -1, v44
	v_xor_b32_e32 v0, 16, v12
	buffer_store_dword v0, off, s[0:3], 0 offset:20 ; 4-byte Folded Spill
	v_xor_b32_e32 v0, 8, v12
	v_and_b32_e32 v2, 0x60, v12
	buffer_store_dword v0, off, s[0:3], 0 offset:16 ; 4-byte Folded Spill
	v_xor_b32_e32 v0, 4, v12
	v_add_u32_e32 v13, 32, v2
	buffer_store_dword v0, off, s[0:3], 0 offset:24 ; 4-byte Folded Spill
	v_xor_b32_e32 v0, 2, v12
	v_xor_b32_e32 v18, 1, v12
	buffer_store_dword v0, off, s[0:3], 0 offset:28 ; 4-byte Folded Spill
	s_cbranch_execz .LBB65_19
	s_branch .LBB65_29
.LBB65_18:
                                        ; implicit-def: $vgpr0
                                        ; kill: killed $vgpr0
                                        ; implicit-def: $vgpr0
                                        ; kill: killed $vgpr0
                                        ; implicit-def: $vgpr12
                                        ; implicit-def: $vgpr13
                                        ; implicit-def: $vgpr18
                                        ; implicit-def: $vgpr0
                                        ; kill: killed $vgpr0
                                        ; implicit-def: $vgpr0
                                        ; kill: killed $vgpr0
.LBB65_19:
	v_lshl_add_u32 v2, v1, 1, v48
	v_mul_lo_u32 v13, s12, v2
	s_mul_hi_i32 s11, s38, s12
	s_mul_i32 s10, s38, s12
	s_sub_i32 s39, s16, s38
	s_lshl_b64 s[10:11], s[10:11], 2
	v_ashrrev_i32_e32 v14, 31, v13
	s_add_u32 s20, s14, s10
	v_lshlrev_b64 v[3:4], 2, v[13:14]
	s_addc_u32 s21, s13, s11
	v_mov_b32_e32 v7, s21
	v_add_co_u32_e32 v3, vcc, s20, v3
	v_lshlrev_b32_e32 v6, 2, v47
	v_addc_co_u32_e32 v4, vcc, v7, v4, vcc
	s_mov_b64 s[6:7], src_private_base
	v_add_co_u32_e32 v3, vcc, v3, v6
	v_mov_b32_e32 v12, 0
	v_addc_co_u32_e32 v4, vcc, 0, v4, vcc
	v_mov_b32_e32 v20, s7
	v_cmp_gt_i32_e64 s[6:7], s39, v2
	v_mov_b32_e32 v21, 0
	buffer_store_dword v12, off, s[0:3], 0
	buffer_store_dword v12, off, s[0:3], 0 offset:4
	buffer_store_dword v12, off, s[0:3], 0 offset:8
	;; [unrolled: 1-line block ×3, first 2 shown]
	v_cndmask_b32_e64 v4, v20, v4, s[6:7]
	v_cndmask_b32_e64 v3, v21, v3, s[6:7]
	flat_load_dwordx4 v[7:10], v[3:4]
	s_lshl_b32 s23, s12, 3
	v_add_u32_e32 v13, s23, v13
	v_ashrrev_i32_e32 v14, 31, v13
	v_lshlrev_b64 v[14:15], 2, v[13:14]
	v_mov_b32_e32 v4, s21
	v_add_co_u32_e32 v11, vcc, s20, v14
	v_addc_co_u32_e32 v4, vcc, v4, v15, vcc
	s_movk_i32 s10, 0x110
	v_add_u32_e32 v3, 8, v2
	v_add_co_u32_e32 v11, vcc, v11, v6
	v_mad_u32_u24 v22, v2, s10, v6
	v_addc_co_u32_e32 v4, vcc, 0, v4, vcc
	v_cmp_gt_i32_e64 s[10:11], s39, v3
	buffer_store_dword v12, off, s[0:3], 0
	buffer_store_dword v12, off, s[0:3], 0 offset:4
	buffer_store_dword v12, off, s[0:3], 0 offset:8
	;; [unrolled: 1-line block ×3, first 2 shown]
	v_cndmask_b32_e64 v15, v20, v4, s[10:11]
	v_cndmask_b32_e64 v14, v21, v11, s[10:11]
	v_add_u32_e32 v13, s23, v13
	v_mov_b32_e32 v11, s21
	v_add_u32_e32 v4, 16, v2
	v_cmp_gt_i32_e64 s[24:25], s39, v4
	v_add_u32_e32 v17, s23, v13
	v_ashrrev_i32_e32 v18, 31, v17
	v_mov_b32_e32 v19, s21
	s_cmp_lg_u64 s[30:31], 0
	v_mul_lo_u32 v29, v45, s22
	s_waitcnt vmcnt(0) lgkmcnt(0)
	ds_write_b128 v22, v[7:10]
	flat_load_dwordx4 v[7:10], v[14:15]
	v_ashrrev_i32_e32 v14, 31, v13
	v_lshlrev_b64 v[14:15], 2, v[13:14]
	buffer_store_dword v12, off, s[0:3], 0
	buffer_store_dword v12, off, s[0:3], 0 offset:4
	buffer_store_dword v12, off, s[0:3], 0 offset:8
	;; [unrolled: 1-line block ×3, first 2 shown]
	v_add_co_u32_e32 v14, vcc, s20, v14
	v_addc_co_u32_e32 v11, vcc, v11, v15, vcc
	v_add_co_u32_e32 v14, vcc, v14, v6
	v_addc_co_u32_e32 v11, vcc, 0, v11, vcc
	v_cndmask_b32_e64 v15, v20, v11, s[24:25]
	v_cndmask_b32_e64 v14, v21, v14, s[24:25]
	s_waitcnt vmcnt(0) lgkmcnt(0)
	ds_write_b128 v22, v[7:10] offset:2176
	flat_load_dwordx4 v[8:11], v[14:15]
	v_lshlrev_b64 v[13:14], 2, v[17:18]
	v_mov_b32_e32 v15, s21
	v_add_co_u32_e32 v13, vcc, s20, v13
	v_addc_co_u32_e32 v14, vcc, v15, v14, vcc
	v_add_u32_e32 v7, 24, v2
	v_add_co_u32_e32 v13, vcc, v13, v6
	v_addc_co_u32_e32 v14, vcc, 0, v14, vcc
	v_cmp_gt_i32_e64 s[12:13], s39, v7
	v_cndmask_b32_e64 v14, v20, v14, s[12:13]
	v_cndmask_b32_e64 v13, v21, v13, s[12:13]
	buffer_store_dword v12, off, s[0:3], 0
	buffer_store_dword v12, off, s[0:3], 0 offset:4
	buffer_store_dword v12, off, s[0:3], 0 offset:8
	;; [unrolled: 1-line block ×3, first 2 shown]
	s_waitcnt vmcnt(0) lgkmcnt(0)
	ds_write_b128 v22, v[8:11] offset:4352
	flat_load_dwordx4 v[13:16], v[13:14]
	v_add_u32_e32 v10, s23, v17
	v_ashrrev_i32_e32 v11, 31, v10
	v_lshlrev_b64 v[17:18], 2, v[10:11]
	v_mov_b32_e32 v9, s21
	v_add_co_u32_e32 v11, vcc, s20, v17
	v_addc_co_u32_e32 v9, vcc, v9, v18, vcc
	v_add_u32_e32 v8, 32, v2
	v_add_co_u32_e32 v11, vcc, v11, v6
	v_addc_co_u32_e32 v9, vcc, 0, v9, vcc
	v_cmp_gt_i32_e64 s[14:15], s39, v8
	v_cndmask_b32_e64 v18, v20, v9, s[14:15]
	v_cndmask_b32_e64 v17, v21, v11, s[14:15]
	buffer_store_dword v12, off, s[0:3], 0
	buffer_store_dword v12, off, s[0:3], 0 offset:4
	buffer_store_dword v12, off, s[0:3], 0 offset:8
	;; [unrolled: 1-line block ×3, first 2 shown]
	v_add_u32_e32 v9, 40, v2
	v_cmp_gt_i32_e64 s[16:17], s39, v9
	s_waitcnt vmcnt(0) lgkmcnt(0)
	ds_write_b128 v22, v[13:16] offset:6528
	flat_load_dwordx4 v[13:16], v[17:18]
	v_add_u32_e32 v17, s23, v10
	v_ashrrev_i32_e32 v18, 31, v17
	v_lshlrev_b64 v[10:11], 2, v[17:18]
	buffer_store_dword v12, off, s[0:3], 0
	buffer_store_dword v12, off, s[0:3], 0 offset:4
	buffer_store_dword v12, off, s[0:3], 0 offset:8
	;; [unrolled: 1-line block ×3, first 2 shown]
	v_add_co_u32_e32 v10, vcc, s20, v10
	v_addc_co_u32_e32 v11, vcc, v19, v11, vcc
	v_add_co_u32_e32 v10, vcc, v10, v6
	v_addc_co_u32_e32 v11, vcc, 0, v11, vcc
	v_cndmask_b32_e64 v11, v20, v11, s[16:17]
	v_cndmask_b32_e64 v10, v21, v10, s[16:17]
	v_add_u32_e32 v17, s23, v17
	v_ashrrev_i32_e32 v18, 31, v17
	v_lshlrev_b64 v[18:19], 2, v[17:18]
	v_add_u32_e32 v17, s23, v17
	v_add_co_u32_e32 v18, vcc, s20, v18
	s_cselect_b64 s[22:23], -1, 0
	s_waitcnt vmcnt(0) lgkmcnt(0)
	ds_write_b128 v22, v[13:16] offset:8704
	flat_load_dwordx4 v[13:16], v[10:11]
	v_mov_b32_e32 v11, s21
	v_addc_co_u32_e32 v11, vcc, v11, v19, vcc
	v_add_u32_e32 v10, 48, v2
	v_add_co_u32_e32 v18, vcc, v18, v6
	v_addc_co_u32_e32 v11, vcc, 0, v11, vcc
	v_cmp_gt_i32_e64 s[18:19], s39, v10
	v_cndmask_b32_e64 v19, v20, v11, s[18:19]
	v_cndmask_b32_e64 v18, v21, v18, s[18:19]
	buffer_store_dword v12, off, s[0:3], 0
	buffer_store_dword v12, off, s[0:3], 0 offset:4
	buffer_store_dword v12, off, s[0:3], 0 offset:8
	;; [unrolled: 1-line block ×3, first 2 shown]
	v_add_u32_e32 v11, 56, v2
	s_waitcnt vmcnt(0) lgkmcnt(0)
	ds_write_b128 v22, v[13:16] offset:10880
	flat_load_dwordx4 v[13:16], v[18:19]
	v_ashrrev_i32_e32 v18, 31, v17
	v_lshlrev_b64 v[17:18], 2, v[17:18]
	v_mov_b32_e32 v19, s21
	v_add_co_u32_e32 v17, vcc, s20, v17
	v_addc_co_u32_e32 v18, vcc, v19, v18, vcc
	v_add_co_u32_e32 v17, vcc, v17, v6
	v_addc_co_u32_e32 v18, vcc, 0, v18, vcc
	v_cmp_gt_i32_e64 s[20:21], s39, v11
	v_cndmask_b32_e64 v18, v20, v18, s[20:21]
	v_cndmask_b32_e64 v17, v21, v17, s[20:21]
	buffer_store_dword v12, off, s[0:3], 0
	buffer_store_dword v12, off, s[0:3], 0 offset:4
	buffer_store_dword v12, off, s[0:3], 0 offset:8
	;; [unrolled: 1-line block ×3, first 2 shown]
	v_mov_b32_e32 v19, 0
	v_mov_b32_e32 v20, 0
	v_cmp_gt_i32_e32 vcc, s39, v38
	s_waitcnt vmcnt(0) lgkmcnt(0)
	ds_write_b128 v22, v[13:16] offset:13056
	flat_load_dwordx4 v[14:17], v[17:18]
	v_mul_u32_u24_e32 v13, 0x110, v38
	s_waitcnt vmcnt(0) lgkmcnt(0)
	ds_write_b128 v22, v[14:17] offset:15232
	s_waitcnt lgkmcnt(0)
	s_barrier
	ds_read_b128 v[14:17], v13
	ds_read_b128 v[21:24], v46
	ds_read_b128 v[25:28], v13 offset:8704
	s_waitcnt lgkmcnt(1)
	;;#ASMSTART
	v_dot2_f32_f16 v19, v14, v21, v19
	;;#ASMEND
	;;#ASMSTART
	v_dot2_f32_f16 v19, v15, v22, v19
	;;#ASMEND
	;;#ASMSTART
	v_dot2_f32_f16 v19, v16, v23, v19
	;;#ASMEND
	;;#ASMSTART
	v_dot2_f32_f16 v19, v17, v24, v19
	;;#ASMEND
	s_waitcnt lgkmcnt(0)
	;;#ASMSTART
	v_dot2_f32_f16 v20, v25, v21, v20
	;;#ASMEND
	;;#ASMSTART
	v_dot2_f32_f16 v20, v26, v22, v20
	;;#ASMEND
	;;#ASMSTART
	v_dot2_f32_f16 v20, v27, v23, v20
	;;#ASMEND
	;;#ASMSTART
	v_dot2_f32_f16 v20, v28, v24, v20
	;;#ASMEND
	ds_read_b128 v[14:17], v13 offset:16
	ds_read_b128 v[21:24], v46 offset:16
	ds_read_b128 v[25:28], v13 offset:8720
	s_waitcnt lgkmcnt(1)
	;;#ASMSTART
	v_dot2_f32_f16 v19, v14, v21, v19
	;;#ASMEND
	;;#ASMSTART
	v_dot2_f32_f16 v19, v15, v22, v19
	;;#ASMEND
	;;#ASMSTART
	v_dot2_f32_f16 v19, v16, v23, v19
	;;#ASMEND
	;;#ASMSTART
	v_dot2_f32_f16 v19, v17, v24, v19
	;;#ASMEND
	s_waitcnt lgkmcnt(0)
	;;#ASMSTART
	v_dot2_f32_f16 v20, v25, v21, v20
	;;#ASMEND
	;;#ASMSTART
	v_dot2_f32_f16 v20, v26, v22, v20
	;;#ASMEND
	;;#ASMSTART
	v_dot2_f32_f16 v20, v27, v23, v20
	;;#ASMEND
	;;#ASMSTART
	v_dot2_f32_f16 v20, v28, v24, v20
	;;#ASMEND
	ds_read_b128 v[14:17], v13 offset:32
	ds_read_b128 v[21:24], v46 offset:32
	;; [unrolled: 29-line block ×15, first 2 shown]
	v_cndmask_b32_e64 v25, 0, 1, s[22:23]
	v_cmp_ne_u32_e64 s[22:23], 1, v25
	ds_read_b128 v[25:28], v13 offset:8944
	s_waitcnt lgkmcnt(1)
	;;#ASMSTART
	v_dot2_f32_f16 v19, v15, v21, v19
	;;#ASMEND
	;;#ASMSTART
	v_dot2_f32_f16 v19, v16, v22, v19
	;;#ASMEND
	;; [unrolled: 3-line block ×4, first 2 shown]
	s_waitcnt lgkmcnt(0)
	;;#ASMSTART
	v_dot2_f32_f16 v20, v25, v21, v20
	;;#ASMEND
	;;#ASMSTART
	v_dot2_f32_f16 v20, v26, v22, v20
	;;#ASMEND
	v_add_u32_e32 v14, s38, v29
	;;#ASMSTART
	v_dot2_f32_f16 v20, v27, v23, v20
	;;#ASMEND
	v_mov_b32_e32 v16, v5
	;;#ASMSTART
	v_dot2_f32_f16 v20, v28, v24, v20
	;;#ASMEND
	s_and_saveexec_b64 s[34:35], vcc
	s_cbranch_execz .LBB65_23
; %bb.20:
	s_and_b64 vcc, exec, s[22:23]
	s_cbranch_vccnz .LBB65_22
; %bb.21:
	v_add_u32_e32 v12, v14, v38
	v_ashrrev_i32_e32 v13, 31, v12
	v_lshlrev_b64 v[12:13], 1, v[12:13]
	v_mov_b32_e32 v15, s31
	v_add_co_u32_e32 v12, vcc, s30, v12
	v_addc_co_u32_e32 v13, vcc, v15, v13, vcc
	global_load_ushort v12, v[12:13], off
	s_waitcnt vmcnt(0)
	v_cvt_f32_f16_e32 v12, v12
	v_mul_f32_e32 v12, v43, v12
.LBB65_22:
	v_add_f32_e32 v19, v19, v12
	v_add_f32_e32 v12, 0x40051340, v19
	v_max_f32_e32 v13, v5, v5
	v_max_f32_e32 v16, v13, v12
.LBB65_23:
	s_or_b64 exec, exec, s[34:35]
	v_add_u32_e32 v22, 32, v38
	v_cmp_gt_i32_e32 vcc, s39, v22
	s_and_saveexec_b64 s[34:35], vcc
	s_cbranch_execz .LBB65_28
; %bb.24:
	s_and_b64 vcc, exec, s[22:23]
	s_cbranch_vccnz .LBB65_26
; %bb.25:
	v_ashrrev_i32_e32 v13, 31, v14
	v_add_co_u32_e32 v12, vcc, v14, v38
	v_addc_co_u32_e32 v13, vcc, 0, v13, vcc
	v_lshlrev_b64 v[12:13], 1, v[12:13]
	v_mov_b32_e32 v14, s31
	v_add_co_u32_e32 v12, vcc, s30, v12
	v_addc_co_u32_e32 v13, vcc, v14, v13, vcc
	global_load_ushort v12, v[12:13], off offset:64
	s_waitcnt vmcnt(0)
	v_cvt_f32_f16_e32 v12, v12
	v_mul_f32_e32 v12, v43, v12
	s_branch .LBB65_27
.LBB65_26:
	v_mov_b32_e32 v12, 0
.LBB65_27:
	v_add_f32_e32 v20, v20, v12
	v_add_f32_e32 v12, 0x40051340, v20
	v_max_f32_e32 v13, v16, v16
	v_max_f32_e32 v16, v13, v12
.LBB65_28:
	s_or_b64 exec, exec, s[34:35]
	v_mbcnt_hi_u32_b32 v12, -1, v44
	v_and_b32_e32 v13, 0x60, v12
	v_add_u32_e32 v13, 32, v13
	v_xor_b32_e32 v0, 16, v12
	v_cmp_lt_i32_e32 vcc, v0, v13
	v_cndmask_b32_e32 v14, v12, v0, vcc
	v_lshlrev_b32_e32 v14, 2, v14
	ds_bpermute_b32 v17, v14, v16
	buffer_store_dword v110, off, s[0:3], 0 offset:44 ; 4-byte Folded Spill
	buffer_store_dword v39, off, s[0:3], 0 offset:40 ; 4-byte Folded Spill
	;; [unrolled: 1-line block ×3, first 2 shown]
	v_xor_b32_e32 v0, 8, v12
	v_cmp_lt_i32_e32 vcc, v0, v13
	v_cndmask_b32_e32 v18, v12, v0, vcc
	s_waitcnt lgkmcnt(0)
	v_max_f32_e32 v17, v17, v17
	v_max_f32_e32 v16, v16, v16
	v_lshlrev_b32_e32 v18, 2, v18
	v_max_f32_e32 v17, v16, v17
	ds_bpermute_b32 v18, v18, v17
	buffer_store_dword v0, off, s[0:3], 0 offset:16 ; 4-byte Folded Spill
	v_xor_b32_e32 v0, 4, v12
	v_cmp_lt_i32_e32 vcc, v0, v13
	v_cndmask_b32_e32 v21, v12, v0, vcc
	s_waitcnt lgkmcnt(0)
	v_max_f32_e32 v18, v18, v18
	v_lshlrev_b32_e32 v21, 2, v21
	v_max_f32_e32 v18, v17, v18
	ds_bpermute_b32 v21, v21, v18
	buffer_store_dword v0, off, s[0:3], 0 offset:24 ; 4-byte Folded Spill
	v_xor_b32_e32 v0, 2, v12
	v_cmp_lt_i32_e32 vcc, v0, v13
	v_cndmask_b32_e32 v23, v12, v0, vcc
	s_waitcnt lgkmcnt(0)
	v_max_f32_e32 v21, v21, v21
	v_lshlrev_b32_e32 v23, 2, v23
	v_max_f32_e32 v21, v18, v21
	ds_bpermute_b32 v23, v23, v21
	v_xor_b32_e32 v18, 1, v12
	v_cmp_lt_i32_e32 vcc, v18, v13
	v_cndmask_b32_e32 v24, v12, v18, vcc
	v_lshlrev_b32_e32 v24, 2, v24
	s_waitcnt lgkmcnt(0)
	v_max_f32_e32 v23, v23, v23
	v_max_f32_e32 v21, v21, v23
	ds_bpermute_b32 v23, v24, v21
	s_mov_b32 s31, 0x3fb8aa3b
	s_mov_b64 s[22:23], src_private_base
	s_mov_b32 s22, 0xc2ce8ed0
	s_mov_b32 s30, 0x42b17218
	s_waitcnt lgkmcnt(0)
	v_max_f32_e32 v23, v23, v23
	v_max_f32_e32 v21, v21, v23
	v_sub_f32_e32 v25, v19, v21
	v_mul_f32_e32 v19, 0x3fb8aa3b, v25
	v_fma_f32 v23, v25, s31, -v19
	v_rndne_f32_e32 v26, v19
	v_fmac_f32_e32 v23, 0x32a5705f, v25
	v_sub_f32_e32 v19, v19, v26
	v_add_f32_e32 v19, v19, v23
	v_exp_f32_e32 v23, v19
	v_cvt_i32_f32_e32 v26, v26
	v_lshlrev_b32_e32 v19, 7, v1
	v_cmp_ngt_f32_e32 vcc, s22, v25
	v_mul_lo_u32 v29, s8, v2
	v_ldexp_f32 v1, v23, v26
	v_cndmask_b32_e32 v1, 0, v1, vcc
	v_cmp_nlt_f32_e32 vcc, s30, v25
	v_sub_f32_e32 v25, v20, v21
	v_mul_f32_e32 v20, 0x3fb8aa3b, v25
	v_fma_f32 v26, v25, s31, -v20
	v_rndne_f32_e32 v27, v20
	v_fmac_f32_e32 v26, 0x32a5705f, v25
	v_sub_f32_e32 v20, v20, v27
	v_add_f32_e32 v20, v20, v26
	v_exp_f32_e32 v26, v20
	v_cvt_i32_f32_e32 v27, v27
	v_mov_b32_e32 v23, 0x7f800000
	v_cndmask_b32_e32 v1, v23, v1, vcc
	v_cmp_gt_u32_e32 vcc, s39, v38
	v_cndmask_b32_e32 v20, 0, v1, vcc
	v_ldexp_f32 v26, v26, v27
	v_cmp_ngt_f32_e32 vcc, s22, v25
	v_cndmask_b32_e32 v26, 0, v26, vcc
	v_cmp_nlt_f32_e32 vcc, s30, v25
	v_cndmask_b32_e32 v25, v23, v26, vcc
	v_cmp_gt_u32_e32 vcc, s39, v22
	v_cvt_f16_f32_e32 v1, v20
	v_cndmask_b32_e32 v22, 0, v25, vcc
	v_cvt_f16_f32_e32 v25, v22
	v_lshlrev_b32_e32 v26, 1, v38
	s_movk_i32 s34, 0x4800
	v_add3_u32 v26, v19, s34, v26
	s_mul_hi_i32 s35, s38, s8
	s_mul_i32 s34, s38, s8
	s_lshl_b64 s[34:35], s[34:35], 2
	v_ashrrev_i32_e32 v30, 31, v29
	buffer_store_dword v0, off, s[0:3], 0 offset:28 ; 4-byte Folded Spill
	s_waitcnt vmcnt(0)
	s_barrier
	ds_write_b16 v26, v1
	ds_write_b16 v26, v25 offset:64
	s_add_u32 s34, s36, s34
	v_lshlrev_b64 v[25:26], 2, v[29:30]
	s_addc_u32 s35, s37, s35
	v_mov_b32_e32 v1, s35
	v_add_co_u32_e32 v25, vcc, s34, v25
	v_addc_co_u32_e32 v1, vcc, v1, v26, vcc
	v_add_co_u32_e32 v25, vcc, v25, v6
	v_mov_b32_e32 v24, 0
	v_addc_co_u32_e32 v1, vcc, 0, v1, vcc
	v_mov_b32_e32 v31, s23
	v_mov_b32_e32 v32, 0
	buffer_store_dword v24, off, s[0:3], 0
	buffer_store_dword v24, off, s[0:3], 0 offset:4
	buffer_store_dword v24, off, s[0:3], 0 offset:8
	;; [unrolled: 1-line block ×3, first 2 shown]
	v_cndmask_b32_e64 v26, v31, v1, s[6:7]
	v_cndmask_b32_e64 v25, v32, v25, s[6:7]
	flat_load_dwordx4 v[25:28], v[25:26]
	s_lshl_b32 s6, s8, 3
	v_add_u32_e32 v1, s6, v29
	v_lshl_or_b32 v33, v2, 8, v6
	v_ashrrev_i32_e32 v2, 31, v1
	v_lshlrev_b64 v[29:30], 2, v[1:2]
	v_mov_b32_e32 v34, s35
	v_add_co_u32_e32 v2, vcc, s34, v29
	v_addc_co_u32_e32 v29, vcc, v34, v30, vcc
	v_add_co_u32_e32 v2, vcc, v2, v6
	v_addc_co_u32_e32 v29, vcc, 0, v29, vcc
	v_cndmask_b32_e64 v30, v31, v29, s[10:11]
	v_cndmask_b32_e64 v29, v32, v2, s[10:11]
	buffer_store_dword v24, off, s[0:3], 0
	buffer_store_dword v24, off, s[0:3], 0 offset:4
	buffer_store_dword v24, off, s[0:3], 0 offset:8
	;; [unrolled: 1-line block ×3, first 2 shown]
	v_add_u32_e32 v1, s6, v1
	v_ashrrev_i32_e32 v2, 31, v1
	v_lshl_or_b32 v7, v7, 8, v6
	v_sub_f32_e32 v5, v5, v21
	v_add_f32_e32 v117, v20, v22
	v_add_u32_e32 v37, 0x2800, v40
	v_add_u32_e32 v115, 0x3000, v40
	;; [unrolled: 1-line block ×3, first 2 shown]
	s_waitcnt vmcnt(0) lgkmcnt(0)
	ds_write_b128 v33, v[25:28]
	flat_load_dwordx4 v[25:28], v[29:30]
	v_lshl_or_b32 v29, v3, 8, v6
	v_lshlrev_b64 v[2:3], 2, v[1:2]
	v_mov_b32_e32 v30, s35
	v_add_co_u32_e32 v2, vcc, s34, v2
	v_addc_co_u32_e32 v3, vcc, v30, v3, vcc
	v_add_co_u32_e32 v2, vcc, v2, v6
	v_addc_co_u32_e32 v3, vcc, 0, v3, vcc
	v_cndmask_b32_e64 v3, v31, v3, s[24:25]
	v_cndmask_b32_e64 v2, v32, v2, s[24:25]
	buffer_store_dword v24, off, s[0:3], 0
	buffer_store_dword v24, off, s[0:3], 0 offset:4
	buffer_store_dword v24, off, s[0:3], 0 offset:8
	;; [unrolled: 1-line block ×3, first 2 shown]
	s_waitcnt vmcnt(0) lgkmcnt(0)
	ds_write_b128 v29, v[25:28]
	flat_load_dwordx4 v[25:28], v[2:3]
	v_add_u32_e32 v29, s6, v1
	v_ashrrev_i32_e32 v30, 31, v29
	v_lshlrev_b64 v[1:2], 2, v[29:30]
	v_lshl_or_b32 v3, v4, 8, v6
	v_mov_b32_e32 v4, s35
	v_add_co_u32_e32 v1, vcc, s34, v1
	v_addc_co_u32_e32 v2, vcc, v4, v2, vcc
	v_add_co_u32_e32 v1, vcc, v1, v6
	v_addc_co_u32_e32 v2, vcc, 0, v2, vcc
	v_cndmask_b32_e64 v2, v31, v2, s[12:13]
	v_cndmask_b32_e64 v1, v32, v1, s[12:13]
	buffer_store_dword v24, off, s[0:3], 0
	buffer_store_dword v24, off, s[0:3], 0 offset:4
	buffer_store_dword v24, off, s[0:3], 0 offset:8
	;; [unrolled: 1-line block ×3, first 2 shown]
	s_waitcnt vmcnt(0) lgkmcnt(0)
	ds_write_b128 v3, v[25:28]
	flat_load_dwordx4 v[1:4], v[1:2]
	v_add_u32_e32 v25, s6, v29
	v_ashrrev_i32_e32 v26, 31, v25
	v_lshlrev_b64 v[26:27], 2, v[25:26]
	v_mov_b32_e32 v28, s35
	v_add_co_u32_e32 v26, vcc, s34, v26
	v_addc_co_u32_e32 v27, vcc, v28, v27, vcc
	v_add_co_u32_e32 v26, vcc, v26, v6
	v_addc_co_u32_e32 v27, vcc, 0, v27, vcc
	v_cndmask_b32_e64 v27, v31, v27, s[14:15]
	v_cndmask_b32_e64 v26, v32, v26, s[14:15]
	buffer_store_dword v24, off, s[0:3], 0
	buffer_store_dword v24, off, s[0:3], 0 offset:4
	buffer_store_dword v24, off, s[0:3], 0 offset:8
	;; [unrolled: 1-line block ×3, first 2 shown]
	s_waitcnt vmcnt(0) lgkmcnt(0)
	ds_write_b128 v7, v[1:4]
	flat_load_dwordx4 v[1:4], v[26:27]
	v_add_u32_e32 v7, s6, v25
	v_lshl_or_b32 v27, v8, 8, v6
	v_ashrrev_i32_e32 v8, 31, v7
	v_lshlrev_b64 v[25:26], 2, v[7:8]
	buffer_store_dword v24, off, s[0:3], 0
	buffer_store_dword v24, off, s[0:3], 0 offset:4
	buffer_store_dword v24, off, s[0:3], 0 offset:8
	;; [unrolled: 1-line block ×3, first 2 shown]
	v_add_co_u32_e32 v8, vcc, s34, v25
	v_addc_co_u32_e32 v25, vcc, v28, v26, vcc
	v_add_co_u32_e32 v8, vcc, v8, v6
	v_addc_co_u32_e32 v25, vcc, 0, v25, vcc
	v_cndmask_b32_e64 v26, v31, v25, s[16:17]
	v_cndmask_b32_e64 v25, v32, v8, s[16:17]
	v_add_u32_e32 v7, s6, v7
	v_ashrrev_i32_e32 v8, 31, v7
	s_waitcnt vmcnt(0) lgkmcnt(0)
	ds_write_b128 v27, v[1:4]
	flat_load_dwordx4 v[1:4], v[25:26]
	v_lshl_or_b32 v25, v9, 8, v6
	v_lshlrev_b64 v[8:9], 2, v[7:8]
	v_mov_b32_e32 v26, s35
	v_add_co_u32_e32 v8, vcc, s34, v8
	v_addc_co_u32_e32 v9, vcc, v26, v9, vcc
	v_add_co_u32_e32 v8, vcc, v8, v6
	v_addc_co_u32_e32 v9, vcc, 0, v9, vcc
	v_cndmask_b32_e64 v9, v31, v9, s[18:19]
	v_cndmask_b32_e64 v8, v32, v8, s[18:19]
	buffer_store_dword v24, off, s[0:3], 0
	buffer_store_dword v24, off, s[0:3], 0 offset:4
	buffer_store_dword v24, off, s[0:3], 0 offset:8
	;; [unrolled: 1-line block ×3, first 2 shown]
	v_add_u32_e32 v7, s6, v7
	s_mov_b32 s6, 0x10001
	s_waitcnt vmcnt(0) lgkmcnt(0)
	ds_write_b128 v25, v[1:4]
	flat_load_dwordx4 v[1:4], v[8:9]
	v_ashrrev_i32_e32 v8, 31, v7
	v_lshlrev_b64 v[7:8], 2, v[7:8]
	v_lshl_or_b32 v9, v10, 8, v6
	v_mov_b32_e32 v10, s35
	v_add_co_u32_e32 v7, vcc, s34, v7
	v_addc_co_u32_e32 v8, vcc, v10, v8, vcc
	v_add_co_u32_e32 v7, vcc, v7, v6
	v_addc_co_u32_e32 v8, vcc, 0, v8, vcc
	v_cndmask_b32_e64 v8, v31, v8, s[20:21]
	v_cndmask_b32_e64 v7, v32, v7, s[20:21]
	buffer_store_dword v24, off, s[0:3], 0
	buffer_store_dword v24, off, s[0:3], 0 offset:4
	buffer_store_dword v24, off, s[0:3], 0 offset:8
	;; [unrolled: 1-line block ×3, first 2 shown]
	v_cmp_ngt_f32_e32 vcc, s22, v5
	v_lshl_or_b32 v6, v11, 8, v6
	v_add_u32_e32 v10, 0x1800, v40
	v_add_u32_e32 v11, 0x2000, v40
	s_waitcnt vmcnt(0) lgkmcnt(0)
	ds_write_b128 v9, v[1:4]
	flat_load_dwordx4 v[1:4], v[7:8]
	v_mul_f32_e32 v9, 0x3fb8aa3b, v5
	v_fma_f32 v24, v5, s31, -v9
	v_rndne_f32_e32 v25, v9
	v_fmac_f32_e32 v24, 0x32a5705f, v5
	v_sub_f32_e32 v9, v9, v25
	v_add_f32_e32 v9, v9, v24
	v_cvt_i32_f32_e32 v25, v25
	v_exp_f32_e32 v9, v9
	v_add_u32_e32 v7, 0x800, v40
	v_add_u32_e32 v8, 0x1000, v40
	v_ldexp_f32 v9, v9, v25
	v_cndmask_b32_e32 v9, 0, v9, vcc
	v_cmp_nlt_f32_e32 vcc, s30, v5
	v_cndmask_b32_e32 v9, v23, v9, vcc
	v_cvt_f16_f32_e32 v23, v9
	v_mov_b32_e32 v5, v21
	v_fmac_f32_e32 v117, v36, v9
	v_mul_u32_u24_e32 v36, 0x10001, v23
	s_waitcnt vmcnt(0) lgkmcnt(0)
	ds_write_b128 v6, v[1:4]
	s_waitcnt lgkmcnt(0)
	s_barrier
	ds_read2_b64 v[1:4], v40 offset1:32
	ds_read_b128 v[20:23], v19 offset:18432
	ds_read_b128 v[24:27], v19 offset:18448
	;; [unrolled: 1-line block ×4, first 2 shown]
	ds_read2_b64 v[43:46], v40 offset0:64 offset1:96
	ds_read2_b64 v[47:50], v40 offset0:128 offset1:160
	ds_read2_b64 v[51:54], v40 offset0:192 offset1:224
	ds_read2_b64 v[55:58], v7 offset1:32
	ds_read2_b64 v[59:62], v7 offset0:64 offset1:96
	ds_read2_b64 v[63:66], v7 offset0:128 offset1:160
	ds_read2_b64 v[67:70], v7 offset0:192 offset1:224
	ds_read2_b64 v[71:74], v8 offset1:32
	;; [unrolled: 4-line block ×4, first 2 shown]
	ds_read2_b64 v[103:106], v11 offset0:64 offset1:96
	ds_read2_b64 v[107:110], v11 offset0:128 offset1:160
	;; [unrolled: 1-line block ×3, first 2 shown]
	s_waitcnt lgkmcnt(14)
	v_mul_u32_u24_sdwa v10, v20, s6 dst_sel:DWORD dst_unused:UNUSED_PAD src0_sel:WORD_0 src1_sel:DWORD
	v_pk_mul_f16 v1, v1, v10
	v_pk_mul_f16 v2, v2, v10
	v_mul_u32_u24_sdwa v11, v20, s6 dst_sel:DWORD dst_unused:UNUSED_PAD src0_sel:WORD_1 src1_sel:DWORD
	v_pk_fma_f16 v1, v41, v36, v1
	v_pk_fma_f16 v2, v42, v36, v2
	v_mul_u32_u24_sdwa v40, v21, s6 dst_sel:DWORD dst_unused:UNUSED_PAD src0_sel:WORD_0 src1_sel:DWORD
	v_pk_fma_f16 v1, v3, v11, v1
	v_pk_fma_f16 v2, v4, v11, v2
	v_mul_u32_u24_sdwa v118, v21, s6 dst_sel:DWORD dst_unused:UNUSED_PAD src0_sel:WORD_1 src1_sel:DWORD
	v_pk_fma_f16 v1, v43, v40, v1
	v_pk_fma_f16 v2, v44, v40, v2
	v_mul_u32_u24_sdwa v119, v22, s6 dst_sel:DWORD dst_unused:UNUSED_PAD src0_sel:WORD_0 src1_sel:DWORD
	v_mul_u32_u24_sdwa v120, v22, s6 dst_sel:DWORD dst_unused:UNUSED_PAD src0_sel:WORD_1 src1_sel:DWORD
	v_mul_u32_u24_sdwa v121, v23, s6 dst_sel:DWORD dst_unused:UNUSED_PAD src0_sel:WORD_0 src1_sel:DWORD
	v_mul_u32_u24_sdwa v122, v23, s6 dst_sel:DWORD dst_unused:UNUSED_PAD src0_sel:WORD_1 src1_sel:DWORD
	ds_read2_b64 v[20:23], v37 offset1:32
	v_mul_u32_u24_sdwa v123, v24, s6 dst_sel:DWORD dst_unused:UNUSED_PAD src0_sel:WORD_0 src1_sel:DWORD
	v_mul_u32_u24_sdwa v10, v24, s6 dst_sel:DWORD dst_unused:UNUSED_PAD src0_sel:WORD_1 src1_sel:DWORD
	v_mul_u32_u24_sdwa v36, v25, s6 dst_sel:DWORD dst_unused:UNUSED_PAD src0_sel:WORD_0 src1_sel:DWORD
	v_mul_u32_u24_sdwa v11, v25, s6 dst_sel:DWORD dst_unused:UNUSED_PAD src0_sel:WORD_1 src1_sel:DWORD
	;; [unrolled: 2-line block ×4, first 2 shown]
	v_pk_fma_f16 v40, v45, v118, v1
	v_pk_fma_f16 v41, v46, v118, v2
	ds_read_b128 v[1:4], v19 offset:18496
	ds_read_b128 v[24:27], v19 offset:18512
	buffer_store_dword v38, off, s[0:3], 0 offset:32 ; 4-byte Folded Spill
	s_nop 0
	buffer_store_dword v39, off, s[0:3], 0 offset:36 ; 4-byte Folded Spill
	v_mul_u32_u24_sdwa v118, v28, s6 dst_sel:DWORD dst_unused:UNUSED_PAD src0_sel:WORD_0 src1_sel:DWORD
	v_mul_u32_u24_sdwa v39, v28, s6 dst_sel:DWORD dst_unused:UNUSED_PAD src0_sel:WORD_1 src1_sel:DWORD
	v_pk_fma_f16 v28, v47, v119, v40
	v_pk_fma_f16 v40, v48, v119, v41
	;; [unrolled: 1-line block ×10, first 2 shown]
	v_mul_u32_u24_sdwa v119, v29, s6 dst_sel:DWORD dst_unused:UNUSED_PAD src0_sel:WORD_0 src1_sel:DWORD
	v_mul_u32_u24_sdwa v120, v29, s6 dst_sel:DWORD dst_unused:UNUSED_PAD src0_sel:WORD_1 src1_sel:DWORD
	v_mul_u32_u24_sdwa v38, v30, s6 dst_sel:DWORD dst_unused:UNUSED_PAD src0_sel:WORD_0 src1_sel:DWORD
	v_mul_u32_u24_sdwa v14, v30, s6 dst_sel:DWORD dst_unused:UNUSED_PAD src0_sel:WORD_1 src1_sel:DWORD
	;; [unrolled: 2-line block ×3, first 2 shown]
	ds_read2_b64 v[28:31], v37 offset0:64 offset1:96
	ds_read2_b64 v[40:43], v37 offset0:128 offset1:160
	;; [unrolled: 1-line block ×3, first 2 shown]
	v_pk_fma_f16 v37, v57, v10, v48
	v_pk_fma_f16 v10, v58, v10, v49
	;; [unrolled: 1-line block ×4, first 2 shown]
	v_mul_u32_u24_sdwa v121, v32, s6 dst_sel:DWORD dst_unused:UNUSED_PAD src0_sel:WORD_0 src1_sel:DWORD
	v_mul_u32_u24_sdwa v36, v32, s6 dst_sel:DWORD dst_unused:UNUSED_PAD src0_sel:WORD_1 src1_sel:DWORD
	v_pk_fma_f16 v32, v61, v11, v37
	v_pk_fma_f16 v10, v62, v11, v10
	s_waitcnt lgkmcnt(14)
	v_pk_fma_f16 v52, v63, v124, v32
	v_pk_fma_f16 v10, v64, v124, v10
	;; [unrolled: 1-line block ×6, first 2 shown]
	s_waitcnt lgkmcnt(4)
	v_mul_u32_u24_sdwa v64, v1, s6 dst_sel:DWORD dst_unused:UNUSED_PAD src0_sel:WORD_0 src1_sel:DWORD
	v_mul_u32_u24_sdwa v65, v1, s6 dst_sel:DWORD dst_unused:UNUSED_PAD src0_sel:WORD_1 src1_sel:DWORD
	v_pk_fma_f16 v1, v69, v127, v56
	v_pk_fma_f16 v10, v70, v127, v10
	v_mul_u32_u24_sdwa v11, v33, s6 dst_sel:DWORD dst_unused:UNUSED_PAD src0_sel:WORD_0 src1_sel:DWORD
	v_mul_u32_u24_sdwa v37, v33, s6 dst_sel:DWORD dst_unused:UNUSED_PAD src0_sel:WORD_1 src1_sel:DWORD
	v_mul_u32_u24_sdwa v122, v34, s6 dst_sel:DWORD dst_unused:UNUSED_PAD src0_sel:WORD_0 src1_sel:DWORD
	v_mul_u32_u24_sdwa v123, v34, s6 dst_sel:DWORD dst_unused:UNUSED_PAD src0_sel:WORD_1 src1_sel:DWORD
	;; [unrolled: 2-line block ×3, first 2 shown]
	ds_read_b128 v[32:35], v19 offset:18528
	v_pk_fma_f16 v56, v71, v118, v1
	v_pk_fma_f16 v10, v72, v118, v10
	v_pk_fma_f16 v60, v73, v39, v56
	v_pk_fma_f16 v10, v74, v39, v10
	s_waitcnt lgkmcnt(4)
	v_mul_u32_u24_sdwa v39, v24, s6 dst_sel:DWORD dst_unused:UNUSED_PAD src0_sel:WORD_0 src1_sel:DWORD
	v_mul_u32_u24_sdwa v71, v24, s6 dst_sel:DWORD dst_unused:UNUSED_PAD src0_sel:WORD_1 src1_sel:DWORD
	v_pk_fma_f16 v24, v75, v119, v60
	v_pk_fma_f16 v10, v76, v119, v10
	;; [unrolled: 1-line block ×6, first 2 shown]
	v_mul_u32_u24_sdwa v72, v25, s6 dst_sel:DWORD dst_unused:UNUSED_PAD src0_sel:WORD_0 src1_sel:DWORD
	v_mul_u32_u24_sdwa v73, v25, s6 dst_sel:DWORD dst_unused:UNUSED_PAD src0_sel:WORD_1 src1_sel:DWORD
	v_mul_u32_u24_sdwa v74, v26, s6 dst_sel:DWORD dst_unused:UNUSED_PAD src0_sel:WORD_0 src1_sel:DWORD
	v_mul_u32_u24_sdwa v75, v26, s6 dst_sel:DWORD dst_unused:UNUSED_PAD src0_sel:WORD_1 src1_sel:DWORD
	;; [unrolled: 2-line block ×3, first 2 shown]
	ds_read_b128 v[24:27], v19 offset:18544
	s_waitcnt lgkmcnt(1)
	v_mul_u32_u24_sdwa v19, v32, s6 dst_sel:DWORD dst_unused:UNUSED_PAD src0_sel:WORD_0 src1_sel:DWORD
	v_mul_u32_u24_sdwa v38, v32, s6 dst_sel:DWORD dst_unused:UNUSED_PAD src0_sel:WORD_1 src1_sel:DWORD
	v_pk_fma_f16 v32, v81, v14, v60
	v_pk_fma_f16 v10, v82, v14, v10
	;; [unrolled: 1-line block ×24, first 2 shown]
	v_mul_u32_u24_sdwa v66, v2, s6 dst_sel:DWORD dst_unused:UNUSED_PAD src0_sel:WORD_0 src1_sel:DWORD
	v_pk_fma_f16 v10, v101, v65, v10
	v_pk_fma_f16 v0, v102, v65, v0
	v_mul_u32_u24_sdwa v67, v2, s6 dst_sel:DWORD dst_unused:UNUSED_PAD src0_sel:WORD_1 src1_sel:DWORD
	v_pk_fma_f16 v10, v103, v66, v10
	v_pk_fma_f16 v0, v104, v66, v0
	v_mul_u32_u24_sdwa v68, v3, s6 dst_sel:DWORD dst_unused:UNUSED_PAD src0_sel:WORD_0 src1_sel:DWORD
	v_pk_fma_f16 v10, v105, v67, v10
	v_pk_fma_f16 v0, v106, v67, v0
	v_mul_u32_u24_sdwa v69, v3, s6 dst_sel:DWORD dst_unused:UNUSED_PAD src0_sel:WORD_1 src1_sel:DWORD
	v_pk_fma_f16 v10, v107, v68, v10
	v_pk_fma_f16 v0, v108, v68, v0
	;; [unrolled: 6-line block ×3, first 2 shown]
	v_pk_fma_f16 v10, v113, v124, v10
	v_pk_fma_f16 v0, v114, v124, v0
	;; [unrolled: 1-line block ×8, first 2 shown]
	ds_read2_b64 v[48:51], v115 offset1:32
	v_pk_fma_f16 v10, v30, v73, v10
	v_pk_fma_f16 v0, v31, v73, v0
	;; [unrolled: 1-line block ×10, first 2 shown]
	s_waitcnt lgkmcnt(0)
	v_pk_fma_f16 v10, v48, v19, v10
	v_pk_fma_f16 v0, v49, v19, v0
	ds_read2_b64 v[52:55], v115 offset0:64 offset1:96
	ds_read2_b64 v[1:4], v115 offset0:128 offset1:160
	;; [unrolled: 1-line block ×3, first 2 shown]
	v_mul_u32_u24_sdwa v14, v33, s6 dst_sel:DWORD dst_unused:UNUSED_PAD src0_sel:WORD_0 src1_sel:DWORD
	v_mul_u32_u24_sdwa v78, v33, s6 dst_sel:DWORD dst_unused:UNUSED_PAD src0_sel:WORD_1 src1_sel:DWORD
	v_mul_u32_u24_sdwa v79, v34, s6 dst_sel:DWORD dst_unused:UNUSED_PAD src0_sel:WORD_0 src1_sel:DWORD
	v_mul_u32_u24_sdwa v80, v34, s6 dst_sel:DWORD dst_unused:UNUSED_PAD src0_sel:WORD_1 src1_sel:DWORD
	;; [unrolled: 2-line block ×3, first 2 shown]
	ds_read2_b64 v[32:35], v116 offset1:32
	ds_read2_b64 v[6:9], v116 offset0:64 offset1:96
	v_mul_u32_u24_sdwa v15, v24, s6 dst_sel:DWORD dst_unused:UNUSED_PAD src0_sel:WORD_0 src1_sel:DWORD
	v_mul_u32_u24_sdwa v83, v24, s6 dst_sel:DWORD dst_unused:UNUSED_PAD src0_sel:WORD_1 src1_sel:DWORD
	v_mul_u32_u24_sdwa v36, v25, s6 dst_sel:DWORD dst_unused:UNUSED_PAD src0_sel:WORD_0 src1_sel:DWORD
	v_mul_u32_u24_sdwa v84, v25, s6 dst_sel:DWORD dst_unused:UNUSED_PAD src0_sel:WORD_1 src1_sel:DWORD
	;; [unrolled: 2-line block ×4, first 2 shown]
	ds_read2_b64 v[24:27], v116 offset0:128 offset1:160
	ds_read2_b64 v[60:63], v116 offset0:192 offset1:224
	s_waitcnt vmcnt(0) lgkmcnt(0)
	s_barrier
	v_pk_fma_f16 v10, v50, v38, v10
	v_pk_fma_f16 v0, v51, v38, v0
	buffer_load_dword v38, off, s[0:3], 0 offset:32 ; 4-byte Folded Reload
	buffer_load_dword v39, off, s[0:3], 0 offset:36 ; 4-byte Folded Reload
	;; [unrolled: 1-line block ×4, first 2 shown]
	v_pk_fma_f16 v10, v52, v14, v10
	v_pk_fma_f16 v0, v53, v14, v0
	;; [unrolled: 1-line block ×28, first 2 shown]
	v_mov_b32_e32 v36, v117
.LBB65_29:
	buffer_load_dword v0, off, s[0:3], 0 offset:20 ; 4-byte Folded Reload
	buffer_load_dword v2, off, s[0:3], 0 offset:24 ; 4-byte Folded Reload
	;; [unrolled: 1-line block ×3, first 2 shown]
	s_cmp_eq_u64 s[44:45], 0
	s_cselect_b64 s[6:7], -1, 0
	s_cmp_lg_u32 s9, 0
	s_cselect_b64 s[10:11], -1, 0
	s_or_b64 s[6:7], s[10:11], s[6:7]
	s_waitcnt vmcnt(2)
	v_cmp_lt_i32_e32 vcc, v0, v13
	v_cndmask_b32_e32 v0, v12, v0, vcc
	v_lshlrev_b32_e32 v0, 2, v0
	ds_bpermute_b32 v0, v0, v36
	s_waitcnt vmcnt(0)
	v_cmp_lt_i32_e32 vcc, v1, v13
	v_cndmask_b32_e32 v1, v12, v1, vcc
	v_lshlrev_b32_e32 v1, 2, v1
	v_cmp_lt_i32_e32 vcc, v2, v13
	s_waitcnt lgkmcnt(0)
	v_add_f32_e32 v0, v36, v0
	ds_bpermute_b32 v1, v1, v0
	v_cndmask_b32_e32 v2, v12, v2, vcc
	v_lshlrev_b32_e32 v2, 2, v2
	s_waitcnt lgkmcnt(0)
	v_add_f32_e32 v0, v0, v1
	ds_bpermute_b32 v1, v2, v0
	buffer_load_dword v2, off, s[0:3], 0 offset:28 ; 4-byte Folded Reload
	s_waitcnt lgkmcnt(0)
	v_add_f32_e32 v0, v0, v1
	s_waitcnt vmcnt(0)
	v_cmp_lt_i32_e32 vcc, v2, v13
	v_cndmask_b32_e32 v2, v12, v2, vcc
	v_lshlrev_b32_e32 v2, 2, v2
	ds_bpermute_b32 v1, v2, v0
	v_cmp_lt_i32_e32 vcc, v18, v13
	v_cndmask_b32_e32 v2, v12, v18, vcc
	v_lshlrev_b32_e32 v2, 2, v2
	s_and_b64 vcc, exec, s[6:7]
	s_waitcnt lgkmcnt(0)
	v_add_f32_e32 v0, v0, v1
	ds_bpermute_b32 v1, v2, v0
	s_waitcnt lgkmcnt(0)
	v_add_f32_e32 v6, v0, v1
	s_cbranch_vccnz .LBB65_31
; %bb.30:
	s_lshl_b64 s[6:7], s[28:29], 2
	s_add_u32 s6, s44, s6
	s_addc_u32 s7, s45, s7
	v_mov_b32_e32 v0, 0
	global_load_dword v0, v0, s[6:7]
	v_max_f32_e32 v1, v5, v5
	s_mov_b32 s6, 0x3fb8aa3b
	s_mov_b32 s7, 0xc2ce8ed0
	s_waitcnt vmcnt(0)
	v_max_f32_e32 v2, v0, v0
	v_max_f32_e32 v1, v1, v2
	v_sub_f32_e32 v2, v5, v1
	v_sub_f32_e32 v0, v0, v1
	v_mul_f32_e32 v3, 0x3fb8aa3b, v2
	v_mul_f32_e32 v4, 0x3fb8aa3b, v0
	v_fma_f32 v5, v2, s6, -v3
	v_rndne_f32_e32 v7, v3
	v_fma_f32 v8, v0, s6, -v4
	v_rndne_f32_e32 v9, v4
	v_fmac_f32_e32 v5, 0x32a5705f, v2
	v_sub_f32_e32 v3, v3, v7
	v_fmac_f32_e32 v8, 0x32a5705f, v0
	v_sub_f32_e32 v4, v4, v9
	v_add_f32_e32 v3, v3, v5
	v_cvt_i32_f32_e32 v7, v7
	v_add_f32_e32 v4, v4, v8
	v_exp_f32_e32 v3, v3
	v_cvt_i32_f32_e32 v9, v9
	v_exp_f32_e32 v4, v4
	v_cmp_ngt_f32_e32 vcc, s7, v2
	v_ldexp_f32 v3, v3, v7
	s_mov_b32 s6, 0x42b17218
	v_ldexp_f32 v4, v4, v9
	v_cndmask_b32_e32 v3, 0, v3, vcc
	v_cmp_ngt_f32_e32 vcc, s7, v0
	v_mov_b32_e32 v5, 0x7f800000
	v_cndmask_b32_e32 v4, 0, v4, vcc
	v_cmp_nlt_f32_e32 vcc, s6, v2
	v_cndmask_b32_e32 v2, v5, v3, vcc
	v_cvt_f16_f32_e32 v3, v2
	v_cmp_nlt_f32_e32 vcc, s6, v0
	v_cndmask_b32_e32 v0, v5, v4, vcc
	v_fmac_f32_e32 v0, v6, v2
	v_mov_b32_e32 v6, v0
	v_mul_u32_u24_e32 v0, 0x10001, v3
	v_pk_mul_f16 v41, v41, v0
	v_pk_mul_f16 v42, v42, v0
	v_mov_b32_e32 v5, v1
.LBB65_31:
	v_cmp_gt_i32_e32 vcc, s26, v39
	s_and_saveexec_b64 s[6:7], vcc
	s_cbranch_execz .LBB65_34
; %bb.32:
	v_div_scale_f32 v0, s[6:7], v6, v6, 1.0
	v_div_scale_f32 v1, vcc, 1.0, v6, 1.0
	s_mul_i32 s33, s33, s26
	v_add_u32_e32 v7, s33, v39
	s_load_dword s4, s[4:5], 0xd4
	v_mul_lo_u32 v7, v7, s27
	v_mov_b32_e32 v2, 0
	v_mov_b32_e32 v4, s49
	v_cvt_f32_f16_sdwa v10, v41 dst_sel:DWORD dst_unused:UNUSED_PAD src0_sel:WORD_1
	v_cvt_f32_f16_e32 v11, v42
	v_cvt_f32_f16_sdwa v12, v42 dst_sel:DWORD dst_unused:UNUSED_PAD src0_sel:WORD_1
	s_waitcnt lgkmcnt(0)
	s_cmp_lg_u32 s4, 1
	v_rcp_f32_e32 v3, v0
	v_fma_f32 v8, -v0, v3, 1.0
	v_fmac_f32_e32 v3, v8, v3
	v_mul_f32_e32 v8, v1, v3
	v_fma_f32 v9, -v0, v8, v1
	v_fmac_f32_e32 v8, v9, v3
	v_fma_f32 v0, -v0, v8, v1
	v_div_fmas_f32 v3, v0, v3, v8
	v_add_u32_e32 v0, s28, v7
	v_mul_lo_u32 v0, s4, v0
	v_cvt_f32_f16_e32 v9, v41
	v_cmp_eq_u32_e32 vcc, 0, v38
	v_add_u32_e32 v0, s9, v0
	v_lshl_add_u32 v1, v0, 7, v110
	v_lshlrev_b64 v[1:2], 2, v[1:2]
	v_add_co_u32_e64 v7, s[4:5], s48, v1
	v_addc_co_u32_e64 v8, s[4:5], v4, v2, s[4:5]
	s_cselect_b64 s[4:5], -1, 0
	v_div_fixup_f32 v1, v3, v6, 1.0
	v_cndmask_b32_e64 v4, v1, 1.0, s[4:5]
	s_and_b64 s[4:5], vcc, s[4:5]
	v_mul_f32_e32 v1, v4, v9
	v_mul_f32_e32 v2, v4, v10
	;; [unrolled: 1-line block ×4, first 2 shown]
	global_store_dwordx4 v[7:8], v[1:4], off
	s_and_b64 exec, exec, s[4:5]
	s_cbranch_execz .LBB65_34
; %bb.33:
	v_ashrrev_i32_e32 v1, 31, v0
	v_lshlrev_b64 v[0:1], 3, v[0:1]
	v_mov_b32_e32 v2, s51
	v_add_co_u32_e32 v0, vcc, s50, v0
	v_addc_co_u32_e32 v1, vcc, v2, v1, vcc
	global_store_dwordx2 v[0:1], v[5:6], off
.LBB65_34:
	s_endpgm
	.section	.rodata,"a",@progbits
	.p2align	6, 0x0
	.amdhsa_kernel _ZL15flash_attn_tileILi128ELi128ELi4ELi1ELb0EEvPKcS1_S1_S1_S1_PKiPfP15HIP_vector_typeIfLj2EEffffjfiS5_IjLj3EEiiiiiiiiiiiliiliiiiil
		.amdhsa_group_segment_fixed_size 18944
		.amdhsa_private_segment_fixed_size 64
		.amdhsa_kernarg_size 464
		.amdhsa_user_sgpr_count 8
		.amdhsa_user_sgpr_private_segment_buffer 1
		.amdhsa_user_sgpr_dispatch_ptr 0
		.amdhsa_user_sgpr_queue_ptr 0
		.amdhsa_user_sgpr_kernarg_segment_ptr 1
		.amdhsa_user_sgpr_dispatch_id 0
		.amdhsa_user_sgpr_flat_scratch_init 1
		.amdhsa_user_sgpr_private_segment_size 0
		.amdhsa_uses_dynamic_stack 0
		.amdhsa_system_sgpr_private_segment_wavefront_offset 1
		.amdhsa_system_sgpr_workgroup_id_x 1
		.amdhsa_system_sgpr_workgroup_id_y 1
		.amdhsa_system_sgpr_workgroup_id_z 1
		.amdhsa_system_sgpr_workgroup_info 0
		.amdhsa_system_vgpr_workitem_id 1
		.amdhsa_next_free_vgpr 128
		.amdhsa_next_free_sgpr 96
		.amdhsa_reserve_vcc 1
		.amdhsa_reserve_flat_scratch 1
		.amdhsa_float_round_mode_32 0
		.amdhsa_float_round_mode_16_64 0
		.amdhsa_float_denorm_mode_32 3
		.amdhsa_float_denorm_mode_16_64 3
		.amdhsa_dx10_clamp 1
		.amdhsa_ieee_mode 1
		.amdhsa_fp16_overflow 0
		.amdhsa_exception_fp_ieee_invalid_op 0
		.amdhsa_exception_fp_denorm_src 0
		.amdhsa_exception_fp_ieee_div_zero 0
		.amdhsa_exception_fp_ieee_overflow 0
		.amdhsa_exception_fp_ieee_underflow 0
		.amdhsa_exception_fp_ieee_inexact 0
		.amdhsa_exception_int_div_zero 0
	.end_amdhsa_kernel
	.section	.text._ZL15flash_attn_tileILi128ELi128ELi4ELi1ELb0EEvPKcS1_S1_S1_S1_PKiPfP15HIP_vector_typeIfLj2EEffffjfiS5_IjLj3EEiiiiiiiiiiiliiliiiiil,"axG",@progbits,_ZL15flash_attn_tileILi128ELi128ELi4ELi1ELb0EEvPKcS1_S1_S1_S1_PKiPfP15HIP_vector_typeIfLj2EEffffjfiS5_IjLj3EEiiiiiiiiiiiliiliiiiil,comdat
.Lfunc_end65:
	.size	_ZL15flash_attn_tileILi128ELi128ELi4ELi1ELb0EEvPKcS1_S1_S1_S1_PKiPfP15HIP_vector_typeIfLj2EEffffjfiS5_IjLj3EEiiiiiiiiiiiliiliiiiil, .Lfunc_end65-_ZL15flash_attn_tileILi128ELi128ELi4ELi1ELb0EEvPKcS1_S1_S1_S1_PKiPfP15HIP_vector_typeIfLj2EEffffjfiS5_IjLj3EEiiiiiiiiiiiliiliiiiil
                                        ; -- End function
	.set _ZL15flash_attn_tileILi128ELi128ELi4ELi1ELb0EEvPKcS1_S1_S1_S1_PKiPfP15HIP_vector_typeIfLj2EEffffjfiS5_IjLj3EEiiiiiiiiiiiliiliiiiil.num_vgpr, 128
	.set _ZL15flash_attn_tileILi128ELi128ELi4ELi1ELb0EEvPKcS1_S1_S1_S1_PKiPfP15HIP_vector_typeIfLj2EEffffjfiS5_IjLj3EEiiiiiiiiiiiliiliiiiil.num_agpr, 0
	.set _ZL15flash_attn_tileILi128ELi128ELi4ELi1ELb0EEvPKcS1_S1_S1_S1_PKiPfP15HIP_vector_typeIfLj2EEffffjfiS5_IjLj3EEiiiiiiiiiiiliiliiiiil.numbered_sgpr, 56
	.set _ZL15flash_attn_tileILi128ELi128ELi4ELi1ELb0EEvPKcS1_S1_S1_S1_PKiPfP15HIP_vector_typeIfLj2EEffffjfiS5_IjLj3EEiiiiiiiiiiiliiliiiiil.num_named_barrier, 0
	.set _ZL15flash_attn_tileILi128ELi128ELi4ELi1ELb0EEvPKcS1_S1_S1_S1_PKiPfP15HIP_vector_typeIfLj2EEffffjfiS5_IjLj3EEiiiiiiiiiiiliiliiiiil.private_seg_size, 64
	.set _ZL15flash_attn_tileILi128ELi128ELi4ELi1ELb0EEvPKcS1_S1_S1_S1_PKiPfP15HIP_vector_typeIfLj2EEffffjfiS5_IjLj3EEiiiiiiiiiiiliiliiiiil.uses_vcc, 1
	.set _ZL15flash_attn_tileILi128ELi128ELi4ELi1ELb0EEvPKcS1_S1_S1_S1_PKiPfP15HIP_vector_typeIfLj2EEffffjfiS5_IjLj3EEiiiiiiiiiiiliiliiiiil.uses_flat_scratch, 1
	.set _ZL15flash_attn_tileILi128ELi128ELi4ELi1ELb0EEvPKcS1_S1_S1_S1_PKiPfP15HIP_vector_typeIfLj2EEffffjfiS5_IjLj3EEiiiiiiiiiiiliiliiiiil.has_dyn_sized_stack, 0
	.set _ZL15flash_attn_tileILi128ELi128ELi4ELi1ELb0EEvPKcS1_S1_S1_S1_PKiPfP15HIP_vector_typeIfLj2EEffffjfiS5_IjLj3EEiiiiiiiiiiiliiliiiiil.has_recursion, 0
	.set _ZL15flash_attn_tileILi128ELi128ELi4ELi1ELb0EEvPKcS1_S1_S1_S1_PKiPfP15HIP_vector_typeIfLj2EEffffjfiS5_IjLj3EEiiiiiiiiiiiliiliiiiil.has_indirect_call, 0
	.section	.AMDGPU.csdata,"",@progbits
; Kernel info:
; codeLenInByte = 14768
; TotalNumSgprs: 62
; NumVgprs: 128
; ScratchSize: 64
; MemoryBound: 0
; FloatMode: 240
; IeeeMode: 1
; LDSByteSize: 18944 bytes/workgroup (compile time only)
; SGPRBlocks: 12
; VGPRBlocks: 31
; NumSGPRsForWavesPerEU: 102
; NumVGPRsForWavesPerEU: 128
; Occupancy: 2
; WaveLimiterHint : 1
; COMPUTE_PGM_RSRC2:SCRATCH_EN: 1
; COMPUTE_PGM_RSRC2:USER_SGPR: 8
; COMPUTE_PGM_RSRC2:TRAP_HANDLER: 0
; COMPUTE_PGM_RSRC2:TGID_X_EN: 1
; COMPUTE_PGM_RSRC2:TGID_Y_EN: 1
; COMPUTE_PGM_RSRC2:TGID_Z_EN: 1
; COMPUTE_PGM_RSRC2:TIDIG_COMP_CNT: 1
	.section	.text._ZL33flash_attn_stream_k_fixup_uniformILi128ELi4ELi1EEvPfPK15HIP_vector_typeIfLj2EEiiiiiiS1_IjLj3EES5_S5_,"axG",@progbits,_ZL33flash_attn_stream_k_fixup_uniformILi128ELi4ELi1EEvPfPK15HIP_vector_typeIfLj2EEiiiiiiS1_IjLj3EES5_S5_,comdat
	.globl	_ZL33flash_attn_stream_k_fixup_uniformILi128ELi4ELi1EEvPfPK15HIP_vector_typeIfLj2EEiiiiiiS1_IjLj3EES5_S5_ ; -- Begin function _ZL33flash_attn_stream_k_fixup_uniformILi128ELi4ELi1EEvPfPK15HIP_vector_typeIfLj2EEiiiiiiS1_IjLj3EES5_S5_
	.p2align	8
	.type	_ZL33flash_attn_stream_k_fixup_uniformILi128ELi4ELi1EEvPfPK15HIP_vector_typeIfLj2EEiiiiiiS1_IjLj3EES5_S5_,@function
_ZL33flash_attn_stream_k_fixup_uniformILi128ELi4ELi1EEvPfPK15HIP_vector_typeIfLj2EEiiiiiiS1_IjLj3EES5_S5_: ; @_ZL33flash_attn_stream_k_fixup_uniformILi128ELi4ELi1EEvPfPK15HIP_vector_typeIfLj2EEiiiiiiS1_IjLj3EES5_S5_
; %bb.0:
	s_load_dwordx8 s[12:19], s[4:5], 0x1c
	s_load_dwordx2 s[10:11], s[4:5], 0x10
	s_load_dwordx4 s[0:3], s[4:5], 0x3c
	s_waitcnt lgkmcnt(0)
	s_mul_hi_u32 s9, s15, s6
	s_add_i32 s9, s6, s9
	s_lshr_b32 s9, s9, s16
	s_mul_i32 s15, s9, s17
	s_sub_i32 s15, s6, s15
	s_mul_hi_u32 s16, s15, s18
	s_add_i32 s16, s15, s16
	s_lshr_b32 s16, s16, s19
	s_mul_i32 s0, s16, s0
	s_sub_i32 s0, s15, s0
	;; [unrolled: 5-line block ×3, first 2 shown]
	s_lshl_b32 s0, s17, 2
	s_add_i32 s0, s0, s7
	s_cmp_lt_i32 s0, s10
	s_cselect_b64 s[0:1], -1, 0
	s_add_i32 s2, s15, s8
	s_cmp_lt_i32 s2, s13
	s_cselect_b64 s[2:3], -1, 0
	s_and_b64 s[0:1], s[0:1], s[2:3]
	s_andn2_b64 vcc, exec, s[0:1]
	s_cbranch_vccnz .LBB66_6
; %bb.1:
	s_load_dwordx4 s[0:3], s[4:5], 0x0
	s_mul_i32 s4, s9, s10
	s_add_i32 s4, s4, s7
	s_mul_i32 s4, s4, s11
	s_mul_i32 s16, s16, s13
	s_add_i32 s4, s4, s8
	s_add_i32 s4, s4, s16
	s_mul_i32 s5, s11, s17
	s_add_i32 s4, s4, s15
	s_lshl_b32 s5, s5, 9
	s_lshl_b32 s4, s4, 7
	s_add_i32 s5, s5, s4
	v_or_b32_e32 v1, s5, v0
	v_ashrrev_i32_e32 v2, 31, v1
	v_lshlrev_b64 v[1:2], 2, v[1:2]
	s_waitcnt lgkmcnt(0)
	v_mov_b32_e32 v3, s1
	v_add_co_u32_e32 v1, vcc, s0, v1
	v_addc_co_u32_e32 v2, vcc, v3, v2, vcc
	global_load_dword v8, v[1:2], off
	s_add_i32 s4, s7, s8
	s_mul_i32 s7, s14, s6
	s_add_i32 s5, s7, s14
	s_lshl_b32 s0, s5, 2
	s_add_i32 s0, s4, s0
	s_add_i32 s0, s0, -4
	s_ashr_i32 s1, s0, 31
	s_lshl_b64 s[0:1], s[0:1], 3
	s_add_u32 s0, s2, s0
	s_addc_u32 s1, s3, s1
	s_load_dword s10, s[0:1], 0x4
	s_add_i32 s8, s5, -2
	s_cmp_lt_i32 s8, s7
	s_cbranch_scc1 .LBB66_4
; %bb.2:
	s_lshl_b32 s8, s12, 4
	s_ashr_i32 s9, s8, 31
	s_lshl_b64 s[8:9], s[8:9], 2
	s_add_u32 s8, s2, s8
	s_addc_u32 s11, s3, s9
	s_add_i32 s6, s6, 1
	s_add_i32 s9, s5, -1
	s_mul_i32 s5, s14, s6
	s_load_dword s0, s[0:1], 0x0
	s_lshl_b32 s1, s4, 7
	s_lshl_b32 s6, s5, 9
	s_add_i32 s1, s1, s6
	v_or_b32_e32 v0, s1, v0
	s_lshl_b32 s1, s5, 2
	s_add_i32 s1, s4, s1
	s_lshl_b32 s4, s12, 2
	s_add_i32 s1, s1, s4
	v_add_u32_e32 v3, 0xfffffc00, v0
	s_add_i32 s4, s1, -8
	s_waitcnt lgkmcnt(0)
	v_mov_b32_e32 v7, s10
	v_mov_b32_e32 v6, s0
	;; [unrolled: 1-line block ×3, first 2 shown]
	s_mov_b32 s6, 0x3fb8aa3b
	s_mov_b32 s10, 0xc2ce8ed0
	;; [unrolled: 1-line block ×3, first 2 shown]
	v_mov_b32_e32 v5, 0x7f800000
	s_mov_b32 s12, 0xc1a00000
.LBB66_3:                               ; =>This Inner Loop Header: Depth=1
	v_ashrrev_i32_e32 v4, 31, v3
	v_lshlrev_b64 v[9:10], 2, v[3:4]
	s_ashr_i32 s5, s4, 31
	v_add_co_u32_e32 v9, vcc, s8, v9
	v_addc_co_u32_e32 v10, vcc, v0, v10, vcc
	global_load_dword v4, v[9:10], off
	s_lshl_b64 s[0:1], s[4:5], 3
	s_add_u32 s0, s2, s0
	s_addc_u32 s1, s3, s1
	s_load_dwordx2 s[14:15], s[0:1], 0x0
	s_waitcnt vmcnt(1)
	v_mov_b32_e32 v9, v8
	v_max_f32_e32 v8, v6, v6
	v_mov_b32_e32 v10, v7
	s_add_i32 s9, s9, -1
	s_waitcnt lgkmcnt(0)
	v_max_f32_e64 v7, s14, s14
	v_max_f32_e32 v7, v8, v7
	v_sub_f32_e32 v11, s14, v7
	v_sub_f32_e32 v8, v6, v7
	v_mul_f32_e32 v12, 0x3fb8aa3b, v11
	v_mov_b32_e32 v6, v7
	v_mul_f32_e32 v7, 0x3fb8aa3b, v8
	v_fma_f32 v15, v11, s6, -v12
	v_rndne_f32_e32 v16, v12
	v_fma_f32 v13, v8, s6, -v7
	v_rndne_f32_e32 v14, v7
	v_fmac_f32_e32 v15, 0x32a5705f, v11
	v_sub_f32_e32 v12, v12, v16
	v_fmac_f32_e32 v13, 0x32a5705f, v8
	v_sub_f32_e32 v7, v7, v14
	v_add_f32_e32 v12, v12, v15
	v_cvt_i32_f32_e32 v16, v16
	v_add_f32_e32 v7, v7, v13
	v_exp_f32_e32 v12, v12
	v_cvt_i32_f32_e32 v14, v14
	v_exp_f32_e32 v7, v7
	v_cmp_ngt_f32_e32 vcc, s10, v11
	v_ldexp_f32 v12, v12, v16
	v_cmp_ngt_f32_e64 s[0:1], s10, v8
	v_ldexp_f32 v7, v7, v14
	v_cndmask_b32_e32 v12, 0, v12, vcc
	v_cmp_nlt_f32_e32 vcc, s11, v11
	v_cndmask_b32_e64 v7, 0, v7, s[0:1]
	v_cmp_nlt_f32_e64 s[0:1], s11, v8
	v_cndmask_b32_e32 v12, v5, v12, vcc
	v_cmp_le_f32_e32 vcc, s12, v11
	v_cndmask_b32_e64 v7, v5, v7, s[0:1]
	v_cmp_le_f32_e64 s[0:1], s12, v8
	v_cndmask_b32_e32 v8, 0, v12, vcc
	s_add_i32 s4, s4, -4
	v_cndmask_b32_e64 v11, 0, v7, s[0:1]
	v_mul_f32_e32 v7, s15, v8
	v_add_u32_e32 v3, 0xfffffe00, v3
	s_cmp_le_i32 s9, s7
	v_fmac_f32_e32 v7, v10, v11
	s_waitcnt vmcnt(0)
	v_mul_f32_e32 v8, v4, v8
	v_fmac_f32_e32 v8, v9, v11
	s_cbranch_scc0 .LBB66_3
	s_branch .LBB66_5
.LBB66_4:
	s_waitcnt lgkmcnt(0)
	v_mov_b32_e32 v7, s10
.LBB66_5:
	s_waitcnt vmcnt(0)
	v_div_scale_f32 v0, s[0:1], v7, v7, v8
	v_div_scale_f32 v3, vcc, v8, v7, v8
	v_rcp_f32_e32 v4, v0
	v_fma_f32 v5, -v0, v4, 1.0
	v_fmac_f32_e32 v4, v5, v4
	v_mul_f32_e32 v5, v3, v4
	v_fma_f32 v6, -v0, v5, v3
	v_fmac_f32_e32 v5, v6, v4
	v_fma_f32 v0, -v0, v5, v3
	v_div_fmas_f32 v0, v0, v4, v5
	v_div_fixup_f32 v0, v0, v7, v8
	global_store_dword v[1:2], v0, off
.LBB66_6:
	s_endpgm
	.section	.rodata,"a",@progbits
	.p2align	6, 0x0
	.amdhsa_kernel _ZL33flash_attn_stream_k_fixup_uniformILi128ELi4ELi1EEvPfPK15HIP_vector_typeIfLj2EEiiiiiiS1_IjLj3EES5_S5_
		.amdhsa_group_segment_fixed_size 0
		.amdhsa_private_segment_fixed_size 0
		.amdhsa_kernarg_size 76
		.amdhsa_user_sgpr_count 6
		.amdhsa_user_sgpr_private_segment_buffer 1
		.amdhsa_user_sgpr_dispatch_ptr 0
		.amdhsa_user_sgpr_queue_ptr 0
		.amdhsa_user_sgpr_kernarg_segment_ptr 1
		.amdhsa_user_sgpr_dispatch_id 0
		.amdhsa_user_sgpr_flat_scratch_init 0
		.amdhsa_user_sgpr_private_segment_size 0
		.amdhsa_uses_dynamic_stack 0
		.amdhsa_system_sgpr_private_segment_wavefront_offset 0
		.amdhsa_system_sgpr_workgroup_id_x 1
		.amdhsa_system_sgpr_workgroup_id_y 1
		.amdhsa_system_sgpr_workgroup_id_z 1
		.amdhsa_system_sgpr_workgroup_info 0
		.amdhsa_system_vgpr_workitem_id 0
		.amdhsa_next_free_vgpr 17
		.amdhsa_next_free_sgpr 20
		.amdhsa_reserve_vcc 1
		.amdhsa_reserve_flat_scratch 0
		.amdhsa_float_round_mode_32 0
		.amdhsa_float_round_mode_16_64 0
		.amdhsa_float_denorm_mode_32 3
		.amdhsa_float_denorm_mode_16_64 3
		.amdhsa_dx10_clamp 1
		.amdhsa_ieee_mode 1
		.amdhsa_fp16_overflow 0
		.amdhsa_exception_fp_ieee_invalid_op 0
		.amdhsa_exception_fp_denorm_src 0
		.amdhsa_exception_fp_ieee_div_zero 0
		.amdhsa_exception_fp_ieee_overflow 0
		.amdhsa_exception_fp_ieee_underflow 0
		.amdhsa_exception_fp_ieee_inexact 0
		.amdhsa_exception_int_div_zero 0
	.end_amdhsa_kernel
	.section	.text._ZL33flash_attn_stream_k_fixup_uniformILi128ELi4ELi1EEvPfPK15HIP_vector_typeIfLj2EEiiiiiiS1_IjLj3EES5_S5_,"axG",@progbits,_ZL33flash_attn_stream_k_fixup_uniformILi128ELi4ELi1EEvPfPK15HIP_vector_typeIfLj2EEiiiiiiS1_IjLj3EES5_S5_,comdat
.Lfunc_end66:
	.size	_ZL33flash_attn_stream_k_fixup_uniformILi128ELi4ELi1EEvPfPK15HIP_vector_typeIfLj2EEiiiiiiS1_IjLj3EES5_S5_, .Lfunc_end66-_ZL33flash_attn_stream_k_fixup_uniformILi128ELi4ELi1EEvPfPK15HIP_vector_typeIfLj2EEiiiiiiS1_IjLj3EES5_S5_
                                        ; -- End function
	.set _ZL33flash_attn_stream_k_fixup_uniformILi128ELi4ELi1EEvPfPK15HIP_vector_typeIfLj2EEiiiiiiS1_IjLj3EES5_S5_.num_vgpr, 17
	.set _ZL33flash_attn_stream_k_fixup_uniformILi128ELi4ELi1EEvPfPK15HIP_vector_typeIfLj2EEiiiiiiS1_IjLj3EES5_S5_.num_agpr, 0
	.set _ZL33flash_attn_stream_k_fixup_uniformILi128ELi4ELi1EEvPfPK15HIP_vector_typeIfLj2EEiiiiiiS1_IjLj3EES5_S5_.numbered_sgpr, 20
	.set _ZL33flash_attn_stream_k_fixup_uniformILi128ELi4ELi1EEvPfPK15HIP_vector_typeIfLj2EEiiiiiiS1_IjLj3EES5_S5_.num_named_barrier, 0
	.set _ZL33flash_attn_stream_k_fixup_uniformILi128ELi4ELi1EEvPfPK15HIP_vector_typeIfLj2EEiiiiiiS1_IjLj3EES5_S5_.private_seg_size, 0
	.set _ZL33flash_attn_stream_k_fixup_uniformILi128ELi4ELi1EEvPfPK15HIP_vector_typeIfLj2EEiiiiiiS1_IjLj3EES5_S5_.uses_vcc, 1
	.set _ZL33flash_attn_stream_k_fixup_uniformILi128ELi4ELi1EEvPfPK15HIP_vector_typeIfLj2EEiiiiiiS1_IjLj3EES5_S5_.uses_flat_scratch, 0
	.set _ZL33flash_attn_stream_k_fixup_uniformILi128ELi4ELi1EEvPfPK15HIP_vector_typeIfLj2EEiiiiiiS1_IjLj3EES5_S5_.has_dyn_sized_stack, 0
	.set _ZL33flash_attn_stream_k_fixup_uniformILi128ELi4ELi1EEvPfPK15HIP_vector_typeIfLj2EEiiiiiiS1_IjLj3EES5_S5_.has_recursion, 0
	.set _ZL33flash_attn_stream_k_fixup_uniformILi128ELi4ELi1EEvPfPK15HIP_vector_typeIfLj2EEiiiiiiS1_IjLj3EES5_S5_.has_indirect_call, 0
	.section	.AMDGPU.csdata,"",@progbits
; Kernel info:
; codeLenInByte = 836
; TotalNumSgprs: 24
; NumVgprs: 17
; ScratchSize: 0
; MemoryBound: 0
; FloatMode: 240
; IeeeMode: 1
; LDSByteSize: 0 bytes/workgroup (compile time only)
; SGPRBlocks: 2
; VGPRBlocks: 4
; NumSGPRsForWavesPerEU: 24
; NumVGPRsForWavesPerEU: 17
; Occupancy: 10
; WaveLimiterHint : 0
; COMPUTE_PGM_RSRC2:SCRATCH_EN: 0
; COMPUTE_PGM_RSRC2:USER_SGPR: 6
; COMPUTE_PGM_RSRC2:TRAP_HANDLER: 0
; COMPUTE_PGM_RSRC2:TGID_X_EN: 1
; COMPUTE_PGM_RSRC2:TGID_Y_EN: 1
; COMPUTE_PGM_RSRC2:TGID_Z_EN: 1
; COMPUTE_PGM_RSRC2:TIDIG_COMP_CNT: 0
	.section	.text._ZL33flash_attn_stream_k_fixup_generalILi128ELi4ELi1EEvPfPK15HIP_vector_typeIfLj2EEiiiiS1_IjLj3EES5_S5_S5_,"axG",@progbits,_ZL33flash_attn_stream_k_fixup_generalILi128ELi4ELi1EEvPfPK15HIP_vector_typeIfLj2EEiiiiS1_IjLj3EES5_S5_S5_,comdat
	.globl	_ZL33flash_attn_stream_k_fixup_generalILi128ELi4ELi1EEvPfPK15HIP_vector_typeIfLj2EEiiiiS1_IjLj3EES5_S5_S5_ ; -- Begin function _ZL33flash_attn_stream_k_fixup_generalILi128ELi4ELi1EEvPfPK15HIP_vector_typeIfLj2EEiiiiS1_IjLj3EES5_S5_S5_
	.p2align	8
	.type	_ZL33flash_attn_stream_k_fixup_generalILi128ELi4ELi1EEvPfPK15HIP_vector_typeIfLj2EEiiiiS1_IjLj3EES5_S5_S5_,@function
_ZL33flash_attn_stream_k_fixup_generalILi128ELi4ELi1EEvPfPK15HIP_vector_typeIfLj2EEiiiiS1_IjLj3EES5_S5_S5_: ; @_ZL33flash_attn_stream_k_fixup_generalILi128ELi4ELi1EEvPfPK15HIP_vector_typeIfLj2EEiiiiS1_IjLj3EES5_S5_S5_
; %bb.0:
	s_load_dwordx4 s[0:3], s[4:5], 0x10
	s_load_dword s22, s[4:5], 0x50
	s_mov_b32 s12, 0
	s_waitcnt lgkmcnt(0)
	s_mul_hi_i32 s13, s3, s6
	s_cmp_lg_u64 s[12:13], 0
	s_mul_i32 s9, s3, s6
	s_cbranch_scc0 .LBB67_20
; %bb.1:
	s_add_u32 s10, s22, 0
	s_addc_u32 s11, 0, 0
	s_xor_b64 s[10:11], s[10:11], 0
	v_cvt_f32_u32_e32 v1, s10
	v_cvt_f32_u32_e32 v2, s11
	s_sub_u32 s12, 0, s10
	s_subb_u32 s18, 0, s11
	v_madmk_f32 v1, v2, 0x4f800000, v1
	v_rcp_f32_e32 v1, v1
	v_mul_f32_e32 v1, 0x5f7ffffc, v1
	v_mul_f32_e32 v2, 0x2f800000, v1
	v_trunc_f32_e32 v2, v2
	v_madmk_f32 v1, v2, 0xcf800000, v1
	v_cvt_u32_f32_e32 v2, v2
	v_cvt_u32_f32_e32 v1, v1
	v_readfirstlane_b32 s19, v2
	v_readfirstlane_b32 s14, v1
	s_mul_i32 s15, s12, s19
	s_mul_hi_u32 s21, s12, s14
	s_mul_i32 s20, s18, s14
	s_add_i32 s15, s21, s15
	s_add_i32 s15, s15, s20
	s_mul_i32 s23, s12, s14
	s_mul_i32 s21, s14, s15
	s_mul_hi_u32 s24, s14, s23
	s_mul_hi_u32 s20, s14, s15
	s_add_u32 s21, s24, s21
	s_addc_u32 s20, 0, s20
	s_mul_hi_u32 s25, s19, s23
	s_mul_i32 s23, s19, s23
	s_add_u32 s21, s21, s23
	s_mul_hi_u32 s24, s19, s15
	s_addc_u32 s20, s20, s25
	s_addc_u32 s21, s24, 0
	s_mul_i32 s15, s19, s15
	s_add_u32 s15, s20, s15
	s_addc_u32 s20, 0, s21
	s_add_u32 s21, s14, s15
	s_cselect_b64 s[14:15], -1, 0
	s_cmp_lg_u64 s[14:15], 0
	s_addc_u32 s19, s19, s20
	s_mul_i32 s14, s12, s19
	s_mul_hi_u32 s15, s12, s21
	s_add_i32 s14, s15, s14
	s_mul_i32 s18, s18, s21
	s_add_i32 s14, s14, s18
	s_mul_i32 s12, s12, s21
	s_mul_hi_u32 s18, s19, s12
	s_mul_i32 s20, s19, s12
	s_mul_i32 s24, s21, s14
	s_mul_hi_u32 s12, s21, s12
	s_mul_hi_u32 s23, s21, s14
	s_add_u32 s12, s12, s24
	s_addc_u32 s23, 0, s23
	s_add_u32 s12, s12, s20
	s_mul_hi_u32 s15, s19, s14
	s_addc_u32 s12, s23, s18
	s_addc_u32 s15, s15, 0
	s_mul_i32 s14, s19, s14
	s_add_u32 s12, s12, s14
	s_addc_u32 s18, 0, s15
	s_add_u32 s20, s21, s12
	s_cselect_b64 s[14:15], -1, 0
	s_cmp_lg_u64 s[14:15], 0
	s_addc_u32 s18, s19, s18
	s_ashr_i32 s14, s13, 31
	s_add_u32 s12, s9, s14
	s_mov_b32 s15, s14
	s_addc_u32 s13, s13, s14
	s_xor_b64 s[12:13], s[12:13], s[14:15]
	s_mul_i32 s21, s12, s18
	s_mul_hi_u32 s23, s12, s20
	s_mul_hi_u32 s19, s12, s18
	s_add_u32 s21, s23, s21
	s_addc_u32 s19, 0, s19
	s_mul_hi_u32 s24, s13, s20
	s_mul_i32 s20, s13, s20
	s_add_u32 s20, s21, s20
	s_mul_hi_u32 s23, s13, s18
	s_addc_u32 s19, s19, s24
	s_addc_u32 s20, s23, 0
	s_mul_i32 s18, s13, s18
	s_add_u32 s23, s19, s18
	s_addc_u32 s24, 0, s20
	s_mul_i32 s18, s10, s24
	s_mul_hi_u32 s19, s10, s23
	s_add_i32 s18, s19, s18
	s_mul_i32 s19, s11, s23
	s_add_i32 s25, s18, s19
	s_sub_i32 s20, s13, s25
	s_mul_i32 s18, s10, s23
	s_sub_u32 s12, s12, s18
	s_cselect_b64 s[18:19], -1, 0
	s_cmp_lg_u64 s[18:19], 0
	s_subb_u32 s26, s20, s11
	s_sub_u32 s27, s12, s10
	s_cselect_b64 s[20:21], -1, 0
	s_cmp_lg_u64 s[20:21], 0
	s_subb_u32 s20, s26, 0
	s_cmp_ge_u32 s20, s11
	s_cselect_b32 s21, -1, 0
	s_cmp_ge_u32 s27, s10
	s_cselect_b32 s26, -1, 0
	s_cmp_eq_u32 s20, s11
	s_cselect_b32 s20, s26, s21
	s_add_u32 s21, s23, 1
	s_addc_u32 s26, s24, 0
	s_add_u32 s27, s23, 2
	s_addc_u32 s28, s24, 0
	s_cmp_lg_u32 s20, 0
	s_cselect_b32 s20, s27, s21
	s_cselect_b32 s21, s28, s26
	s_cmp_lg_u64 s[18:19], 0
	s_subb_u32 s13, s13, s25
	s_cmp_ge_u32 s13, s11
	s_cselect_b32 s18, -1, 0
	s_cmp_ge_u32 s12, s10
	s_cselect_b32 s10, -1, 0
	s_cmp_eq_u32 s13, s11
	s_cselect_b32 s10, s10, s18
	s_cmp_lg_u32 s10, 0
	s_cselect_b32 s11, s21, s24
	s_cselect_b32 s10, s20, s23
	s_xor_b64 s[12:13], s[14:15], 0
	s_xor_b64 s[10:11], s[10:11], s[12:13]
	s_sub_u32 s10, s10, s12
	s_load_dwordx4 s[12:15], s[4:5], 0x44
	s_cbranch_execnz .LBB67_3
.LBB67_2:
	v_cvt_f32_u32_e32 v1, s22
	s_sub_i32 s10, 0, s22
	v_rcp_iflag_f32_e32 v1, v1
	v_mul_f32_e32 v1, 0x4f7ffffe, v1
	v_cvt_u32_f32_e32 v1, v1
	v_readfirstlane_b32 s11, v1
	s_mul_i32 s10, s10, s11
	s_mul_hi_u32 s10, s11, s10
	s_add_i32 s11, s11, s10
	s_mul_hi_u32 s10, s9, s11
	s_waitcnt lgkmcnt(0)
	s_mul_i32 s15, s10, s22
	s_sub_i32 s9, s9, s15
	s_add_i32 s11, s10, 1
	s_sub_i32 s15, s9, s22
	s_cmp_ge_u32 s9, s22
	s_cselect_b32 s10, s11, s10
	s_cselect_b32 s9, s15, s9
	s_add_i32 s11, s10, 1
	s_cmp_ge_u32 s9, s22
	s_cselect_b32 s10, s11, s10
.LBB67_3:
	s_add_i32 s9, s6, 1
	s_mul_hi_i32 s21, s3, s9
	s_mov_b32 s20, 0
	s_cmp_lg_u64 s[20:21], 0
	s_mul_i32 s9, s3, s9
	s_cbranch_scc0 .LBB67_21
; %bb.4:
	s_add_u32 s16, s22, 0
	s_addc_u32 s17, 0, 0
	s_xor_b64 s[18:19], s[16:17], 0
	v_cvt_f32_u32_e32 v1, s18
	v_cvt_f32_u32_e32 v2, s19
	s_sub_u32 s11, 0, s18
	s_waitcnt lgkmcnt(0)
	s_subb_u32 s15, 0, s19
	v_madmk_f32 v1, v2, 0x4f800000, v1
	v_rcp_f32_e32 v1, v1
	v_mul_f32_e32 v1, 0x5f7ffffc, v1
	v_mul_f32_e32 v2, 0x2f800000, v1
	v_trunc_f32_e32 v2, v2
	v_madmk_f32 v1, v2, 0xcf800000, v1
	v_cvt_u32_f32_e32 v2, v2
	v_cvt_u32_f32_e32 v1, v1
	v_readfirstlane_b32 s20, v2
	v_readfirstlane_b32 s23, v1
	s_mul_i32 s24, s11, s20
	s_mul_hi_u32 s26, s11, s23
	s_mul_i32 s25, s15, s23
	s_add_i32 s24, s26, s24
	s_add_i32 s24, s24, s25
	s_mul_i32 s27, s11, s23
	s_mul_i32 s26, s23, s24
	s_mul_hi_u32 s28, s23, s27
	s_mul_hi_u32 s25, s23, s24
	s_add_u32 s26, s28, s26
	s_addc_u32 s25, 0, s25
	s_mul_hi_u32 s29, s20, s27
	s_mul_i32 s27, s20, s27
	s_add_u32 s26, s26, s27
	s_mul_hi_u32 s28, s20, s24
	s_addc_u32 s25, s25, s29
	s_addc_u32 s26, s28, 0
	s_mul_i32 s24, s20, s24
	s_add_u32 s24, s25, s24
	s_addc_u32 s26, 0, s26
	s_add_u32 s23, s23, s24
	s_cselect_b64 s[24:25], -1, 0
	s_cmp_lg_u64 s[24:25], 0
	s_addc_u32 s20, s20, s26
	s_mul_i32 s24, s11, s20
	s_mul_hi_u32 s25, s11, s23
	s_add_i32 s24, s25, s24
	s_mul_i32 s15, s15, s23
	s_add_i32 s24, s24, s15
	s_mul_i32 s11, s11, s23
	s_mul_hi_u32 s25, s20, s11
	s_mul_i32 s26, s20, s11
	s_mul_i32 s28, s23, s24
	s_mul_hi_u32 s11, s23, s11
	s_mul_hi_u32 s27, s23, s24
	s_add_u32 s11, s11, s28
	s_addc_u32 s27, 0, s27
	s_add_u32 s11, s11, s26
	s_mul_hi_u32 s15, s20, s24
	s_addc_u32 s11, s27, s25
	s_addc_u32 s15, s15, 0
	s_mul_i32 s24, s20, s24
	s_add_u32 s11, s11, s24
	s_addc_u32 s15, 0, s15
	s_add_u32 s11, s23, s11
	s_cselect_b64 s[24:25], -1, 0
	s_cmp_lg_u64 s[24:25], 0
	s_addc_u32 s15, s20, s15
	s_ashr_i32 s24, s21, 31
	s_add_u32 s20, s9, s24
	s_mov_b32 s25, s24
	s_addc_u32 s21, s21, s24
	s_xor_b64 s[20:21], s[20:21], s[24:25]
	s_mul_i32 s26, s20, s15
	s_mul_hi_u32 s27, s20, s11
	s_mul_hi_u32 s23, s20, s15
	s_add_u32 s26, s27, s26
	s_addc_u32 s23, 0, s23
	s_mul_hi_u32 s28, s21, s11
	s_mul_i32 s11, s21, s11
	s_add_u32 s11, s26, s11
	s_mul_hi_u32 s27, s21, s15
	s_addc_u32 s11, s23, s28
	s_addc_u32 s23, s27, 0
	s_mul_i32 s15, s21, s15
	s_add_u32 s11, s11, s15
	s_addc_u32 s15, 0, s23
	s_mul_i32 s23, s18, s15
	s_mul_hi_u32 s26, s18, s11
	s_add_i32 s23, s26, s23
	s_mul_i32 s26, s19, s11
	s_add_i32 s23, s23, s26
	s_sub_i32 s28, s21, s23
	s_mul_i32 s26, s18, s11
	s_sub_u32 s20, s20, s26
	s_cselect_b64 s[26:27], -1, 0
	s_cmp_lg_u64 s[26:27], 0
	s_subb_u32 s30, s28, s19
	s_sub_u32 s31, s20, s18
	s_cselect_b64 s[28:29], -1, 0
	s_cmp_lg_u64 s[28:29], 0
	s_subb_u32 s28, s30, 0
	s_cmp_ge_u32 s28, s19
	s_cselect_b32 s29, -1, 0
	s_cmp_ge_u32 s31, s18
	s_cselect_b32 s30, -1, 0
	s_cmp_eq_u32 s28, s19
	s_cselect_b32 s28, s30, s29
	s_add_u32 s29, s11, 1
	s_addc_u32 s30, s15, 0
	s_add_u32 s31, s11, 2
	s_addc_u32 s33, s15, 0
	s_cmp_lg_u32 s28, 0
	s_cselect_b32 s28, s31, s29
	s_cselect_b32 s29, s33, s30
	s_cmp_lg_u64 s[26:27], 0
	s_subb_u32 s21, s21, s23
	s_cmp_ge_u32 s21, s19
	s_cselect_b32 s23, -1, 0
	s_cmp_ge_u32 s20, s18
	s_cselect_b32 s18, -1, 0
	s_cmp_eq_u32 s21, s19
	s_cselect_b32 s18, s18, s23
	s_cmp_lg_u32 s18, 0
	s_cselect_b32 s19, s29, s15
	s_cselect_b32 s18, s28, s11
	s_xor_b64 s[20:21], s[24:25], 0
	s_xor_b64 s[18:19], s[18:19], s[20:21]
	s_sub_u32 s18, s18, s20
	s_cbranch_execnz .LBB67_6
.LBB67_5:
	v_cvt_f32_u32_e32 v1, s22
	s_sub_i32 s11, 0, s22
	v_rcp_iflag_f32_e32 v1, v1
	v_mul_f32_e32 v1, 0x4f7ffffe, v1
	v_cvt_u32_f32_e32 v1, v1
	s_waitcnt lgkmcnt(0)
	v_readfirstlane_b32 s15, v1
	s_mul_i32 s11, s11, s15
	s_mul_hi_u32 s11, s15, s11
	s_add_i32 s15, s15, s11
	s_mul_hi_u32 s11, s9, s15
	s_mul_i32 s16, s11, s22
	s_sub_i32 s9, s9, s16
	s_add_i32 s15, s11, 1
	s_sub_i32 s16, s9, s22
	s_cmp_ge_u32 s9, s22
	s_cselect_b32 s11, s15, s11
	s_cselect_b32 s9, s16, s9
	s_add_i32 s15, s11, 1
	s_cmp_ge_u32 s9, s22
	s_cselect_b32 s18, s15, s11
.LBB67_6:
	s_cmp_eq_u32 s10, s18
	s_waitcnt lgkmcnt(0)
	s_mul_hi_u32 s9, s10, s12
	s_cselect_b64 s[16:17], -1, 0
	s_add_i32 s9, s9, s10
	s_lshr_b32 s11, s9, s13
	s_mul_i32 s9, s11, s14
	s_cmp_eq_u32 s9, s10
	s_mul_hi_u32 s9, s18, s12
	s_cselect_b64 s[20:21], -1, 0
	s_add_i32 s9, s9, s18
	s_lshr_b32 s9, s9, s13
	s_cmp_eq_u32 s11, s9
	s_mul_i32 s9, s9, s14
	s_cselect_b64 s[24:25], -1, 0
	s_cmp_lg_u32 s9, s18
	s_cselect_b64 s[18:19], -1, 0
	s_and_b64 s[18:19], s[24:25], s[18:19]
	s_or_b64 s[16:17], s[16:17], s[20:21]
	s_or_b64 s[16:17], s[16:17], s[18:19]
	s_and_b64 vcc, exec, s[16:17]
	s_cbranch_vccnz .LBB67_23
; %bb.7:
	s_load_dwordx8 s[24:31], s[4:5], 0x20
	s_load_dword s15, s[4:5], 0x40
	s_waitcnt lgkmcnt(0)
	s_mul_hi_u32 s9, s10, s24
	s_add_i32 s9, s9, s10
	s_lshr_b32 s9, s9, s25
	s_mul_i32 s16, s9, s26
	s_sub_i32 s16, s10, s16
	s_mul_hi_u32 s17, s16, s27
	s_add_i32 s17, s16, s17
	s_lshr_b32 s24, s17, s28
	s_mul_i32 s17, s24, s29
	s_sub_i32 s16, s16, s17
	;; [unrolled: 5-line block ×3, first 2 shown]
	s_mul_hi_u32 s16, s15, s12
	s_add_i32 s15, s15, s16
	s_lshr_b32 s25, s15, s13
	s_lshl_b32 s15, s25, 2
	s_add_i32 s15, s15, s7
	s_cmp_lt_i32 s15, s0
	s_cselect_b64 s[16:17], -1, 0
	s_add_i32 s15, s23, s8
	s_cmp_lt_i32 s15, s2
	s_cselect_b64 s[18:19], -1, 0
	s_and_b64 s[16:17], s[16:17], s[18:19]
	s_andn2_b64 vcc, exec, s[16:17]
	s_cbranch_vccnz .LBB67_23
; %bb.8:
	s_load_dwordx4 s[16:19], s[4:5], 0x0
	s_mov_b32 s4, 0
	s_lshl_b32 s20, s22, 4
	s_mov_b32 s21, s4
	s_add_i32 s15, s7, s8
	s_lshl_b64 s[20:21], s[20:21], 2
	s_waitcnt lgkmcnt(0)
	s_add_u32 s20, s18, s20
	s_mul_i32 s0, s9, s0
	s_addc_u32 s21, s19, s21
	s_add_i32 s0, s0, s7
	s_mul_i32 s0, s0, s1
	s_mul_i32 s24, s24, s2
	s_add_i32 s0, s0, s8
	s_add_i32 s0, s0, s24
	s_mul_i32 s2, s1, s25
	s_add_i32 s0, s0, s23
	s_lshl_b32 s2, s2, 9
	s_lshl_b32 s0, s0, 7
	s_add_i32 s2, s2, s0
	v_or_b32_e32 v1, s2, v0
	v_ashrrev_i32_e32 v2, 31, v1
	v_lshlrev_b64 v[1:2], 2, v[1:2]
	v_mov_b32_e32 v3, s17
	v_add_co_u32_e32 v1, vcc, s16, v1
	v_addc_co_u32_e32 v2, vcc, v3, v2, vcc
	global_load_dword v3, v[1:2], off
	v_cvt_f32_u32_e32 v4, s22
	s_lshl_b32 s0, s6, 2
	s_add_i32 s0, s0, s15
	s_ashr_i32 s1, s0, 31
	s_lshl_b64 s[0:1], s[0:1], 3
	v_rcp_iflag_f32_e32 v4, v4
	s_add_u32 s0, s18, s0
	s_addc_u32 s1, s19, s1
	s_load_dwordx2 s[0:1], s[0:1], 0x0
	v_mul_f32_e32 v4, 0x4f7ffffe, v4
	v_cvt_u32_f32_e32 v4, v4
	s_add_i32 s24, s6, -1
	v_lshl_or_b32 v0, s15, 7, v0
	s_waitcnt lgkmcnt(0)
	v_mov_b32_e32 v6, s1
	v_mov_b32_e32 v7, s0
	s_mov_b32 s2, 0x3fb8aa3b
	s_mov_b32 s16, 0xc2ce8ed0
	;; [unrolled: 1-line block ×4, first 2 shown]
	v_mov_b32_e32 v5, 0x7f800000
	s_mul_hi_i32 s5, s24, s3
	s_cmp_lg_u64 s[4:5], 0
	s_mul_i32 s8, s24, s3
	s_cbranch_scc0 .LBB67_19
.LBB67_9:
	s_add_u32 s0, s22, 0
	s_addc_u32 s1, 0, 0
	s_xor_b64 s[0:1], s[0:1], 0
	v_cvt_f32_u32_e32 v8, s0
	v_cvt_f32_u32_e32 v9, s1
	s_sub_u32 s9, 0, s0
	s_subb_u32 s25, 0, s1
	v_mac_f32_e32 v8, 0x4f800000, v9
	v_rcp_f32_e32 v8, v8
	v_mul_f32_e32 v8, 0x5f7ffffc, v8
	v_mul_f32_e32 v9, 0x2f800000, v8
	v_trunc_f32_e32 v9, v9
	v_mac_f32_e32 v8, 0xcf800000, v9
	v_cvt_u32_f32_e32 v9, v9
	v_cvt_u32_f32_e32 v8, v8
	v_readfirstlane_b32 s26, v9
	v_readfirstlane_b32 s6, v8
	s_mul_i32 s7, s9, s26
	s_mul_hi_u32 s28, s9, s6
	s_mul_i32 s27, s25, s6
	s_add_i32 s7, s28, s7
	s_mul_i32 s29, s9, s6
	s_add_i32 s7, s7, s27
	s_mul_i32 s28, s6, s7
	s_mul_hi_u32 s30, s6, s29
	s_mul_hi_u32 s27, s6, s7
	s_add_u32 s28, s30, s28
	s_addc_u32 s27, 0, s27
	s_mul_hi_u32 s31, s26, s29
	s_mul_i32 s29, s26, s29
	s_add_u32 s28, s28, s29
	s_mul_hi_u32 s30, s26, s7
	s_addc_u32 s27, s27, s31
	s_addc_u32 s28, s30, 0
	s_mul_i32 s7, s26, s7
	s_add_u32 s7, s27, s7
	s_addc_u32 s27, 0, s28
	s_add_u32 s28, s6, s7
	s_cselect_b64 s[6:7], -1, 0
	s_cmp_lg_u64 s[6:7], 0
	s_addc_u32 s26, s26, s27
	s_mul_i32 s6, s9, s26
	s_mul_hi_u32 s7, s9, s28
	s_add_i32 s6, s7, s6
	s_mul_i32 s25, s25, s28
	s_add_i32 s6, s6, s25
	s_mul_i32 s9, s9, s28
	s_mul_hi_u32 s25, s26, s9
	s_mul_i32 s27, s26, s9
	s_mul_i32 s30, s28, s6
	s_mul_hi_u32 s9, s28, s9
	s_mul_hi_u32 s29, s28, s6
	s_add_u32 s9, s9, s30
	s_addc_u32 s29, 0, s29
	s_add_u32 s9, s9, s27
	s_mul_hi_u32 s7, s26, s6
	s_addc_u32 s9, s29, s25
	s_addc_u32 s7, s7, 0
	s_mul_i32 s6, s26, s6
	s_add_u32 s6, s9, s6
	s_addc_u32 s9, 0, s7
	s_add_u32 s25, s28, s6
	s_cselect_b64 s[6:7], -1, 0
	s_cmp_lg_u64 s[6:7], 0
	s_addc_u32 s9, s26, s9
	s_ashr_i32 s6, s5, 31
	s_add_u32 s26, s8, s6
	s_mov_b32 s7, s6
	s_addc_u32 s27, s5, s6
	s_xor_b64 s[26:27], s[26:27], s[6:7]
	s_mul_i32 s28, s26, s9
	s_mul_hi_u32 s29, s26, s25
	s_mul_hi_u32 s5, s26, s9
	s_add_u32 s28, s29, s28
	s_addc_u32 s5, 0, s5
	s_mul_hi_u32 s30, s27, s25
	s_mul_i32 s25, s27, s25
	s_add_u32 s25, s28, s25
	s_mul_hi_u32 s29, s27, s9
	s_addc_u32 s5, s5, s30
	s_addc_u32 s25, s29, 0
	s_mul_i32 s9, s27, s9
	s_add_u32 s5, s5, s9
	s_addc_u32 s9, 0, s25
	s_mul_i32 s25, s0, s9
	s_mul_hi_u32 s28, s0, s5
	s_add_i32 s25, s28, s25
	s_mul_i32 s28, s1, s5
	s_add_i32 s25, s25, s28
	s_sub_i32 s30, s27, s25
	s_mul_i32 s28, s0, s5
	s_sub_u32 s26, s26, s28
	s_cselect_b64 s[28:29], -1, 0
	s_cmp_lg_u64 s[28:29], 0
	s_subb_u32 s33, s30, s1
	s_sub_u32 s34, s26, s0
	s_cselect_b64 s[30:31], -1, 0
	s_cmp_lg_u64 s[30:31], 0
	s_subb_u32 s30, s33, 0
	s_cmp_ge_u32 s30, s1
	s_cselect_b32 s31, -1, 0
	s_cmp_ge_u32 s34, s0
	s_cselect_b32 s33, -1, 0
	s_cmp_eq_u32 s30, s1
	s_cselect_b32 s30, s33, s31
	s_add_u32 s31, s5, 1
	s_addc_u32 s33, s9, 0
	s_add_u32 s34, s5, 2
	s_addc_u32 s35, s9, 0
	s_cmp_lg_u32 s30, 0
	s_cselect_b32 s30, s34, s31
	s_cselect_b32 s31, s35, s33
	s_cmp_lg_u64 s[28:29], 0
	s_subb_u32 s25, s27, s25
	s_cmp_ge_u32 s25, s1
	s_cselect_b32 s27, -1, 0
	s_cmp_ge_u32 s26, s0
	s_cselect_b32 s0, -1, 0
	s_cmp_eq_u32 s25, s1
	s_cselect_b32 s0, s0, s27
	s_cmp_lg_u32 s0, 0
	s_cselect_b32 s1, s31, s9
	s_cselect_b32 s0, s30, s5
	s_xor_b64 s[6:7], s[6:7], 0
	s_xor_b64 s[0:1], s[0:1], s[6:7]
	s_sub_u32 s6, s0, s6
	s_cbranch_execnz .LBB67_11
.LBB67_10:
	s_sub_i32 s0, 0, s22
	v_readfirstlane_b32 s1, v4
	s_mul_i32 s0, s0, s1
	s_mul_hi_u32 s0, s1, s0
	s_add_i32 s1, s1, s0
	s_mul_hi_u32 s0, s8, s1
	s_mul_i32 s5, s0, s22
	s_sub_i32 s5, s8, s5
	s_add_i32 s1, s0, 1
	s_sub_i32 s6, s5, s22
	s_cmp_ge_u32 s5, s22
	s_cselect_b32 s0, s1, s0
	s_cselect_b32 s5, s6, s5
	s_add_i32 s1, s0, 1
	s_cmp_ge_u32 s5, s22
	s_cselect_b32 s6, s1, s0
.LBB67_11:
	s_cmp_lg_u32 s10, s6
	s_mov_b64 s[8:9], -1
                                        ; implicit-def: $sgpr0_sgpr1
                                        ; implicit-def: $vgpr10
                                        ; implicit-def: $vgpr8
                                        ; implicit-def: $vgpr9
                                        ; implicit-def: $sgpr5
                                        ; implicit-def: $sgpr7
	s_cbranch_scc1 .LBB67_14
; %bb.12:
	s_andn2_b64 vcc, exec, s[8:9]
	s_cbranch_vccz .LBB67_17
.LBB67_13:
	s_andn2_b64 vcc, exec, s[0:1]
	s_cbranch_vccnz .LBB67_18
	s_branch .LBB67_22
.LBB67_14:
	s_add_i32 s0, s24, s22
	s_lshl_b32 s0, s0, 2
	s_add_i32 s0, s0, s15
	s_mov_b32 s1, s4
	s_lshl_b64 s[0:1], s[0:1], 3
	s_add_u32 s8, s18, s0
	s_mul_hi_u32 s0, s6, s12
	s_addc_u32 s9, s19, s1
	s_add_i32 s0, s0, s6
	s_lshr_b32 s5, s0, s13
	s_mul_i32 s0, s5, s14
	s_cmp_eq_u32 s0, s6
	s_cselect_b64 s[0:1], -1, 0
	s_cmp_lt_u32 s5, s11
	s_cselect_b64 s[26:27], -1, 0
	s_or_b64 s[26:27], s[26:27], s[0:1]
	s_mov_b64 s[0:1], -1
	s_and_b64 vcc, exec, s[26:27]
	s_mov_b32 s5, s24
	s_mov_b32 s7, s10
	s_cbranch_vccnz .LBB67_16
; %bb.15:
	s_add_i32 s5, s24, -1
	s_mov_b64 s[0:1], 0
	s_mov_b32 s7, s6
.LBB67_16:
	v_lshl_add_u32 v8, s24, 9, v0
	v_ashrrev_i32_e32 v9, 31, v8
	v_lshlrev_b64 v[8:9], 2, v[8:9]
	v_mov_b32_e32 v10, s21
	v_add_co_u32_e32 v8, vcc, s20, v8
	v_addc_co_u32_e32 v9, vcc, v10, v9, vcc
	global_load_dword v10, v[8:9], off
	s_load_dwordx2 s[8:9], s[8:9], 0x0
	v_max_f32_e32 v8, v7, v7
	s_waitcnt lgkmcnt(0)
	v_max_f32_e64 v9, s8, s8
	v_max_f32_e32 v8, v8, v9
	v_sub_f32_e32 v9, v7, v8
	v_sub_f32_e32 v11, s8, v8
	v_mul_f32_e32 v12, 0x3fb8aa3b, v9
	v_mul_f32_e32 v13, 0x3fb8aa3b, v11
	v_fma_f32 v14, v9, s2, -v12
	v_rndne_f32_e32 v15, v12
	v_fma_f32 v16, v11, s2, -v13
	v_rndne_f32_e32 v17, v13
	v_fmac_f32_e32 v14, 0x32a5705f, v9
	v_sub_f32_e32 v12, v12, v15
	v_fmac_f32_e32 v16, 0x32a5705f, v11
	v_sub_f32_e32 v13, v13, v17
	v_add_f32_e32 v12, v12, v14
	v_cvt_i32_f32_e32 v15, v15
	v_add_f32_e32 v13, v13, v16
	v_exp_f32_e32 v12, v12
	v_cvt_i32_f32_e32 v17, v17
	v_exp_f32_e32 v13, v13
	v_cmp_ngt_f32_e32 vcc, s16, v9
	v_ldexp_f32 v12, v12, v15
	v_cndmask_b32_e32 v12, 0, v12, vcc
	v_ldexp_f32 v13, v13, v17
	v_cmp_ngt_f32_e32 vcc, s16, v11
	v_cndmask_b32_e32 v13, 0, v13, vcc
	v_cmp_nlt_f32_e32 vcc, s17, v9
	v_cndmask_b32_e32 v12, v5, v12, vcc
	v_cmp_nlt_f32_e32 vcc, s17, v11
	v_cndmask_b32_e32 v13, v5, v13, vcc
	v_cmp_le_f32_e32 vcc, s23, v9
	v_cndmask_b32_e32 v12, 0, v12, vcc
	v_cmp_le_f32_e32 vcc, s23, v11
	v_cndmask_b32_e32 v11, 0, v13, vcc
	v_mul_f32_e32 v9, s9, v11
	v_fmac_f32_e32 v9, v6, v12
	s_waitcnt vmcnt(0)
	v_mul_f32_e32 v10, v10, v11
	v_fmac_f32_e32 v10, v3, v12
	s_cbranch_execnz .LBB67_13
.LBB67_17:
	s_add_i32 s5, s24, -1
	s_mov_b32 s7, s10
	v_mov_b32_e32 v9, v6
	v_mov_b32_e32 v8, v7
	s_waitcnt vmcnt(0)
	v_mov_b32_e32 v10, v3
	s_cbranch_execz .LBB67_22
.LBB67_18:
	s_mov_b32 s10, s7
	s_mov_b32 s24, s5
	v_mov_b32_e32 v6, v9
	v_mov_b32_e32 v7, v8
	s_waitcnt vmcnt(0)
	v_mov_b32_e32 v3, v10
	s_mul_hi_i32 s5, s24, s3
	s_cmp_lg_u64 s[4:5], 0
	s_mul_i32 s8, s24, s3
	s_cbranch_scc1 .LBB67_9
.LBB67_19:
                                        ; implicit-def: $sgpr6_sgpr7
	s_branch .LBB67_10
.LBB67_20:
                                        ; implicit-def: $sgpr10_sgpr11
	s_load_dwordx4 s[12:15], s[4:5], 0x44
	s_branch .LBB67_2
.LBB67_21:
                                        ; implicit-def: $sgpr18_sgpr19
	s_branch .LBB67_5
.LBB67_22:
	v_div_scale_f32 v0, s[0:1], v9, v9, v10
	s_waitcnt vmcnt(0)
	v_div_scale_f32 v3, vcc, v10, v9, v10
	v_rcp_f32_e32 v4, v0
	v_fma_f32 v5, -v0, v4, 1.0
	v_fmac_f32_e32 v4, v5, v4
	v_mul_f32_e32 v5, v3, v4
	v_fma_f32 v6, -v0, v5, v3
	v_fmac_f32_e32 v5, v6, v4
	v_fma_f32 v0, -v0, v5, v3
	v_div_fmas_f32 v0, v0, v4, v5
	v_div_fixup_f32 v0, v0, v9, v10
	global_store_dword v[1:2], v0, off
.LBB67_23:
	s_endpgm
	.section	.rodata,"a",@progbits
	.p2align	6, 0x0
	.amdhsa_kernel _ZL33flash_attn_stream_k_fixup_generalILi128ELi4ELi1EEvPfPK15HIP_vector_typeIfLj2EEiiiiS1_IjLj3EES5_S5_S5_
		.amdhsa_group_segment_fixed_size 0
		.amdhsa_private_segment_fixed_size 0
		.amdhsa_kernarg_size 336
		.amdhsa_user_sgpr_count 6
		.amdhsa_user_sgpr_private_segment_buffer 1
		.amdhsa_user_sgpr_dispatch_ptr 0
		.amdhsa_user_sgpr_queue_ptr 0
		.amdhsa_user_sgpr_kernarg_segment_ptr 1
		.amdhsa_user_sgpr_dispatch_id 0
		.amdhsa_user_sgpr_flat_scratch_init 0
		.amdhsa_user_sgpr_private_segment_size 0
		.amdhsa_uses_dynamic_stack 0
		.amdhsa_system_sgpr_private_segment_wavefront_offset 0
		.amdhsa_system_sgpr_workgroup_id_x 1
		.amdhsa_system_sgpr_workgroup_id_y 1
		.amdhsa_system_sgpr_workgroup_id_z 1
		.amdhsa_system_sgpr_workgroup_info 0
		.amdhsa_system_vgpr_workitem_id 0
		.amdhsa_next_free_vgpr 18
		.amdhsa_next_free_sgpr 36
		.amdhsa_reserve_vcc 1
		.amdhsa_reserve_flat_scratch 0
		.amdhsa_float_round_mode_32 0
		.amdhsa_float_round_mode_16_64 0
		.amdhsa_float_denorm_mode_32 3
		.amdhsa_float_denorm_mode_16_64 3
		.amdhsa_dx10_clamp 1
		.amdhsa_ieee_mode 1
		.amdhsa_fp16_overflow 0
		.amdhsa_exception_fp_ieee_invalid_op 0
		.amdhsa_exception_fp_denorm_src 0
		.amdhsa_exception_fp_ieee_div_zero 0
		.amdhsa_exception_fp_ieee_overflow 0
		.amdhsa_exception_fp_ieee_underflow 0
		.amdhsa_exception_fp_ieee_inexact 0
		.amdhsa_exception_int_div_zero 0
	.end_amdhsa_kernel
	.section	.text._ZL33flash_attn_stream_k_fixup_generalILi128ELi4ELi1EEvPfPK15HIP_vector_typeIfLj2EEiiiiS1_IjLj3EES5_S5_S5_,"axG",@progbits,_ZL33flash_attn_stream_k_fixup_generalILi128ELi4ELi1EEvPfPK15HIP_vector_typeIfLj2EEiiiiS1_IjLj3EES5_S5_S5_,comdat
.Lfunc_end67:
	.size	_ZL33flash_attn_stream_k_fixup_generalILi128ELi4ELi1EEvPfPK15HIP_vector_typeIfLj2EEiiiiS1_IjLj3EES5_S5_S5_, .Lfunc_end67-_ZL33flash_attn_stream_k_fixup_generalILi128ELi4ELi1EEvPfPK15HIP_vector_typeIfLj2EEiiiiS1_IjLj3EES5_S5_S5_
                                        ; -- End function
	.set _ZL33flash_attn_stream_k_fixup_generalILi128ELi4ELi1EEvPfPK15HIP_vector_typeIfLj2EEiiiiS1_IjLj3EES5_S5_S5_.num_vgpr, 18
	.set _ZL33flash_attn_stream_k_fixup_generalILi128ELi4ELi1EEvPfPK15HIP_vector_typeIfLj2EEiiiiS1_IjLj3EES5_S5_S5_.num_agpr, 0
	.set _ZL33flash_attn_stream_k_fixup_generalILi128ELi4ELi1EEvPfPK15HIP_vector_typeIfLj2EEiiiiS1_IjLj3EES5_S5_S5_.numbered_sgpr, 36
	.set _ZL33flash_attn_stream_k_fixup_generalILi128ELi4ELi1EEvPfPK15HIP_vector_typeIfLj2EEiiiiS1_IjLj3EES5_S5_S5_.num_named_barrier, 0
	.set _ZL33flash_attn_stream_k_fixup_generalILi128ELi4ELi1EEvPfPK15HIP_vector_typeIfLj2EEiiiiS1_IjLj3EES5_S5_S5_.private_seg_size, 0
	.set _ZL33flash_attn_stream_k_fixup_generalILi128ELi4ELi1EEvPfPK15HIP_vector_typeIfLj2EEiiiiS1_IjLj3EES5_S5_S5_.uses_vcc, 1
	.set _ZL33flash_attn_stream_k_fixup_generalILi128ELi4ELi1EEvPfPK15HIP_vector_typeIfLj2EEiiiiS1_IjLj3EES5_S5_S5_.uses_flat_scratch, 0
	.set _ZL33flash_attn_stream_k_fixup_generalILi128ELi4ELi1EEvPfPK15HIP_vector_typeIfLj2EEiiiiS1_IjLj3EES5_S5_S5_.has_dyn_sized_stack, 0
	.set _ZL33flash_attn_stream_k_fixup_generalILi128ELi4ELi1EEvPfPK15HIP_vector_typeIfLj2EEiiiiS1_IjLj3EES5_S5_S5_.has_recursion, 0
	.set _ZL33flash_attn_stream_k_fixup_generalILi128ELi4ELi1EEvPfPK15HIP_vector_typeIfLj2EEiiiiS1_IjLj3EES5_S5_S5_.has_indirect_call, 0
	.section	.AMDGPU.csdata,"",@progbits
; Kernel info:
; codeLenInByte = 2932
; TotalNumSgprs: 40
; NumVgprs: 18
; ScratchSize: 0
; MemoryBound: 0
; FloatMode: 240
; IeeeMode: 1
; LDSByteSize: 0 bytes/workgroup (compile time only)
; SGPRBlocks: 4
; VGPRBlocks: 4
; NumSGPRsForWavesPerEU: 40
; NumVGPRsForWavesPerEU: 18
; Occupancy: 10
; WaveLimiterHint : 0
; COMPUTE_PGM_RSRC2:SCRATCH_EN: 0
; COMPUTE_PGM_RSRC2:USER_SGPR: 6
; COMPUTE_PGM_RSRC2:TRAP_HANDLER: 0
; COMPUTE_PGM_RSRC2:TGID_X_EN: 1
; COMPUTE_PGM_RSRC2:TGID_Y_EN: 1
; COMPUTE_PGM_RSRC2:TGID_Z_EN: 1
; COMPUTE_PGM_RSRC2:TIDIG_COMP_CNT: 0
	.section	.text._ZL15flash_attn_tileILi128ELi128ELi2ELi1ELb0EEvPKcS1_S1_S1_S1_PKiPfP15HIP_vector_typeIfLj2EEffffjfiS5_IjLj3EEiiiiiiiiiiiliiliiiiil,"axG",@progbits,_ZL15flash_attn_tileILi128ELi128ELi2ELi1ELb0EEvPKcS1_S1_S1_S1_PKiPfP15HIP_vector_typeIfLj2EEffffjfiS5_IjLj3EEiiiiiiiiiiiliiliiiiil,comdat
	.globl	_ZL15flash_attn_tileILi128ELi128ELi2ELi1ELb0EEvPKcS1_S1_S1_S1_PKiPfP15HIP_vector_typeIfLj2EEffffjfiS5_IjLj3EEiiiiiiiiiiiliiliiiiil ; -- Begin function _ZL15flash_attn_tileILi128ELi128ELi2ELi1ELb0EEvPKcS1_S1_S1_S1_PKiPfP15HIP_vector_typeIfLj2EEffffjfiS5_IjLj3EEiiiiiiiiiiiliiliiiiil
	.p2align	8
	.type	_ZL15flash_attn_tileILi128ELi128ELi2ELi1ELb0EEvPKcS1_S1_S1_S1_PKiPfP15HIP_vector_typeIfLj2EEffffjfiS5_IjLj3EEiiiiiiiiiiiliiliiiiil,@function
_ZL15flash_attn_tileILi128ELi128ELi2ELi1ELb0EEvPKcS1_S1_S1_S1_PKiPfP15HIP_vector_typeIfLj2EEffffjfiS5_IjLj3EEiiiiiiiiiiiliiliiiiil: ; @_ZL15flash_attn_tileILi128ELi128ELi2ELi1ELb0EEvPKcS1_S1_S1_S1_PKiPfP15HIP_vector_typeIfLj2EEffffjfiS5_IjLj3EEiiiiiiiiiiiliiliiiiil
; %bb.0:
	s_load_dwordx4 s[28:31], s[4:5], 0x5c
	s_load_dwordx2 s[42:43], s[4:5], 0x80
	s_add_u32 flat_scratch_lo, s6, s11
	s_addc_u32 flat_scratch_hi, s7, 0
	s_add_u32 s0, s0, s11
	s_waitcnt lgkmcnt(0)
	v_cvt_f32_u32_e32 v2, s31
	s_addc_u32 s1, s1, 0
	s_sub_i32 s6, 0, s31
	s_load_dwordx2 s[44:45], s[4:5], 0xb8
	v_rcp_iflag_f32_e32 v2, v2
	s_mov_b64 s[40:41], 0
	v_mul_f32_e32 v2, 0x4f7ffffe, v2
	v_cvt_u32_f32_e32 v2, v2
	v_readfirstlane_b32 s7, v2
	s_mul_i32 s6, s6, s7
	s_mul_hi_u32 s6, s7, s6
	s_add_i32 s7, s7, s6
	s_mul_hi_u32 s6, s10, s7
	s_mul_i32 s7, s6, s31
	s_sub_i32 s7, s10, s7
	s_add_i32 s11, s6, 1
	s_sub_i32 s12, s7, s31
	s_cmp_ge_u32 s7, s31
	s_cselect_b32 s6, s11, s6
	s_cselect_b32 s7, s12, s7
	s_add_i32 s11, s6, 1
	s_cmp_ge_u32 s7, s31
	s_cselect_b32 s33, s11, s6
	s_abs_i32 s6, s43
	v_cvt_f32_u32_e32 v2, s6
	s_mul_i32 s12, s33, s31
	s_sub_i32 s13, 0, s6
	s_sub_i32 s34, s10, s12
	v_rcp_iflag_f32_e32 v2, v2
	s_abs_i32 s11, s31
	s_xor_b32 s7, s31, s43
	s_ashr_i32 s7, s7, 31
	v_mul_f32_e32 v2, 0x4f7ffffe, v2
	v_cvt_u32_f32_e32 v2, v2
	v_readfirstlane_b32 s10, v2
	s_mul_i32 s13, s13, s10
	s_mul_hi_u32 s12, s10, s13
	s_add_i32 s10, s10, s12
	s_mul_hi_u32 s10, s11, s10
	s_mul_i32 s12, s10, s6
	s_sub_i32 s11, s11, s12
	s_add_i32 s13, s10, 1
	s_sub_i32 s12, s11, s6
	s_cmp_ge_u32 s11, s6
	s_cselect_b32 s10, s13, s10
	s_cselect_b32 s11, s12, s11
	s_add_i32 s12, s10, 1
	s_cmp_ge_u32 s11, s6
	s_cselect_b32 s6, s12, s10
	s_xor_b32 s6, s6, s7
	s_sub_i32 s46, s6, s7
	s_abs_i32 s43, s46
	v_cvt_f32_u32_e32 v2, s43
	s_load_dwordx16 s[12:27], s[4:5], 0x0
	s_sub_i32 s7, 0, s43
	v_rcp_iflag_f32_e32 v2, v2
	s_waitcnt lgkmcnt(0)
	s_cmp_eq_u64 s[18:19], 0
	v_mul_f32_e32 v2, 0x4f7ffffe, v2
	v_cvt_u32_f32_e32 v2, v2
	v_readfirstlane_b32 s6, v2
	s_mul_i32 s7, s7, s6
	s_mul_hi_u32 s7, s6, s7
	s_cbranch_scc1 .LBB68_2
; %bb.1:
	s_abs_i32 s35, s44
	v_cvt_f32_u32_e32 v2, s35
	s_sub_i32 s38, 0, s35
	s_abs_i32 s37, s33
	s_ashr_i32 s36, s33, 31
	v_rcp_iflag_f32_e32 v2, v2
	s_load_dwordx2 s[10:11], s[4:5], 0xc8
	v_mul_f32_e32 v2, 0x4f7ffffe, v2
	v_cvt_u32_f32_e32 v2, v2
	v_readfirstlane_b32 s39, v2
	s_mul_i32 s38, s38, s39
	s_mul_hi_u32 s38, s39, s38
	s_add_i32 s39, s39, s38
	s_mul_hi_u32 s38, s37, s39
	s_mul_i32 s38, s38, s35
	s_sub_i32 s37, s37, s38
	s_sub_i32 s38, s37, s35
	s_cmp_ge_u32 s37, s35
	s_cselect_b32 s37, s38, s37
	s_sub_i32 s38, s37, s35
	s_cmp_ge_u32 s37, s35
	s_cselect_b32 s35, s38, s37
	s_xor_b32 s35, s35, s36
	s_sub_i32 s35, s35, s36
	s_ashr_i32 s36, s35, 31
	s_waitcnt lgkmcnt(0)
	s_mul_hi_u32 s37, s10, s35
	s_mul_i32 s36, s10, s36
	s_mul_i32 s11, s11, s35
	s_add_i32 s36, s37, s36
	s_add_i32 s36, s36, s11
	s_mul_i32 s10, s10, s35
	s_add_u32 s40, s18, s10
	s_addc_u32 s41, s19, s36
.LBB68_2:
	s_load_dwordx4 s[36:39], s[4:5], 0x40
	s_add_i32 s19, s6, s7
	s_load_dword s6, s[4:5], 0x50
	s_abs_i32 s18, s34
	v_mov_b32_e32 v30, 1.0
	s_waitcnt lgkmcnt(0)
	v_cmp_le_f32_e64 s[10:11], s37, 0
	s_and_b64 vcc, exec, s[10:11]
	s_cbranch_vccnz .LBB68_4
; %bb.3:
	v_mov_b32_e32 v2, s6
	v_sub_co_u32_e32 v2, vcc, s34, v2
	v_mov_b32_e32 v3, s39
	v_mov_b32_e32 v4, s38
	s_add_i32 s6, s34, 1
	v_lshlrev_b32_e32 v2, 1, v2
	v_cndmask_b32_e32 v3, v3, v4, vcc
	v_or_b32_e32 v2, 1, v2
	v_mov_b32_e32 v4, s6
	v_cndmask_b32_e32 v2, v2, v4, vcc
	v_cvt_f32_i32_e32 v2, v2
	v_cmp_neq_f32_e32 vcc, 1.0, v3
	s_mov_b32 s6, 0x3f2aaaab
	s_movk_i32 s10, 0x204
	v_cndmask_b32_e32 v4, 1.0, v2, vcc
	v_cmp_neq_f32_e32 vcc, 0, v4
	v_cndmask_b32_e32 v5, 1.0, v3, vcc
	v_frexp_mant_f32_e64 v2, |v5|
	v_cmp_gt_f32_e32 vcc, s6, v2
	v_cndmask_b32_e64 v3, 1.0, 2.0, vcc
	v_mul_f32_e32 v2, v2, v3
	v_add_f32_e32 v3, 1.0, v2
	v_rcp_f32_e32 v6, v3
	v_add_f32_e32 v7, -1.0, v2
	v_add_f32_e32 v8, -1.0, v3
	v_sub_f32_e32 v2, v2, v8
	v_mul_f32_e32 v8, v7, v6
	v_mul_f32_e32 v9, v3, v8
	v_fma_f32 v3, v8, v3, -v9
	v_fmac_f32_e32 v3, v8, v2
	v_add_f32_e32 v2, v9, v3
	v_sub_f32_e32 v10, v7, v2
	v_sub_f32_e32 v9, v2, v9
	;; [unrolled: 1-line block ×5, first 2 shown]
	v_add_f32_e32 v2, v3, v2
	v_add_f32_e32 v2, v10, v2
	v_mul_f32_e32 v2, v6, v2
	v_add_f32_e32 v6, v8, v2
	v_sub_f32_e32 v3, v6, v8
	v_sub_f32_e32 v7, v2, v3
	v_mul_f32_e32 v2, v6, v6
	v_fma_f32 v3, v6, v6, -v2
	v_add_f32_e32 v8, v7, v7
	v_fmac_f32_e32 v3, v6, v8
	v_add_f32_e32 v8, v2, v3
	v_mov_b32_e32 v9, 0x3e91f4c4
	v_sub_f32_e32 v2, v8, v2
	v_fmac_f32_e32 v9, 0x3e76c4e1, v8
	v_mov_b32_e32 v10, 0x3ecccdef
	v_sub_f32_e32 v2, v3, v2
	v_mul_f32_e32 v3, v6, v8
	v_fmac_f32_e32 v10, v8, v9
	v_fma_f32 v9, v8, v6, -v3
	v_fmac_f32_e32 v9, v8, v7
	v_fmac_f32_e32 v9, v2, v6
	v_add_f32_e32 v11, v3, v9
	v_sub_f32_e32 v3, v11, v3
	v_sub_f32_e32 v9, v9, v3
	v_mul_f32_e32 v3, v8, v10
	v_fma_f32 v8, v8, v10, -v3
	v_fmac_f32_e32 v8, v2, v10
	v_add_f32_e32 v10, v3, v8
	v_sub_f32_e32 v2, v10, v3
	v_sub_f32_e32 v8, v8, v2
	v_cvt_f64_f32_e64 v[2:3], |v5|
	v_add_f32_e32 v12, 0x3f2aaaaa, v10
	v_add_f32_e32 v13, 0xbf2aaaaa, v12
	;; [unrolled: 1-line block ×3, first 2 shown]
	v_frexp_exp_i32_f64_e32 v2, v[2:3]
	v_sub_f32_e32 v10, v10, v13
	v_add_f32_e32 v3, v8, v10
	v_add_f32_e32 v8, v12, v3
	v_sub_f32_e32 v10, v12, v8
	v_add_f32_e32 v3, v3, v10
	v_mul_f32_e32 v10, v11, v8
	v_fma_f32 v12, v11, v8, -v10
	v_subbrev_co_u32_e32 v2, vcc, 0, v2, vcc
	v_cvt_f32_i32_e32 v2, v2
	v_fmac_f32_e32 v12, v11, v3
	s_mov_b32 s6, 0x3f317218
	v_fmac_f32_e32 v12, v9, v8
	v_mul_f32_e32 v3, 0x3f317218, v2
	v_fma_f32 v8, v2, s6, -v3
	v_fmac_f32_e32 v8, 0xb102e308, v2
	v_ldexp_f32 v2, v7, 1
	v_add_f32_e32 v7, v3, v8
	v_sub_f32_e32 v3, v7, v3
	v_ldexp_f32 v6, v6, 1
	v_sub_f32_e32 v3, v8, v3
	v_add_f32_e32 v8, v10, v12
	v_sub_f32_e32 v9, v8, v10
	v_add_f32_e32 v10, v6, v8
	v_sub_f32_e32 v9, v12, v9
	v_sub_f32_e32 v6, v10, v6
	v_sub_f32_e32 v6, v8, v6
	v_add_f32_e32 v2, v2, v9
	v_add_f32_e32 v2, v2, v6
	;; [unrolled: 1-line block ×3, first 2 shown]
	v_sub_f32_e32 v8, v6, v10
	v_sub_f32_e32 v2, v2, v8
	v_add_f32_e32 v8, v7, v6
	v_sub_f32_e32 v9, v8, v7
	v_sub_f32_e32 v10, v8, v9
	;; [unrolled: 1-line block ×4, first 2 shown]
	v_add_f32_e32 v6, v6, v7
	v_add_f32_e32 v7, v3, v2
	v_sub_f32_e32 v9, v7, v3
	v_sub_f32_e32 v10, v7, v9
	;; [unrolled: 1-line block ×4, first 2 shown]
	v_add_f32_e32 v2, v2, v3
	v_add_f32_e32 v3, v7, v6
	;; [unrolled: 1-line block ×3, first 2 shown]
	v_sub_f32_e32 v7, v6, v8
	v_sub_f32_e32 v3, v3, v7
	v_add_f32_e32 v2, v2, v3
	v_add_f32_e32 v3, v6, v2
	v_sub_f32_e32 v6, v3, v6
	v_sub_f32_e32 v2, v2, v6
	v_mul_f32_e32 v6, v4, v3
	v_fma_f32 v3, v4, v3, -v6
	v_fmac_f32_e32 v3, v4, v2
	v_add_f32_e32 v2, v6, v3
	v_cmp_class_f32_e64 vcc, v6, s10
	v_sub_f32_e32 v7, v2, v6
	v_cndmask_b32_e32 v2, v2, v6, vcc
	s_mov_b32 s7, 0x42b17218
	v_mov_b32_e32 v6, 0x37000000
	v_cmp_eq_f32_e32 vcc, s7, v2
	v_cndmask_b32_e32 v6, 0, v6, vcc
	v_sub_f32_e32 v3, v3, v7
	v_sub_f32_e32 v7, v2, v6
	s_mov_b32 s11, 0x3fb8aa3b
	v_mul_f32_e32 v8, 0x3fb8aa3b, v7
	v_fma_f32 v9, v7, s11, -v8
	v_rndne_f32_e32 v10, v8
	v_fmac_f32_e32 v9, 0x32a5705f, v7
	v_sub_f32_e32 v8, v8, v10
	v_add_f32_e32 v8, v8, v9
	v_exp_f32_e32 v8, v8
	v_cvt_i32_f32_e32 v9, v10
	s_mov_b32 s6, 0x7f800000
	v_cmp_neq_f32_e64 vcc, |v2|, s6
	s_mov_b32 s6, 0xc2ce8ed0
	v_cndmask_b32_e32 v2, 0, v3, vcc
	v_ldexp_f32 v3, v8, v9
	v_cmp_ngt_f32_e32 vcc, s6, v7
	v_add_f32_e32 v2, v6, v2
	v_cndmask_b32_e32 v3, 0, v3, vcc
	v_mov_b32_e32 v6, 0x7f800000
	v_cmp_nlt_f32_e32 vcc, s7, v7
	v_cndmask_b32_e32 v3, v6, v3, vcc
	v_fma_f32 v2, v3, v2, v3
	v_cmp_class_f32_e64 vcc, v3, s10
	v_cndmask_b32_e32 v2, v2, v3, vcc
	v_trunc_f32_e32 v3, v4
	v_cmp_eq_f32_e32 vcc, v3, v4
	v_mul_f32_e32 v3, 0.5, v4
	v_trunc_f32_e32 v8, v3
	v_cmp_neq_f32_e64 s[6:7], v8, v3
	s_and_b64 s[6:7], vcc, s[6:7]
	v_cndmask_b32_e64 v3, 1.0, v5, s[6:7]
	s_brev_b32 s35, -2
	v_mov_b32_e32 v7, 0x7fc00000
	v_bfi_b32 v2, s35, v2, v3
	v_cndmask_b32_e32 v3, v7, v2, vcc
	v_cmp_gt_f32_e32 vcc, 0, v5
	v_cndmask_b32_e32 v2, v2, v3, vcc
	v_cmp_class_f32_e64 s[38:39], v5, s10
	v_cmp_eq_f32_e32 vcc, 0, v5
	v_cmp_gt_f32_e64 s[10:11], 0, v4
	s_xor_b64 s[10:11], s[10:11], vcc
	v_cndmask_b32_e64 v3, v6, 0, s[10:11]
	v_cndmask_b32_e64 v4, 0, v5, s[6:7]
	v_bfi_b32 v3, s35, v3, v4
	s_or_b64 vcc, vcc, s[38:39]
	v_cndmask_b32_e32 v2, v2, v3, vcc
	v_cmp_o_f32_e32 vcc, v5, v5
	v_cndmask_b32_e32 v30, v7, v2, vcc
.LBB68_4:
	v_lshlrev_b32_e32 v3, 7, v1
	v_and_b32_e32 v3, 0x180, v3
	v_lshlrev_b32_e32 v22, 2, v0
	s_lshl_b32 s6, s8, 1
	v_lshrrev_b32_e32 v2, 2, v1
	v_add_u32_e32 v4, v3, v22
	s_movk_i32 s7, 0x80
	s_mul_hi_u32 s10, s18, s19
	v_cmp_gt_u32_e32 vcc, s7, v4
	v_and_b32_e32 v25, 3, v1
	v_lshlrev_b32_e32 v24, 3, v0
	v_add_u32_e32 v23, s6, v2
	s_and_saveexec_b64 s[6:7], vcc
	s_cbranch_execz .LBB68_6
; %bb.5:
	s_load_dwordx4 s[48:51], s[4:5], 0x70
	v_mul_hi_u32 v4, s28, v23
	v_lshlrev_b32_e32 v3, 2, v3
	v_add_u32_e32 v2, v2, v25
	v_lshl_add_u32 v7, v2, 8, v24
	v_add_u32_e32 v4, v23, v4
	s_waitcnt lgkmcnt(0)
	s_mul_i32 s11, s33, s50
	s_ashr_i32 s35, s11, 31
	v_lshrrev_b32_e32 v4, s29, v4
	s_mul_i32 s19, s34, s49
	s_add_u32 s11, s12, s11
	v_mul_lo_u32 v4, v4, s30
	s_addc_u32 s12, s13, s35
	s_ashr_i32 s13, s19, 31
	s_add_u32 s11, s11, s19
	s_addc_u32 s19, s12, s13
	s_ashr_i32 s49, s48, 31
	s_lshr_b64 s[12:13], s[48:49], 2
	v_sub_u32_e32 v6, v23, v4
	v_mad_u64_u32 v[4:5], s[12:13], s12, v6, 0
	s_lshr_b32 s12, s49, 2
	v_mad_u64_u32 v[5:6], s[12:13], s12, v6, v[5:6]
	v_mov_b32_e32 v6, s19
	v_lshlrev_b64 v[4:5], 2, v[4:5]
	v_add_co_u32_e32 v4, vcc, s11, v4
	v_addc_co_u32_e32 v5, vcc, v6, v5, vcc
	v_add_co_u32_e32 v3, vcc, v4, v3
	v_addc_co_u32_e32 v4, vcc, 0, v5, vcc
	v_lshlrev_b32_e32 v5, 2, v22
	v_add_co_u32_e32 v3, vcc, v3, v5
	v_addc_co_u32_e32 v4, vcc, 0, v4, vcc
	global_load_dwordx4 v[3:6], v[3:4], off
	s_waitcnt vmcnt(0)
	v_fma_mixlo_f16 v2, s36, v3, 0
	v_fma_mixlo_f16 v3, s36, v4, 0
	;; [unrolled: 1-line block ×4, first 2 shown]
	v_lshlrev_b32_e32 v3, 16, v3
	v_and_b32_e32 v2, 0xffff, v2
	v_lshlrev_b32_e32 v5, 16, v5
	v_and_b32_e32 v4, 0xffff, v4
	v_or_b32_e32 v2, v3, v2
	v_or3_b32 v3, v5, v4, 0
	v_or3_b32 v2, 0, 0, v2
	ds_write_b64 v7, v[2:3] offset:18944
.LBB68_6:
	s_or_b64 exec, exec, s[6:7]
	s_ashr_i32 s35, s34, 31
	s_ashr_i32 s6, s46, 31
	s_cmp_eq_u64 s[22:23], 0
	s_waitcnt lgkmcnt(0)
	s_barrier
	s_cbranch_scc1 .LBB68_8
; %bb.7:
	s_load_dword s7, s[4:5], 0xd0
	s_mov_b32 s13, 0
	s_waitcnt lgkmcnt(0)
	s_mul_i32 s7, s7, s33
	s_add_i32 s12, s7, s8
	s_lshl_b64 s[12:13], s[12:13], 2
	s_add_u32 s12, s22, s12
	s_addc_u32 s13, s23, s13
	s_load_dword s42, s[12:13], 0x0
.LBB68_8:
	s_nop 0
	s_load_dwordx2 s[12:13], s[4:5], 0x8c
	s_load_dwordx4 s[36:39], s[4:5], 0x98
	s_load_dwordx2 s[46:47], s[4:5], 0xa8
	s_ashr_i32 s7, s33, 31
	s_ashr_i32 s19, s45, 1
	s_waitcnt lgkmcnt(0)
	s_ashr_i32 s22, s12, 2
	s_mul_hi_u32 s11, s36, s33
	s_mul_i32 s12, s36, s7
	s_add_i32 s11, s11, s12
	s_mul_i32 s12, s37, s33
	s_ashr_i32 s8, s38, 2
	s_add_i32 s11, s11, s12
	s_mul_i32 s12, s36, s33
	s_add_u32 s12, s14, s12
	s_mul_i32 s14, s10, s43
	s_addc_u32 s11, s15, s11
	s_sub_i32 s14, s18, s14
	s_xor_b32 s6, s35, s6
	s_add_i32 s15, s10, 1
	s_sub_i32 s18, s14, s43
	s_cmp_ge_u32 s14, s43
	s_cselect_b32 s10, s15, s10
	s_cselect_b32 s14, s18, s14
	s_add_i32 s15, s10, 1
	s_cmp_ge_u32 s14, s43
	s_cselect_b32 s10, s15, s10
	s_xor_b32 s10, s10, s6
	s_sub_i32 s6, s10, s6
	s_mul_i32 s10, s6, s13
	s_ashr_i32 s13, s10, 31
	s_add_u32 s23, s12, s10
	s_mul_hi_u32 s10, s46, s33
	s_mul_i32 s7, s46, s7
	s_addc_u32 s36, s11, s13
	s_add_i32 s7, s10, s7
	s_mul_i32 s10, s47, s33
	s_add_i32 s7, s7, s10
	s_mul_i32 s10, s46, s33
	s_add_u32 s10, s16, s10
	s_mul_i32 s6, s6, s39
	s_addc_u32 s7, s17, s7
	s_ashr_i32 s11, s6, 31
	s_add_u32 s16, s10, s6
	s_addc_u32 s17, s7, s11
	s_lshl_b32 s18, s9, 7
	s_add_i32 s37, s42, 0xffffff80
	s_cmp_ge_i32 s18, s37
	v_lshlrev_b32_e32 v26, 2, v1
	v_lshrrev_b32_e32 v36, 3, v0
	v_and_b32_e32 v35, 28, v22
	v_lshlrev_b32_e32 v31, 5, v1
	v_lshlrev_b32_e32 v34, 6, v1
	v_and_b32_e32 v32, 3, v0
	v_lshrrev_b32_e32 v28, 4, v0
	v_and_b32_e32 v29, 60, v22
	v_mbcnt_lo_u32_b32 v33, -1, 0
	s_cbranch_scc1 .LBB68_16
; %bb.9:
	v_mul_hi_u32 v6, s28, v23
	v_add_u32_e32 v4, v36, v26
	v_mul_lo_u32 v3, s22, v4
	v_lshlrev_b32_e32 v5, 2, v35
	v_add_u32_e32 v6, v23, v6
	v_lshrrev_b32_e32 v6, s29, v6
	v_mul_lo_u32 v6, v6, s30
	s_movk_i32 s6, 0x90
	v_mad_u32_u24 v37, v4, s6, v5
	s_lshl_b32 s6, s22, 5
	v_add_u32_e32 v8, s6, v3
	v_and_b32_e32 v7, 0x60, v31
	v_add_u32_e32 v10, s6, v8
	v_add_u32_e32 v5, v7, v0
	v_sub_u32_e32 v6, v23, v6
	v_add_u32_e32 v12, s6, v10
	v_mul_u32_u24_e32 v41, 0x90, v5
	v_mad_u64_u32 v[5:6], s[6:7], v6, s19, v[5:6]
	s_movk_i32 s12, 0xfc
	v_and_or_b32 v6, v1, s12, v32
	v_mov_b32_e32 v15, 0x4c00
	v_and_b32_e32 v14, 0x3f00, v34
	v_lshl_or_b32 v44, v6, 2, v15
	v_lshl_add_u32 v15, v1, 1, v28
	v_add_u32_e32 v42, 0x4a00, v14
	v_add_u32_e32 v6, 0x4800, v14
	v_mul_lo_u32 v14, s8, v15
	s_cmp_lg_u64 s[40:41], 0
	s_cselect_b64 s[10:11], -1, 0
	s_lshl_b32 s12, s8, 4
	v_add_u32_e32 v16, s12, v14
	v_lshl_or_b32 v7, v7, 1, v6
	v_add_u32_e32 v18, s12, v16
	v_lshl_add_u32 v45, v0, 1, v7
	v_lshlrev_b32_e32 v7, 2, v29
	v_add_u32_e32 v20, s12, v18
	v_ashrrev_i32_e32 v4, 31, v3
	v_ashrrev_i32_e32 v9, 31, v8
	;; [unrolled: 1-line block ×4, first 2 shown]
	v_lshl_or_b32 v46, v15, 8, v7
	v_ashrrev_i32_e32 v15, 31, v14
	v_ashrrev_i32_e32 v17, 31, v16
	;; [unrolled: 1-line block ×4, first 2 shown]
	v_mov_b32_e32 v2, 0
	v_lshl_or_b32 v50, v25, 1, v6
	v_lshlrev_b32_e32 v27, 8, v25
	s_add_u32 s12, s4, 0xd0
	v_lshlrev_b64 v[6:7], 2, v[3:4]
	v_lshlrev_b64 v[8:9], 2, v[8:9]
	;; [unrolled: 1-line block ×4, first 2 shown]
	v_cndmask_b32_e64 v3, 0, 1, s[10:11]
	v_lshlrev_b64 v[14:15], 2, v[14:15]
	v_lshlrev_b64 v[16:17], 2, v[16:17]
	;; [unrolled: 1-line block ×4, first 2 shown]
	v_add_u32_e32 v38, 0x1200, v37
	v_add_u32_e32 v39, 0x2400, v37
	;; [unrolled: 1-line block ×3, first 2 shown]
	v_cmp_eq_u32_e64 s[6:7], 0, v0
	v_or_b32_e32 v43, 0x4c00, v26
	v_add_u32_e32 v47, 0x1000, v46
	v_add_u32_e32 v48, 0x2000, v46
	;; [unrolled: 1-line block ×3, first 2 shown]
	s_addc_u32 s13, s5, 0
	v_mov_b32_e32 v56, 0xfeffffff
	v_lshlrev_b32_e32 v51, 2, v35
	v_mbcnt_hi_u32_b32 v52, -1, v33
	s_mov_b32 s38, 0x3fb8aa3b
	s_mov_b32 s39, 0xc2ce8ed0
	;; [unrolled: 1-line block ×3, first 2 shown]
	v_lshlrev_b32_e32 v53, 2, v29
	v_add_u32_e32 v54, v24, v27
	v_cmp_ne_u32_e64 s[10:11], 1, v3
	v_mov_b32_e32 v55, 0x7f800000
	v_mov_b32_e32 v3, v2
	;; [unrolled: 1-line block ×3, first 2 shown]
.LBB68_10:                              ; =>This Inner Loop Header: Depth=1
	s_mul_hi_i32 s15, s18, s22
	s_mul_i32 s14, s18, s22
	s_lshl_b64 s[14:15], s[14:15], 2
	s_add_u32 s14, s23, s14
	s_addc_u32 s15, s36, s15
	v_mov_b32_e32 v4, s15
	v_add_co_u32_e32 v57, vcc, s14, v6
	v_addc_co_u32_e32 v4, vcc, v4, v7, vcc
	v_add_co_u32_e32 v73, vcc, v57, v51
	v_addc_co_u32_e32 v74, vcc, 0, v4, vcc
	v_mov_b32_e32 v4, s15
	v_add_co_u32_e32 v57, vcc, s14, v8
	v_addc_co_u32_e32 v4, vcc, v4, v9, vcc
	v_add_co_u32_e32 v75, vcc, v57, v51
	v_addc_co_u32_e32 v76, vcc, 0, v4, vcc
	;; [unrolled: 5-line block ×3, first 2 shown]
	v_mov_b32_e32 v4, s15
	v_add_co_u32_e32 v65, vcc, s14, v12
	v_addc_co_u32_e32 v4, vcc, v4, v13, vcc
	v_add_co_u32_e32 v79, vcc, v65, v51
	global_load_dwordx4 v[57:60], v[73:74], off
	global_load_dwordx4 v[61:64], v[75:76], off
	v_addc_co_u32_e32 v80, vcc, 0, v4, vcc
	global_load_dwordx4 v[65:68], v[77:78], off
	global_load_dwordx4 v[69:72], v[79:80], off
	v_mov_b32_e32 v4, 0
	s_and_b64 vcc, exec, s[10:11]
	s_waitcnt vmcnt(3)
	ds_write_b128 v37, v[57:60]
	s_waitcnt vmcnt(2)
	ds_write_b128 v38, v[61:64]
	;; [unrolled: 2-line block ×4, first 2 shown]
	s_waitcnt lgkmcnt(0)
	s_barrier
	ds_read_b128 v[57:60], v41
	ds_read_b128 v[61:64], v42
	s_waitcnt lgkmcnt(0)
	;;#ASMSTART
	v_dot2_f32_f16 v4, v57, v61, v4
	;;#ASMEND
	;;#ASMSTART
	v_dot2_f32_f16 v4, v58, v62, v4
	;;#ASMEND
	;;#ASMSTART
	v_dot2_f32_f16 v4, v59, v63, v4
	;;#ASMEND
	;;#ASMSTART
	v_dot2_f32_f16 v4, v60, v64, v4
	;;#ASMEND
	ds_read_b128 v[57:60], v41 offset:16
	ds_read_b128 v[61:64], v42 offset:16
	s_waitcnt lgkmcnt(0)
	;;#ASMSTART
	v_dot2_f32_f16 v4, v57, v61, v4
	;;#ASMEND
	;;#ASMSTART
	v_dot2_f32_f16 v4, v58, v62, v4
	;;#ASMEND
	;;#ASMSTART
	v_dot2_f32_f16 v4, v59, v63, v4
	;;#ASMEND
	;;#ASMSTART
	v_dot2_f32_f16 v4, v60, v64, v4
	;;#ASMEND
	ds_read_b128 v[57:60], v41 offset:32
	ds_read_b128 v[61:64], v42 offset:32
	;; [unrolled: 15-line block ×7, first 2 shown]
	s_waitcnt lgkmcnt(0)
	;;#ASMSTART
	v_dot2_f32_f16 v4, v57, v61, v4
	;;#ASMEND
	;;#ASMSTART
	v_dot2_f32_f16 v4, v58, v62, v4
	;;#ASMEND
	;; [unrolled: 3-line block ×4, first 2 shown]
	s_barrier
	global_load_dwordx4 v[57:60], v[73:74], off offset:128
	global_load_dwordx4 v[61:64], v[75:76], off offset:128
	;; [unrolled: 1-line block ×4, first 2 shown]
	s_waitcnt vmcnt(3)
	ds_write_b128 v37, v[57:60]
	s_waitcnt vmcnt(2)
	ds_write_b128 v38, v[61:64]
	;; [unrolled: 2-line block ×4, first 2 shown]
	s_waitcnt lgkmcnt(0)
	s_barrier
	ds_read_b128 v[57:60], v41
	ds_read_b128 v[61:64], v42 offset:128
	s_waitcnt lgkmcnt(0)
	;;#ASMSTART
	v_dot2_f32_f16 v4, v57, v61, v4
	;;#ASMEND
	;;#ASMSTART
	v_dot2_f32_f16 v4, v58, v62, v4
	;;#ASMEND
	;;#ASMSTART
	v_dot2_f32_f16 v4, v59, v63, v4
	;;#ASMEND
	;;#ASMSTART
	v_dot2_f32_f16 v4, v60, v64, v4
	;;#ASMEND
	ds_read_b128 v[57:60], v41 offset:16
	ds_read_b128 v[61:64], v42 offset:144
	s_waitcnt lgkmcnt(0)
	;;#ASMSTART
	v_dot2_f32_f16 v4, v57, v61, v4
	;;#ASMEND
	;;#ASMSTART
	v_dot2_f32_f16 v4, v58, v62, v4
	;;#ASMEND
	;;#ASMSTART
	v_dot2_f32_f16 v4, v59, v63, v4
	;;#ASMEND
	;;#ASMSTART
	v_dot2_f32_f16 v4, v60, v64, v4
	;;#ASMEND
	ds_read_b128 v[57:60], v41 offset:32
	;; [unrolled: 15-line block ×7, first 2 shown]
	ds_read_b128 v[61:64], v42 offset:240
	s_waitcnt lgkmcnt(0)
	;;#ASMSTART
	v_dot2_f32_f16 v4, v57, v61, v4
	;;#ASMEND
	;;#ASMSTART
	v_dot2_f32_f16 v4, v58, v62, v4
	;;#ASMEND
	;; [unrolled: 3-line block ×3, first 2 shown]
	v_mov_b32_e32 v57, 0
	;;#ASMSTART
	v_dot2_f32_f16 v4, v60, v64, v4
	;;#ASMEND
	s_cbranch_vccnz .LBB68_12
; %bb.11:                               ;   in Loop: Header=BB68_10 Depth=1
	v_add_u32_e32 v57, s18, v5
	v_ashrrev_i32_e32 v58, 31, v57
	v_lshlrev_b64 v[57:58], 1, v[57:58]
	v_mov_b32_e32 v59, s41
	v_add_co_u32_e32 v57, vcc, s40, v57
	v_addc_co_u32_e32 v58, vcc, v59, v58, vcc
	global_load_ushort v57, v[57:58], off
	s_waitcnt vmcnt(0)
	v_cvt_f32_f16_e32 v57, v57
	v_mul_f32_e32 v57, v30, v57
.LBB68_12:                              ;   in Loop: Header=BB68_10 Depth=1
	v_and_b32_e32 v58, 0x60, v52
	v_add_u32_e32 v59, 32, v58
	v_xor_b32_e32 v58, 16, v52
	v_cmp_lt_i32_e32 vcc, v58, v59
	v_add_f32_e32 v57, v4, v57
	v_cndmask_b32_e32 v58, v52, v58, vcc
	v_add_f32_e32 v4, 0x40051340, v57
	v_max_f32_e32 v60, v56, v56
	v_lshlrev_b32_e32 v58, 2, v58
	v_max_f32_e32 v4, v60, v4
	ds_bpermute_b32 v58, v58, v4
	v_xor_b32_e32 v60, 8, v52
	v_cmp_lt_i32_e32 vcc, v60, v59
	v_cndmask_b32_e32 v60, v52, v60, vcc
	v_lshlrev_b32_e32 v60, 2, v60
	s_waitcnt lgkmcnt(0)
	v_max_f32_e32 v58, v58, v58
	v_max_f32_e32 v4, v4, v58
	ds_bpermute_b32 v58, v60, v4
	v_xor_b32_e32 v60, 4, v52
	v_cmp_lt_i32_e32 vcc, v60, v59
	v_cndmask_b32_e32 v60, v52, v60, vcc
	v_lshlrev_b32_e32 v60, 2, v60
	s_waitcnt lgkmcnt(0)
	v_max_f32_e32 v58, v58, v58
	;; [unrolled: 8-line block ×4, first 2 shown]
	v_max_f32_e32 v59, v60, v59
	ds_bpermute_b32 v60, v62, v59
	s_and_saveexec_b64 s[14:15], s[6:7]
	s_cbranch_execz .LBB68_14
; %bb.13:                               ;   in Loop: Header=BB68_10 Depth=1
	s_waitcnt lgkmcnt(0)
	v_max_f32_e32 v60, v60, v60
	v_max_f32_e32 v59, v59, v59
	;; [unrolled: 1-line block ×3, first 2 shown]
	ds_write_b32 v43, v59
.LBB68_14:                              ;   in Loop: Header=BB68_10 Depth=1
	s_or_b64 exec, exec, s[14:15]
	s_waitcnt lgkmcnt(0)
	s_barrier
	ds_read_b32 v59, v44
	v_and_b32_e32 v60, 0x7c, v52
	v_add_u32_e32 v60, 4, v60
	v_cmp_lt_i32_e32 vcc, v4, v60
	v_cndmask_b32_e32 v4, v52, v4, vcc
	v_lshlrev_b32_e32 v4, 2, v4
	s_waitcnt lgkmcnt(0)
	ds_bpermute_b32 v4, v4, v59
	v_cmp_lt_i32_e32 vcc, v58, v60
	v_max_f32_e32 v59, v59, v59
	v_cndmask_b32_e32 v58, v52, v58, vcc
	v_lshlrev_b32_e32 v58, 2, v58
	s_waitcnt lgkmcnt(0)
	v_max_f32_e32 v4, v4, v4
	v_max_f32_e32 v4, v59, v4
	ds_bpermute_b32 v58, v58, v4
	s_mul_hi_i32 s15, s18, s8
	s_mul_i32 s14, s18, s8
	s_lshl_b64 s[14:15], s[14:15], 2
	s_add_u32 s14, s16, s14
	s_waitcnt lgkmcnt(0)
	v_max_f32_e32 v58, v58, v58
	v_max_f32_e32 v4, v4, v58
	v_sub_f32_e32 v57, v57, v4
	v_mul_f32_e32 v58, 0x3fb8aa3b, v57
	v_fma_f32 v59, v57, s38, -v58
	v_rndne_f32_e32 v60, v58
	v_fmac_f32_e32 v59, 0x32a5705f, v57
	v_sub_f32_e32 v58, v58, v60
	v_add_f32_e32 v58, v58, v59
	v_exp_f32_e32 v58, v58
	v_cvt_i32_f32_e32 v59, v60
	v_cmp_ngt_f32_e32 vcc, s39, v57
	v_sub_f32_e32 v56, v56, v4
	s_addc_u32 s15, s17, s15
	v_ldexp_f32 v58, v58, v59
	v_cndmask_b32_e32 v58, 0, v58, vcc
	v_cmp_nlt_f32_e32 vcc, s43, v57
	v_cndmask_b32_e32 v57, v55, v58, vcc
	v_mul_f32_e32 v58, 0x3fb8aa3b, v56
	v_fma_f32 v59, v56, s38, -v58
	v_rndne_f32_e32 v60, v58
	v_fmac_f32_e32 v59, 0x32a5705f, v56
	v_sub_f32_e32 v58, v58, v60
	v_add_f32_e32 v58, v58, v59
	v_exp_f32_e32 v58, v58
	v_cvt_i32_f32_e32 v59, v60
	v_cmp_ngt_f32_e32 vcc, s39, v56
	v_ldexp_f32 v58, v58, v59
	v_cndmask_b32_e32 v58, 0, v58, vcc
	v_cmp_nlt_f32_e32 vcc, s43, v56
	v_cndmask_b32_e32 v56, v55, v58, vcc
	v_fma_f32 v27, v27, v56, v57
	v_cvt_f16_f32_e32 v56, v56
	v_mul_u32_u24_e32 v60, 0x10001, v56
	v_cvt_f16_f32_e32 v56, v57
	v_mov_b32_e32 v57, s15
	ds_write_b16 v45, v56
	v_add_co_u32_e32 v56, vcc, s14, v14
	v_addc_co_u32_e32 v57, vcc, v57, v15, vcc
	v_add_co_u32_e32 v56, vcc, v56, v53
	v_addc_co_u32_e32 v57, vcc, 0, v57, vcc
	global_load_dwordx4 v[56:59], v[56:57], off
	s_waitcnt vmcnt(0)
	ds_write_b128 v46, v[56:59]
	v_add_co_u32_e32 v56, vcc, s14, v16
	v_mov_b32_e32 v57, s15
	v_addc_co_u32_e32 v57, vcc, v57, v17, vcc
	v_add_co_u32_e32 v56, vcc, v56, v53
	v_addc_co_u32_e32 v57, vcc, 0, v57, vcc
	global_load_dwordx4 v[56:59], v[56:57], off
	s_waitcnt vmcnt(0)
	ds_write_b128 v47, v[56:59]
	v_add_co_u32_e32 v56, vcc, s14, v18
	v_mov_b32_e32 v57, s15
	;; [unrolled: 8-line block ×3, first 2 shown]
	v_addc_co_u32_e32 v57, vcc, v57, v21, vcc
	v_add_co_u32_e32 v56, vcc, v56, v53
	v_addc_co_u32_e32 v57, vcc, 0, v57, vcc
	global_load_dwordx4 v[56:59], v[56:57], off
	s_or_b32 s14, s18, 64
	s_mul_hi_i32 s15, s14, s8
	s_mul_i32 s14, s14, s8
	s_lshl_b64 s[14:15], s[14:15], 2
	s_add_u32 s14, s16, s14
	s_addc_u32 s15, s17, s15
	s_waitcnt vmcnt(0)
	ds_write_b128 v49, v[56:59]
	s_waitcnt lgkmcnt(0)
	s_barrier
	ds_read2st64_b64 v[56:59], v54 offset1:2
	ds_read_u16 v61, v50
	ds_read_u16 v62, v50 offset:8
	ds_read_u16 v63, v50 offset:16
	;; [unrolled: 1-line block ×7, first 2 shown]
	s_waitcnt lgkmcnt(7)
	v_mul_u32_u24_e32 v61, 0x10001, v61
	v_pk_mul_f16 v56, v56, v61
	v_pk_fma_f16 v2, v2, v60, v56
	v_pk_mul_f16 v56, v57, v61
	v_pk_fma_f16 v3, v3, v60, v56
	s_waitcnt lgkmcnt(6)
	v_mul_u32_u24_e32 v56, 0x10001, v62
	v_pk_fma_f16 v2, v58, v56, v2
	v_pk_fma_f16 v3, v59, v56, v3
	ds_read2st64_b64 v[56:59], v54 offset0:4 offset1:6
	s_waitcnt lgkmcnt(6)
	v_mul_u32_u24_e32 v60, 0x10001, v63
	s_waitcnt lgkmcnt(0)
	v_pk_fma_f16 v2, v56, v60, v2
	v_pk_fma_f16 v3, v57, v60, v3
	v_mul_u32_u24_e32 v56, 0x10001, v64
	v_pk_fma_f16 v2, v58, v56, v2
	v_pk_fma_f16 v3, v59, v56, v3
	ds_read2st64_b64 v[56:59], v54 offset0:8 offset1:10
	v_mul_u32_u24_e32 v60, 0x10001, v65
	s_waitcnt lgkmcnt(0)
	v_pk_fma_f16 v2, v56, v60, v2
	v_pk_fma_f16 v3, v57, v60, v3
	v_mul_u32_u24_e32 v56, 0x10001, v66
	v_pk_fma_f16 v2, v58, v56, v2
	v_pk_fma_f16 v3, v59, v56, v3
	ds_read2st64_b64 v[56:59], v54 offset0:12 offset1:14
	;; [unrolled: 8-line block ×3, first 2 shown]
	ds_read_u16 v60, v50 offset:64
	s_waitcnt lgkmcnt(0)
	v_mul_u32_u24_e32 v60, 0x10001, v60
	v_pk_fma_f16 v2, v56, v60, v2
	ds_read_u16 v56, v50 offset:72
	v_pk_fma_f16 v3, v57, v60, v3
	s_waitcnt lgkmcnt(0)
	v_mul_u32_u24_e32 v56, 0x10001, v56
	v_pk_fma_f16 v2, v58, v56, v2
	v_pk_fma_f16 v3, v59, v56, v3
	ds_read2st64_b64 v[56:59], v54 offset0:20 offset1:22
	ds_read_u16 v60, v50 offset:80
	s_waitcnt lgkmcnt(0)
	v_mul_u32_u24_e32 v60, 0x10001, v60
	v_pk_fma_f16 v2, v56, v60, v2
	ds_read_u16 v56, v50 offset:88
	v_pk_fma_f16 v3, v57, v60, v3
	s_waitcnt lgkmcnt(0)
	v_mul_u32_u24_e32 v56, 0x10001, v56
	v_pk_fma_f16 v2, v58, v56, v2
	v_pk_fma_f16 v3, v59, v56, v3
	ds_read2st64_b64 v[56:59], v54 offset0:24 offset1:26
	;; [unrolled: 11-line block ×3, first 2 shown]
	ds_read_u16 v60, v50 offset:112
	s_waitcnt lgkmcnt(0)
	v_mul_u32_u24_e32 v60, 0x10001, v60
	v_pk_fma_f16 v2, v56, v60, v2
	ds_read_u16 v56, v50 offset:120
	v_pk_fma_f16 v3, v57, v60, v3
	s_waitcnt lgkmcnt(0)
	s_barrier
	v_mul_u32_u24_e32 v56, 0x10001, v56
	v_pk_fma_f16 v60, v58, v56, v2
	v_pk_fma_f16 v61, v59, v56, v3
	v_add_co_u32_e32 v2, vcc, s14, v14
	v_mov_b32_e32 v3, s15
	v_addc_co_u32_e32 v3, vcc, v3, v15, vcc
	v_add_co_u32_e32 v2, vcc, v2, v53
	v_addc_co_u32_e32 v3, vcc, 0, v3, vcc
	global_load_dwordx4 v[56:59], v[2:3], off
	v_add_co_u32_e32 v2, vcc, s14, v16
	v_mov_b32_e32 v3, s15
	v_addc_co_u32_e32 v3, vcc, v3, v17, vcc
	v_add_co_u32_e32 v2, vcc, v2, v53
	v_addc_co_u32_e32 v3, vcc, 0, v3, vcc
	s_waitcnt vmcnt(0)
	ds_write_b128 v46, v[56:59]
	global_load_dwordx4 v[56:59], v[2:3], off
	v_add_co_u32_e32 v2, vcc, s14, v18
	v_mov_b32_e32 v3, s15
	v_addc_co_u32_e32 v3, vcc, v3, v19, vcc
	v_add_co_u32_e32 v2, vcc, v2, v53
	v_addc_co_u32_e32 v3, vcc, 0, v3, vcc
	s_waitcnt vmcnt(0)
	ds_write_b128 v47, v[56:59]
	;; [unrolled: 8-line block ×3, first 2 shown]
	global_load_dwordx4 v[56:59], v[2:3], off
	s_waitcnt vmcnt(0)
	ds_write_b128 v49, v[56:59]
	s_waitcnt lgkmcnt(0)
	s_barrier
	ds_read2st64_b64 v[56:59], v54 offset1:2
	ds_read_u16 v2, v50 offset:128
	ds_read_u16 v3, v50 offset:136
	;; [unrolled: 1-line block ×8, first 2 shown]
	s_waitcnt lgkmcnt(7)
	v_mul_u32_u24_e32 v2, 0x10001, v2
	v_pk_fma_f16 v56, v56, v2, v60
	v_pk_fma_f16 v2, v57, v2, v61
	s_waitcnt lgkmcnt(6)
	v_mul_u32_u24_e32 v3, 0x10001, v3
	v_pk_fma_f16 v60, v58, v3, v56
	v_pk_fma_f16 v2, v59, v3, v2
	ds_read2st64_b64 v[56:59], v54 offset0:4 offset1:6
	s_waitcnt lgkmcnt(6)
	v_mul_u32_u24_e32 v3, 0x10001, v62
	s_waitcnt lgkmcnt(0)
	v_pk_fma_f16 v56, v56, v3, v60
	v_pk_fma_f16 v2, v57, v3, v2
	v_mul_u32_u24_e32 v3, 0x10001, v63
	v_pk_fma_f16 v60, v58, v3, v56
	v_pk_fma_f16 v2, v59, v3, v2
	ds_read2st64_b64 v[56:59], v54 offset0:8 offset1:10
	v_mul_u32_u24_e32 v3, 0x10001, v64
	s_waitcnt lgkmcnt(0)
	v_pk_fma_f16 v56, v56, v3, v60
	v_pk_fma_f16 v2, v57, v3, v2
	v_mul_u32_u24_e32 v3, 0x10001, v65
	v_pk_fma_f16 v60, v58, v3, v56
	v_pk_fma_f16 v2, v59, v3, v2
	ds_read2st64_b64 v[56:59], v54 offset0:12 offset1:14
	;; [unrolled: 8-line block ×3, first 2 shown]
	ds_read_u16 v3, v50 offset:192
	s_waitcnt lgkmcnt(0)
	v_mul_u32_u24_e32 v3, 0x10001, v3
	v_pk_fma_f16 v56, v56, v3, v60
	v_pk_fma_f16 v2, v57, v3, v2
	ds_read_u16 v3, v50 offset:200
	s_waitcnt lgkmcnt(0)
	v_mul_u32_u24_e32 v3, 0x10001, v3
	v_pk_fma_f16 v60, v58, v3, v56
	v_pk_fma_f16 v2, v59, v3, v2
	ds_read2st64_b64 v[56:59], v54 offset0:20 offset1:22
	ds_read_u16 v3, v50 offset:208
	s_waitcnt lgkmcnt(0)
	v_mul_u32_u24_e32 v3, 0x10001, v3
	v_pk_fma_f16 v56, v56, v3, v60
	v_pk_fma_f16 v2, v57, v3, v2
	ds_read_u16 v3, v50 offset:216
	s_waitcnt lgkmcnt(0)
	v_mul_u32_u24_e32 v3, 0x10001, v3
	v_pk_fma_f16 v60, v58, v3, v56
	v_pk_fma_f16 v2, v59, v3, v2
	ds_read2st64_b64 v[56:59], v54 offset0:24 offset1:26
	;; [unrolled: 11-line block ×3, first 2 shown]
	ds_read_u16 v3, v50 offset:240
	s_waitcnt lgkmcnt(0)
	v_mul_u32_u24_e32 v3, 0x10001, v3
	v_pk_fma_f16 v56, v56, v3, v60
	v_pk_fma_f16 v3, v57, v3, v2
	ds_read_u16 v2, v50 offset:248
	s_waitcnt lgkmcnt(0)
	s_barrier
	s_load_dword s14, s[12:13], 0x4
	v_mul_u32_u24_e32 v57, 0x10001, v2
	v_pk_fma_f16 v2, v58, v57, v56
	v_pk_fma_f16 v3, v59, v57, v3
	s_waitcnt lgkmcnt(0)
	s_lshl_b32 s14, s14, 7
	s_add_i32 s18, s14, s18
	s_cmp_lt_i32 s18, s37
	s_cbranch_scc0 .LBB68_17
; %bb.15:                               ;   in Loop: Header=BB68_10 Depth=1
	v_mov_b32_e32 v56, v4
	s_branch .LBB68_10
.LBB68_16:
	v_mov_b32_e32 v3, 0
	v_mov_b32_e32 v27, 0
	;; [unrolled: 1-line block ×4, first 2 shown]
.LBB68_17:
	s_cmp_gt_i32 s42, s18
	s_cbranch_scc1 .LBB68_19
; %bb.18:
	v_mbcnt_hi_u32_b32 v12, -1, v33
	v_and_b32_e32 v5, 0x60, v12
	v_add_u32_e32 v13, 32, v5
	v_xor_b32_e32 v14, 16, v12
	v_xor_b32_e32 v15, 8, v12
	;; [unrolled: 1-line block ×5, first 2 shown]
	s_cbranch_execz .LBB68_20
	s_branch .LBB68_27
.LBB68_19:
                                        ; implicit-def: $vgpr12
                                        ; implicit-def: $vgpr13
                                        ; implicit-def: $vgpr14
                                        ; implicit-def: $vgpr15
                                        ; implicit-def: $vgpr16
                                        ; implicit-def: $vgpr17
                                        ; implicit-def: $vgpr18
.LBB68_20:
	v_lshl_add_u32 v9, v1, 2, v36
	v_mul_lo_u32 v5, s22, v9
	s_mul_hi_i32 s11, s18, s22
	s_mul_i32 s10, s18, s22
	s_sub_i32 s37, s42, s18
	s_lshl_b64 s[10:11], s[10:11], 2
	v_ashrrev_i32_e32 v6, 31, v5
	s_add_u32 s14, s23, s10
	v_lshlrev_b64 v[6:7], 2, v[5:6]
	s_addc_u32 s15, s36, s11
	v_mov_b32_e32 v11, s15
	v_add_co_u32_e32 v6, vcc, s14, v6
	v_lshlrev_b32_e32 v10, 2, v35
	v_addc_co_u32_e32 v7, vcc, v11, v7, vcc
	v_add_co_u32_e32 v14, vcc, v6, v10
	s_mov_b64 s[6:7], src_private_base
	v_addc_co_u32_e32 v15, vcc, 0, v7, vcc
	v_mov_b32_e32 v8, 0
	v_mov_b32_e32 v12, s7
	v_cmp_gt_i32_e32 vcc, s37, v9
	v_mov_b32_e32 v13, 0
	buffer_store_dword v8, off, s[0:3], 0
	buffer_store_dword v8, off, s[0:3], 0 offset:4
	buffer_store_dword v8, off, s[0:3], 0 offset:8
	;; [unrolled: 1-line block ×3, first 2 shown]
	v_cndmask_b32_e32 v7, v12, v15, vcc
	v_cndmask_b32_e32 v6, v13, v14, vcc
	flat_load_dwordx4 v[16:19], v[6:7]
	s_lshl_b32 s22, s22, 5
	v_add_u32_e32 v5, s22, v5
	v_ashrrev_i32_e32 v6, 31, v5
	v_lshlrev_b64 v[6:7], 2, v[5:6]
	s_movk_i32 s6, 0x90
	v_mad_u32_u24 v11, v9, s6, v10
	v_mov_b32_e32 v21, s15
	v_add_co_u32_e64 v6, s[6:7], s14, v6
	v_addc_co_u32_e64 v7, s[6:7], v21, v7, s[6:7]
	v_add_co_u32_e64 v21, s[6:7], v6, v10
	v_add_u32_e32 v20, 32, v9
	v_addc_co_u32_e64 v38, s[6:7], 0, v7, s[6:7]
	v_cmp_gt_i32_e64 s[6:7], s37, v20
	buffer_store_dword v8, off, s[0:3], 0
	buffer_store_dword v8, off, s[0:3], 0 offset:4
	buffer_store_dword v8, off, s[0:3], 0 offset:8
	buffer_store_dword v8, off, s[0:3], 0 offset:12
	v_cndmask_b32_e64 v7, v12, v38, s[6:7]
	v_cndmask_b32_e64 v6, v13, v21, s[6:7]
	v_add_u32_e32 v5, s22, v5
	v_mov_b32_e32 v35, s15
	v_add_u32_e32 v20, 64, v9
	v_cmp_gt_i32_e64 s[12:13], s37, v20
	s_waitcnt vmcnt(0) lgkmcnt(0)
	ds_write_b128 v11, v[16:19]
	flat_load_dwordx4 v[16:19], v[6:7]
	v_ashrrev_i32_e32 v6, 31, v5
	v_lshlrev_b64 v[6:7], 2, v[5:6]
	buffer_store_dword v8, off, s[0:3], 0
	buffer_store_dword v8, off, s[0:3], 0 offset:4
	buffer_store_dword v8, off, s[0:3], 0 offset:8
	;; [unrolled: 1-line block ×3, first 2 shown]
	v_add_co_u32_e64 v6, s[10:11], s14, v6
	v_addc_co_u32_e64 v7, s[10:11], v35, v7, s[10:11]
	v_add_co_u32_e64 v39, s[10:11], v6, v10
	v_addc_co_u32_e64 v40, s[10:11], 0, v7, s[10:11]
	v_cndmask_b32_e64 v7, v12, v40, s[12:13]
	v_cndmask_b32_e64 v6, v13, v39, s[12:13]
	v_add_u32_e32 v5, s22, v5
	s_movk_i32 s22, 0x80
	s_waitcnt vmcnt(0) lgkmcnt(0)
	ds_write_b128 v11, v[16:19] offset:4608
	flat_load_dwordx4 v[16:19], v[6:7]
	v_ashrrev_i32_e32 v6, 31, v5
	v_lshlrev_b64 v[5:6], 2, v[5:6]
	v_add_u32_e32 v7, 0x60, v9
	v_mov_b32_e32 v9, s15
	v_add_co_u32_e64 v5, s[10:11], s14, v5
	v_addc_co_u32_e64 v6, s[10:11], v9, v6, s[10:11]
	v_add_co_u32_e64 v20, s[10:11], v5, v10
	v_addc_co_u32_e64 v41, s[10:11], 0, v6, s[10:11]
	v_cmp_gt_i32_e64 s[10:11], s37, v7
	v_cndmask_b32_e64 v6, v12, v41, s[10:11]
	v_cndmask_b32_e64 v5, v13, v20, s[10:11]
	buffer_store_dword v8, off, s[0:3], 0
	buffer_store_dword v8, off, s[0:3], 0 offset:4
	buffer_store_dword v8, off, s[0:3], 0 offset:8
	;; [unrolled: 1-line block ×3, first 2 shown]
	v_and_b32_e32 v9, 0x3f00, v34
	v_mov_b32_e32 v7, 0
	v_add_co_u32_e64 v14, s[14:15], s22, v14
	v_addc_co_u32_e64 v15, s[14:15], 0, v15, s[14:15]
	v_cndmask_b32_e32 v15, v12, v15, vcc
	v_cndmask_b32_e32 v14, v13, v14, vcc
	s_waitcnt vmcnt(0) lgkmcnt(0)
	ds_write_b128 v11, v[16:19] offset:9216
	flat_load_dwordx4 v[16:19], v[5:6]
	v_and_b32_e32 v5, 0x60, v31
	v_add_u32_e32 v6, v5, v0
	v_mul_u32_u24_e32 v10, 0x90, v6
	s_waitcnt vmcnt(0) lgkmcnt(0)
	ds_write_b128 v11, v[16:19] offset:13824
	s_waitcnt lgkmcnt(0)
	s_barrier
	ds_read_b128 v[16:19], v10
	ds_read_b128 v[34:37], v9 offset:18944
	s_waitcnt lgkmcnt(0)
	;;#ASMSTART
	v_dot2_f32_f16 v7, v16, v34, v7
	;;#ASMEND
	;;#ASMSTART
	v_dot2_f32_f16 v7, v17, v35, v7
	;;#ASMEND
	;;#ASMSTART
	v_dot2_f32_f16 v7, v18, v36, v7
	;;#ASMEND
	;;#ASMSTART
	v_dot2_f32_f16 v7, v19, v37, v7
	;;#ASMEND
	ds_read_b128 v[16:19], v10 offset:16
	ds_read_b128 v[34:37], v9 offset:18960
	s_waitcnt lgkmcnt(0)
	;;#ASMSTART
	v_dot2_f32_f16 v7, v16, v34, v7
	;;#ASMEND
	;;#ASMSTART
	v_dot2_f32_f16 v7, v17, v35, v7
	;;#ASMEND
	;;#ASMSTART
	v_dot2_f32_f16 v7, v18, v36, v7
	;;#ASMEND
	;;#ASMSTART
	v_dot2_f32_f16 v7, v19, v37, v7
	;;#ASMEND
	ds_read_b128 v[16:19], v10 offset:32
	;; [unrolled: 15-line block ×7, first 2 shown]
	ds_read_b128 v[34:37], v9 offset:19056
	s_waitcnt lgkmcnt(0)
	;;#ASMSTART
	v_dot2_f32_f16 v7, v16, v34, v7
	;;#ASMEND
	;;#ASMSTART
	v_dot2_f32_f16 v7, v17, v35, v7
	;;#ASMEND
	;; [unrolled: 3-line block ×4, first 2 shown]
	s_barrier
	buffer_store_dword v8, off, s[0:3], 0
	buffer_store_dword v8, off, s[0:3], 0 offset:4
	buffer_store_dword v8, off, s[0:3], 0 offset:8
	;; [unrolled: 1-line block ×3, first 2 shown]
	flat_load_dwordx4 v[14:17], v[14:15]
	v_add_co_u32_e32 v18, vcc, s22, v21
	v_addc_co_u32_e32 v19, vcc, 0, v38, vcc
	v_cndmask_b32_e64 v19, v12, v19, s[6:7]
	v_cndmask_b32_e64 v18, v13, v18, s[6:7]
	buffer_store_dword v8, off, s[0:3], 0
	buffer_store_dword v8, off, s[0:3], 0 offset:4
	buffer_store_dword v8, off, s[0:3], 0 offset:8
	;; [unrolled: 1-line block ×3, first 2 shown]
	s_waitcnt vmcnt(0) lgkmcnt(0)
	ds_write_b128 v11, v[14:17]
	flat_load_dwordx4 v[14:17], v[18:19]
	v_add_co_u32_e32 v18, vcc, s22, v39
	v_addc_co_u32_e32 v19, vcc, 0, v40, vcc
	v_cndmask_b32_e64 v19, v12, v19, s[12:13]
	v_cndmask_b32_e64 v18, v13, v18, s[12:13]
	buffer_store_dword v8, off, s[0:3], 0
	buffer_store_dword v8, off, s[0:3], 0 offset:4
	buffer_store_dword v8, off, s[0:3], 0 offset:8
	;; [unrolled: 1-line block ×3, first 2 shown]
	s_waitcnt vmcnt(0) lgkmcnt(0)
	ds_write_b128 v11, v[14:17] offset:4608
	flat_load_dwordx4 v[14:17], v[18:19]
	v_add_co_u32_e32 v18, vcc, s22, v20
	v_addc_co_u32_e32 v19, vcc, 0, v41, vcc
	v_cndmask_b32_e64 v19, v12, v19, s[10:11]
	v_cndmask_b32_e64 v18, v13, v18, s[10:11]
	buffer_store_dword v8, off, s[0:3], 0
	buffer_store_dword v8, off, s[0:3], 0 offset:4
	buffer_store_dword v8, off, s[0:3], 0 offset:8
	;; [unrolled: 1-line block ×3, first 2 shown]
	v_cmp_gt_i32_e32 vcc, s37, v6
	s_waitcnt vmcnt(0) lgkmcnt(0)
	ds_write_b128 v11, v[14:17] offset:9216
	flat_load_dwordx4 v[12:15], v[18:19]
	s_waitcnt vmcnt(0) lgkmcnt(0)
	ds_write_b128 v11, v[12:15] offset:13824
	s_waitcnt lgkmcnt(0)
	s_barrier
	ds_read_b128 v[11:14], v10
	ds_read_b128 v[15:18], v9 offset:19072
	s_waitcnt lgkmcnt(0)
	;;#ASMSTART
	v_dot2_f32_f16 v7, v11, v15, v7
	;;#ASMEND
	;;#ASMSTART
	v_dot2_f32_f16 v7, v12, v16, v7
	;;#ASMEND
	;;#ASMSTART
	v_dot2_f32_f16 v7, v13, v17, v7
	;;#ASMEND
	;;#ASMSTART
	v_dot2_f32_f16 v7, v14, v18, v7
	;;#ASMEND
	ds_read_b128 v[11:14], v10 offset:16
	ds_read_b128 v[15:18], v9 offset:19088
	s_waitcnt lgkmcnt(0)
	;;#ASMSTART
	v_dot2_f32_f16 v7, v11, v15, v7
	;;#ASMEND
	;;#ASMSTART
	v_dot2_f32_f16 v7, v12, v16, v7
	;;#ASMEND
	;;#ASMSTART
	v_dot2_f32_f16 v7, v13, v17, v7
	;;#ASMEND
	;;#ASMSTART
	v_dot2_f32_f16 v7, v14, v18, v7
	;;#ASMEND
	ds_read_b128 v[11:14], v10 offset:32
	ds_read_b128 v[15:18], v9 offset:19104
	s_waitcnt lgkmcnt(0)
	;;#ASMSTART
	v_dot2_f32_f16 v7, v11, v15, v7
	;;#ASMEND
	;;#ASMSTART
	v_dot2_f32_f16 v7, v12, v16, v7
	;;#ASMEND
	;;#ASMSTART
	v_dot2_f32_f16 v7, v13, v17, v7
	;;#ASMEND
	;;#ASMSTART
	v_dot2_f32_f16 v7, v14, v18, v7
	;;#ASMEND
	ds_read_b128 v[11:14], v10 offset:48
	ds_read_b128 v[15:18], v9 offset:19120
	s_waitcnt lgkmcnt(0)
	;;#ASMSTART
	v_dot2_f32_f16 v7, v11, v15, v7
	;;#ASMEND
	;;#ASMSTART
	v_dot2_f32_f16 v7, v12, v16, v7
	;;#ASMEND
	;;#ASMSTART
	v_dot2_f32_f16 v7, v13, v17, v7
	;;#ASMEND
	;;#ASMSTART
	v_dot2_f32_f16 v7, v14, v18, v7
	;;#ASMEND
	ds_read_b128 v[11:14], v10 offset:64
	ds_read_b128 v[15:18], v9 offset:19136
	s_waitcnt lgkmcnt(0)
	;;#ASMSTART
	v_dot2_f32_f16 v7, v11, v15, v7
	;;#ASMEND
	;;#ASMSTART
	v_dot2_f32_f16 v7, v12, v16, v7
	;;#ASMEND
	;;#ASMSTART
	v_dot2_f32_f16 v7, v13, v17, v7
	;;#ASMEND
	;;#ASMSTART
	v_dot2_f32_f16 v7, v14, v18, v7
	;;#ASMEND
	ds_read_b128 v[11:14], v10 offset:80
	ds_read_b128 v[15:18], v9 offset:19152
	s_waitcnt lgkmcnt(0)
	;;#ASMSTART
	v_dot2_f32_f16 v7, v11, v15, v7
	;;#ASMEND
	;;#ASMSTART
	v_dot2_f32_f16 v7, v12, v16, v7
	;;#ASMEND
	;;#ASMSTART
	v_dot2_f32_f16 v7, v13, v17, v7
	;;#ASMEND
	;;#ASMSTART
	v_dot2_f32_f16 v7, v14, v18, v7
	;;#ASMEND
	ds_read_b128 v[11:14], v10 offset:96
	ds_read_b128 v[15:18], v9 offset:19168
	s_waitcnt lgkmcnt(0)
	;;#ASMSTART
	v_dot2_f32_f16 v7, v11, v15, v7
	;;#ASMEND
	;;#ASMSTART
	v_dot2_f32_f16 v7, v12, v16, v7
	;;#ASMEND
	;;#ASMSTART
	v_dot2_f32_f16 v7, v13, v17, v7
	;;#ASMEND
	;;#ASMSTART
	v_dot2_f32_f16 v7, v14, v18, v7
	;;#ASMEND
	ds_read_b128 v[10:13], v10 offset:112
	ds_read_b128 v[14:17], v9 offset:19184
	s_waitcnt lgkmcnt(0)
	;;#ASMSTART
	v_dot2_f32_f16 v7, v10, v14, v7
	;;#ASMEND
	;;#ASMSTART
	v_dot2_f32_f16 v7, v11, v15, v7
	;;#ASMEND
	;; [unrolled: 3-line block ×3, first 2 shown]
	v_mov_b32_e32 v9, v4
	;;#ASMSTART
	v_dot2_f32_f16 v7, v13, v17, v7
	;;#ASMEND
	s_and_saveexec_b64 s[6:7], vcc
	s_cbranch_execz .LBB68_24
; %bb.21:
	s_cmp_eq_u64 s[40:41], 0
	s_cbranch_scc1 .LBB68_23
; %bb.22:
	v_mul_hi_u32 v8, s28, v23
	v_mov_b32_e32 v10, s41
	v_add_u32_e32 v8, v23, v8
	v_lshrrev_b32_e32 v8, s29, v8
	v_mul_lo_u32 v8, v8, s30
	v_sub_u32_e32 v8, v23, v8
	v_mul_lo_u32 v8, v8, s19
	v_add3_u32 v8, v8, v6, s18
	v_ashrrev_i32_e32 v9, 31, v8
	v_lshlrev_b64 v[8:9], 1, v[8:9]
	v_add_co_u32_e32 v8, vcc, s40, v8
	v_addc_co_u32_e32 v9, vcc, v10, v9, vcc
	global_load_ushort v8, v[8:9], off
	s_waitcnt vmcnt(0)
	v_cvt_f32_f16_e32 v8, v8
	v_mul_f32_e32 v8, v30, v8
.LBB68_23:
	v_add_f32_e32 v7, v7, v8
	v_add_f32_e32 v8, 0x40051340, v7
	v_max_f32_e32 v9, v4, v4
	v_max_f32_e32 v9, v9, v8
.LBB68_24:
	s_or_b64 exec, exec, s[6:7]
	v_mbcnt_hi_u32_b32 v12, -1, v33
	v_and_b32_e32 v8, 0x60, v12
	v_add_u32_e32 v13, 32, v8
	v_xor_b32_e32 v14, 16, v12
	v_cmp_lt_i32_e32 vcc, v14, v13
	v_cndmask_b32_e32 v8, v12, v14, vcc
	v_lshlrev_b32_e32 v8, 2, v8
	ds_bpermute_b32 v8, v8, v9
	v_xor_b32_e32 v15, 8, v12
	v_cmp_lt_i32_e32 vcc, v15, v13
	v_cndmask_b32_e32 v10, v12, v15, vcc
	v_max_f32_e32 v9, v9, v9
	s_waitcnt lgkmcnt(0)
	v_max_f32_e32 v8, v8, v8
	v_lshlrev_b32_e32 v10, 2, v10
	v_max_f32_e32 v8, v9, v8
	ds_bpermute_b32 v9, v10, v8
	v_xor_b32_e32 v16, 4, v12
	v_cmp_lt_i32_e32 vcc, v16, v13
	v_cndmask_b32_e32 v10, v12, v16, vcc
	v_lshlrev_b32_e32 v10, 2, v10
	s_waitcnt lgkmcnt(0)
	v_max_f32_e32 v9, v9, v9
	v_max_f32_e32 v8, v8, v9
	ds_bpermute_b32 v9, v10, v8
	v_xor_b32_e32 v17, 2, v12
	v_cmp_lt_i32_e32 vcc, v17, v13
	v_cndmask_b32_e32 v10, v12, v17, vcc
	v_lshlrev_b32_e32 v10, 2, v10
	s_waitcnt lgkmcnt(0)
	v_max_f32_e32 v9, v9, v9
	;; [unrolled: 8-line block ×3, first 2 shown]
	v_max_f32_e32 v8, v8, v9
	ds_bpermute_b32 v9, v10, v8
	v_cmp_eq_u32_e32 vcc, 0, v0
	s_and_saveexec_b64 s[6:7], vcc
	s_cbranch_execz .LBB68_26
; %bb.25:
	s_waitcnt lgkmcnt(0)
	v_max_f32_e32 v9, v9, v9
	v_max_f32_e32 v8, v8, v8
	;; [unrolled: 1-line block ×3, first 2 shown]
	ds_write_b32 v26, v8 offset:19488
.LBB68_26:
	s_or_b64 exec, exec, s[6:7]
	s_movk_i32 s6, 0xfc
	v_and_or_b32 v8, v1, s6, v32
	v_lshlrev_b32_e32 v8, 2, v8
	s_waitcnt lgkmcnt(0)
	s_barrier
	ds_read_b32 v8, v8 offset:19488
	v_and_b32_e32 v9, 0x7c, v12
	v_add_u32_e32 v9, 4, v9
	v_cmp_lt_i32_e32 vcc, v17, v9
	v_cndmask_b32_e32 v10, v12, v17, vcc
	v_lshlrev_b32_e32 v10, 2, v10
	s_waitcnt lgkmcnt(0)
	ds_bpermute_b32 v10, v10, v8
	v_cmp_lt_i32_e32 vcc, v18, v9
	v_max_f32_e32 v8, v8, v8
	v_cndmask_b32_e32 v9, v12, v18, vcc
	v_lshlrev_b32_e32 v9, 2, v9
	s_waitcnt lgkmcnt(0)
	v_max_f32_e32 v10, v10, v10
	v_max_f32_e32 v8, v8, v10
	ds_bpermute_b32 v9, v9, v8
	v_cmp_gt_u32_e32 vcc, s37, v6
	s_mov_b32 s10, 0x3fb8aa3b
	s_mov_b32 s11, 0xc2ce8ed0
	;; [unrolled: 1-line block ×3, first 2 shown]
	s_waitcnt lgkmcnt(0)
	v_max_f32_e32 v9, v9, v9
	v_max_f32_e32 v19, v8, v9
	v_sub_f32_e32 v6, v7, v19
	v_mul_f32_e32 v7, 0x3fb8aa3b, v6
	v_fma_f32 v8, v6, s10, -v7
	v_rndne_f32_e32 v9, v7
	v_fmac_f32_e32 v8, 0x32a5705f, v6
	v_sub_f32_e32 v7, v7, v9
	v_add_f32_e32 v7, v7, v8
	v_exp_f32_e32 v7, v7
	v_cvt_i32_f32_e32 v8, v9
	v_mov_b32_e32 v9, 0x4800
	v_sub_f32_e32 v4, v4, v19
	v_cmp_ngt_f32_e64 s[6:7], s11, v6
	v_ldexp_f32 v7, v7, v8
	v_and_b32_e32 v8, 0x1f80, v31
	v_lshl_add_u32 v10, v8, 1, v9
	v_mul_f32_e32 v8, 0x3fb8aa3b, v4
	v_fma_f32 v9, v4, s10, -v8
	v_rndne_f32_e32 v11, v8
	v_fmac_f32_e32 v9, 0x32a5705f, v4
	v_sub_f32_e32 v8, v8, v11
	v_add_f32_e32 v8, v8, v9
	v_exp_f32_e32 v8, v8
	v_cvt_i32_f32_e32 v9, v11
	v_cndmask_b32_e64 v7, 0, v7, s[6:7]
	v_cmp_nlt_f32_e64 s[6:7], s12, v6
	v_mov_b32_e32 v6, 0x7f800000
	v_cndmask_b32_e64 v7, v6, v7, s[6:7]
	v_cndmask_b32_e32 v7, 0, v7, vcc
	v_ldexp_f32 v8, v8, v9
	v_cmp_ngt_f32_e32 vcc, s11, v4
	v_cndmask_b32_e32 v8, 0, v8, vcc
	v_cmp_nlt_f32_e32 vcc, s12, v4
	v_cndmask_b32_e32 v4, v6, v8, vcc
	v_fma_f32 v27, v27, v4, v7
	v_cvt_f16_f32_e32 v4, v4
	v_lshl_or_b32 v5, v5, 1, v10
	v_lshl_add_u32 v5, v0, 1, v5
	v_lshl_add_u32 v39, v1, 1, v28
	v_mul_u32_u24_e32 v40, 0x10001, v4
	v_cvt_f16_f32_e32 v4, v7
	s_lshl_b32 s6, s8, 4
	s_mul_hi_i32 s7, s18, s8
	s_mov_b64 s[10:11], src_private_base
	ds_write_b16 v5, v4
	v_mul_lo_u32 v4, s8, v39
	v_lshl_or_b32 v20, v25, 1, v10
	v_lshlrev_b32_e32 v29, 2, v29
	v_mov_b32_e32 v35, 0
	v_add_u32_e32 v8, s6, v4
	v_add_u32_e32 v41, s6, v8
	;; [unrolled: 1-line block ×3, first 2 shown]
	s_mul_i32 s6, s18, s8
	v_ashrrev_i32_e32 v5, 31, v4
	s_lshl_b64 s[6:7], s[6:7], 2
	s_add_u32 s10, s16, s6
	v_lshlrev_b64 v[10:11], 2, v[4:5]
	s_addc_u32 s12, s17, s7
	v_add_co_u32_e64 v4, s[6:7], s10, v10
	v_mov_b32_e32 v5, s12
	v_addc_co_u32_e64 v5, s[6:7], v5, v11, s[6:7]
	v_add_co_u32_e64 v4, s[6:7], v4, v29
	v_cmp_gt_i32_e32 vcc, s37, v39
	v_addc_co_u32_e64 v5, s[6:7], 0, v5, s[6:7]
	v_mov_b32_e32 v34, s11
	v_mov_b32_e32 v36, 0
	buffer_store_dword v35, off, s[0:3], 0
	buffer_store_dword v35, off, s[0:3], 0 offset:4
	buffer_store_dword v35, off, s[0:3], 0 offset:8
	;; [unrolled: 1-line block ×3, first 2 shown]
	v_cndmask_b32_e32 v5, v34, v5, vcc
	v_cndmask_b32_e32 v4, v36, v4, vcc
	flat_load_dwordx4 v[4:7], v[4:5]
	v_lshl_or_b32 v37, v39, 8, v29
	v_ashrrev_i32_e32 v9, 31, v8
	v_add_u32_e32 v38, 16, v39
	v_cmp_gt_i32_e32 vcc, s37, v38
	v_lshl_or_b32 v32, v38, 8, v29
	v_ashrrev_i32_e32 v42, 31, v41
	v_add_u32_e32 v33, 32, v39
	v_ashrrev_i32_e32 v46, 31, v45
	v_lshl_or_b32 v31, v33, 8, v29
	v_add_u32_e32 v30, 48, v39
	v_lshl_or_b32 v21, v30, 8, v29
	s_waitcnt vmcnt(0) lgkmcnt(0)
	ds_write_b128 v37, v[4:7]
	v_lshlrev_b64 v[4:5], 2, v[8:9]
	v_mov_b32_e32 v7, s12
	v_add_co_u32_e64 v6, s[6:7], s10, v4
	v_addc_co_u32_e64 v7, s[6:7], v7, v5, s[6:7]
	v_add_co_u32_e64 v6, s[6:7], v6, v29
	v_addc_co_u32_e64 v7, s[6:7], 0, v7, s[6:7]
	buffer_store_dword v35, off, s[0:3], 0
	buffer_store_dword v35, off, s[0:3], 0 offset:4
	buffer_store_dword v35, off, s[0:3], 0 offset:8
	;; [unrolled: 1-line block ×3, first 2 shown]
	v_cndmask_b32_e32 v7, v34, v7, vcc
	v_cndmask_b32_e32 v6, v36, v6, vcc
	flat_load_dwordx4 v[6:9], v[6:7]
	v_cmp_gt_i32_e32 vcc, s37, v33
	s_waitcnt vmcnt(0) lgkmcnt(0)
	ds_write_b128 v32, v[6:9]
	v_lshlrev_b64 v[6:7], 2, v[41:42]
	v_mov_b32_e32 v9, s12
	v_add_co_u32_e64 v8, s[6:7], s10, v6
	v_addc_co_u32_e64 v9, s[6:7], v9, v7, s[6:7]
	v_add_co_u32_e64 v8, s[6:7], v8, v29
	v_addc_co_u32_e64 v9, s[6:7], 0, v9, s[6:7]
	buffer_store_dword v35, off, s[0:3], 0
	buffer_store_dword v35, off, s[0:3], 0 offset:4
	buffer_store_dword v35, off, s[0:3], 0 offset:8
	;; [unrolled: 1-line block ×3, first 2 shown]
	v_cndmask_b32_e32 v9, v34, v9, vcc
	v_cndmask_b32_e32 v8, v36, v8, vcc
	flat_load_dwordx4 v[41:44], v[8:9]
	v_lshlrev_b64 v[8:9], 2, v[45:46]
	v_cmp_gt_i32_e32 vcc, s37, v30
	v_add_co_u32_e64 v28, s[6:7], s10, v8
	s_waitcnt vmcnt(0) lgkmcnt(0)
	ds_write_b128 v31, v[41:44]
	v_mov_b32_e32 v41, s12
	v_addc_co_u32_e64 v41, s[6:7], v41, v9, s[6:7]
	v_add_co_u32_e64 v28, s[6:7], v28, v29
	v_addc_co_u32_e64 v41, s[6:7], 0, v41, s[6:7]
	buffer_store_dword v35, off, s[0:3], 0
	buffer_store_dword v35, off, s[0:3], 0 offset:4
	buffer_store_dword v35, off, s[0:3], 0 offset:8
	;; [unrolled: 1-line block ×3, first 2 shown]
	v_cndmask_b32_e32 v42, v34, v41, vcc
	v_cndmask_b32_e32 v41, v36, v28, vcc
	flat_load_dwordx4 v[41:44], v[41:42]
	v_lshl_add_u32 v28, v25, 8, v24
	s_or_b32 s6, s18, 64
	s_mul_hi_i32 s7, s6, s8
	s_mul_i32 s6, s6, s8
	s_lshl_b64 s[6:7], s[6:7], 2
	s_add_u32 s8, s16, s6
	s_addc_u32 s10, s17, s7
	s_sub_i32 s11, s37, 64
	v_cmp_gt_i32_e32 vcc, s11, v39
	v_add_co_u32_e64 v10, s[6:7], s8, v10
	v_mov_b32_e32 v39, s10
	v_addc_co_u32_e64 v11, s[6:7], v39, v11, s[6:7]
	v_add_co_u32_e64 v10, s[6:7], v10, v29
	v_addc_co_u32_e64 v11, s[6:7], 0, v11, s[6:7]
	v_cndmask_b32_e32 v11, v34, v11, vcc
	v_cndmask_b32_e32 v10, v36, v10, vcc
	v_add_co_u32_e64 v4, s[6:7], s8, v4
	v_cmp_gt_i32_e32 vcc, s11, v38
	s_waitcnt vmcnt(0) lgkmcnt(0)
	ds_write_b128 v21, v[41:44]
	s_waitcnt lgkmcnt(0)
	s_barrier
	ds_read2st64_b64 v[41:44], v28 offset1:2
	ds_read_u16 v45, v20
	ds_read_u16 v46, v20 offset:8
	ds_read_u16 v47, v20 offset:16
	;; [unrolled: 1-line block ×7, first 2 shown]
	s_waitcnt lgkmcnt(7)
	v_mul_u32_u24_e32 v45, 0x10001, v45
	v_pk_mul_f16 v41, v41, v45
	v_pk_fma_f16 v2, v2, v40, v41
	v_pk_mul_f16 v41, v42, v45
	v_pk_fma_f16 v3, v3, v40, v41
	s_waitcnt lgkmcnt(6)
	v_mul_u32_u24_e32 v40, 0x10001, v46
	v_pk_fma_f16 v2, v43, v40, v2
	v_pk_fma_f16 v3, v44, v40, v3
	ds_read2st64_b64 v[40:43], v28 offset0:4 offset1:6
	s_waitcnt lgkmcnt(6)
	v_mul_u32_u24_e32 v44, 0x10001, v47
	s_waitcnt lgkmcnt(0)
	v_pk_fma_f16 v2, v40, v44, v2
	v_pk_fma_f16 v3, v41, v44, v3
	v_mul_u32_u24_e32 v40, 0x10001, v48
	v_pk_fma_f16 v2, v42, v40, v2
	v_pk_fma_f16 v3, v43, v40, v3
	ds_read2st64_b64 v[40:43], v28 offset0:8 offset1:10
	v_mul_u32_u24_e32 v44, 0x10001, v49
	s_waitcnt lgkmcnt(0)
	v_pk_fma_f16 v2, v40, v44, v2
	v_pk_fma_f16 v3, v41, v44, v3
	v_mul_u32_u24_e32 v40, 0x10001, v50
	v_pk_fma_f16 v2, v42, v40, v2
	v_pk_fma_f16 v3, v43, v40, v3
	ds_read2st64_b64 v[40:43], v28 offset0:12 offset1:14
	;; [unrolled: 8-line block ×3, first 2 shown]
	ds_read_u16 v44, v20 offset:64
	s_waitcnt lgkmcnt(0)
	v_mul_u32_u24_e32 v44, 0x10001, v44
	v_pk_fma_f16 v2, v40, v44, v2
	ds_read_u16 v40, v20 offset:72
	v_pk_fma_f16 v3, v41, v44, v3
	s_waitcnt lgkmcnt(0)
	v_mul_u32_u24_e32 v40, 0x10001, v40
	v_pk_fma_f16 v2, v42, v40, v2
	v_pk_fma_f16 v3, v43, v40, v3
	ds_read2st64_b64 v[40:43], v28 offset0:20 offset1:22
	ds_read_u16 v44, v20 offset:80
	s_waitcnt lgkmcnt(0)
	v_mul_u32_u24_e32 v44, 0x10001, v44
	v_pk_fma_f16 v2, v40, v44, v2
	ds_read_u16 v40, v20 offset:88
	v_pk_fma_f16 v3, v41, v44, v3
	s_waitcnt lgkmcnt(0)
	v_mul_u32_u24_e32 v40, 0x10001, v40
	v_pk_fma_f16 v2, v42, v40, v2
	v_pk_fma_f16 v3, v43, v40, v3
	ds_read2st64_b64 v[40:43], v28 offset0:24 offset1:26
	;; [unrolled: 11-line block ×3, first 2 shown]
	ds_read_u16 v44, v20 offset:112
	s_waitcnt lgkmcnt(0)
	v_mul_u32_u24_e32 v44, 0x10001, v44
	v_pk_fma_f16 v2, v40, v44, v2
	ds_read_u16 v40, v20 offset:120
	v_pk_fma_f16 v3, v41, v44, v3
	s_waitcnt lgkmcnt(0)
	s_barrier
	v_mul_u32_u24_e32 v40, 0x10001, v40
	buffer_store_dword v35, off, s[0:3], 0
	buffer_store_dword v35, off, s[0:3], 0 offset:4
	buffer_store_dword v35, off, s[0:3], 0 offset:8
	;; [unrolled: 1-line block ×3, first 2 shown]
	v_pk_fma_f16 v2, v42, v40, v2
	v_pk_fma_f16 v3, v43, v40, v3
	flat_load_dwordx4 v[39:42], v[10:11]
	v_mov_b32_e32 v10, s10
	v_addc_co_u32_e64 v5, s[6:7], v10, v5, s[6:7]
	v_add_co_u32_e64 v4, s[6:7], v4, v29
	v_addc_co_u32_e64 v5, s[6:7], 0, v5, s[6:7]
	v_cndmask_b32_e32 v5, v34, v5, vcc
	v_cndmask_b32_e32 v4, v36, v4, vcc
	v_cmp_gt_i32_e32 vcc, s11, v33
	s_waitcnt vmcnt(0) lgkmcnt(0)
	ds_write_b128 v37, v[39:42]
	buffer_store_dword v35, off, s[0:3], 0
	buffer_store_dword v35, off, s[0:3], 0 offset:4
	buffer_store_dword v35, off, s[0:3], 0 offset:8
	;; [unrolled: 1-line block ×3, first 2 shown]
	flat_load_dwordx4 v[37:40], v[4:5]
	v_add_co_u32_e64 v4, s[6:7], s8, v6
	v_mov_b32_e32 v5, s10
	v_addc_co_u32_e64 v5, s[6:7], v5, v7, s[6:7]
	v_add_co_u32_e64 v4, s[6:7], v4, v29
	v_addc_co_u32_e64 v5, s[6:7], 0, v5, s[6:7]
	v_cndmask_b32_e32 v5, v34, v5, vcc
	v_cndmask_b32_e32 v4, v36, v4, vcc
	v_cmp_gt_i32_e32 vcc, s11, v30
	s_waitcnt vmcnt(0) lgkmcnt(0)
	ds_write_b128 v32, v[37:40]
	buffer_store_dword v35, off, s[0:3], 0
	buffer_store_dword v35, off, s[0:3], 0 offset:4
	buffer_store_dword v35, off, s[0:3], 0 offset:8
	;; [unrolled: 1-line block ×3, first 2 shown]
	flat_load_dwordx4 v[4:7], v[4:5]
	s_waitcnt vmcnt(0) lgkmcnt(0)
	ds_write_b128 v31, v[4:7]
	v_add_co_u32_e64 v4, s[6:7], s8, v8
	v_mov_b32_e32 v5, s10
	v_addc_co_u32_e64 v5, s[6:7], v5, v9, s[6:7]
	v_add_co_u32_e64 v4, s[6:7], v4, v29
	v_addc_co_u32_e64 v5, s[6:7], 0, v5, s[6:7]
	buffer_store_dword v35, off, s[0:3], 0
	buffer_store_dword v35, off, s[0:3], 0 offset:4
	buffer_store_dword v35, off, s[0:3], 0 offset:8
	;; [unrolled: 1-line block ×3, first 2 shown]
	v_cndmask_b32_e32 v5, v34, v5, vcc
	v_cndmask_b32_e32 v4, v36, v4, vcc
	flat_load_dwordx4 v[4:7], v[4:5]
	s_waitcnt vmcnt(0) lgkmcnt(0)
	ds_write_b128 v21, v[4:7]
	s_waitcnt lgkmcnt(0)
	s_barrier
	ds_read2st64_b64 v[4:7], v28 offset1:2
	ds_read_u16 v8, v20 offset:128
	ds_read_u16 v9, v20 offset:136
	;; [unrolled: 1-line block ×8, first 2 shown]
	s_waitcnt lgkmcnt(7)
	v_mul_u32_u24_e32 v8, 0x10001, v8
	v_pk_fma_f16 v2, v4, v8, v2
	v_pk_fma_f16 v3, v5, v8, v3
	s_waitcnt lgkmcnt(6)
	v_mul_u32_u24_e32 v4, 0x10001, v9
	v_pk_fma_f16 v6, v6, v4, v2
	v_pk_fma_f16 v7, v7, v4, v3
	ds_read2st64_b64 v[2:5], v28 offset0:4 offset1:6
	s_waitcnt lgkmcnt(6)
	v_mul_u32_u24_e32 v8, 0x10001, v10
	s_waitcnt lgkmcnt(0)
	v_pk_fma_f16 v2, v2, v8, v6
	v_pk_fma_f16 v3, v3, v8, v7
	v_mul_u32_u24_e32 v6, 0x10001, v11
	v_pk_fma_f16 v7, v4, v6, v2
	v_pk_fma_f16 v6, v5, v6, v3
	ds_read2st64_b64 v[2:5], v28 offset0:8 offset1:10
	v_mul_u32_u24_e32 v8, 0x10001, v21
	s_waitcnt lgkmcnt(0)
	v_pk_fma_f16 v2, v2, v8, v7
	v_pk_fma_f16 v3, v3, v8, v6
	v_mul_u32_u24_e32 v6, 0x10001, v29
	v_pk_fma_f16 v7, v4, v6, v2
	v_pk_fma_f16 v6, v5, v6, v3
	ds_read2st64_b64 v[2:5], v28 offset0:12 offset1:14
	;; [unrolled: 8-line block ×3, first 2 shown]
	ds_read_u16 v8, v20 offset:192
	s_waitcnt lgkmcnt(0)
	v_mul_u32_u24_e32 v8, 0x10001, v8
	v_pk_fma_f16 v3, v3, v8, v6
	ds_read_u16 v6, v20 offset:200
	v_pk_fma_f16 v2, v2, v8, v7
	s_waitcnt lgkmcnt(0)
	v_mul_u32_u24_e32 v6, 0x10001, v6
	v_pk_fma_f16 v7, v4, v6, v2
	v_pk_fma_f16 v6, v5, v6, v3
	ds_read2st64_b64 v[2:5], v28 offset0:20 offset1:22
	ds_read_u16 v8, v20 offset:208
	s_waitcnt lgkmcnt(0)
	v_mul_u32_u24_e32 v8, 0x10001, v8
	v_pk_fma_f16 v3, v3, v8, v6
	ds_read_u16 v6, v20 offset:216
	v_pk_fma_f16 v2, v2, v8, v7
	s_waitcnt lgkmcnt(0)
	v_mul_u32_u24_e32 v6, 0x10001, v6
	v_pk_fma_f16 v7, v4, v6, v2
	v_pk_fma_f16 v6, v5, v6, v3
	ds_read2st64_b64 v[2:5], v28 offset0:24 offset1:26
	;; [unrolled: 11-line block ×3, first 2 shown]
	ds_read_u16 v8, v20 offset:240
	s_waitcnt lgkmcnt(0)
	v_mul_u32_u24_e32 v8, 0x10001, v8
	v_pk_fma_f16 v3, v3, v8, v6
	ds_read_u16 v6, v20 offset:248
	v_pk_fma_f16 v2, v2, v8, v7
	s_waitcnt lgkmcnt(0)
	s_barrier
	v_mul_u32_u24_e32 v6, 0x10001, v6
	v_pk_fma_f16 v2, v4, v6, v2
	v_pk_fma_f16 v3, v5, v6, v3
	v_mov_b32_e32 v4, v19
.LBB68_27:
	v_cmp_lt_i32_e32 vcc, v14, v13
	v_cndmask_b32_e32 v5, v12, v14, vcc
	v_lshlrev_b32_e32 v5, 2, v5
	ds_bpermute_b32 v5, v5, v27
	v_cmp_lt_i32_e32 vcc, v15, v13
	v_cndmask_b32_e32 v6, v12, v15, vcc
	v_lshlrev_b32_e32 v6, 2, v6
	v_cmp_lt_i32_e32 vcc, v16, v13
	s_waitcnt lgkmcnt(0)
	v_add_f32_e32 v5, v27, v5
	ds_bpermute_b32 v6, v6, v5
	v_cndmask_b32_e32 v7, v12, v16, vcc
	v_lshlrev_b32_e32 v7, 2, v7
	v_cmp_lt_i32_e32 vcc, v17, v13
	v_cmp_ne_u32_e64 s[6:7], 0, v25
	s_waitcnt lgkmcnt(0)
	v_add_f32_e32 v5, v5, v6
	ds_bpermute_b32 v6, v7, v5
	v_cndmask_b32_e32 v7, v12, v17, vcc
	v_lshlrev_b32_e32 v7, 2, v7
	v_cmp_lt_i32_e32 vcc, v18, v13
	v_lshl_add_u32 v1, v1, 8, v24
	s_waitcnt lgkmcnt(0)
	v_add_f32_e32 v5, v5, v6
	ds_bpermute_b32 v6, v7, v5
	v_cndmask_b32_e32 v7, v12, v18, vcc
	v_lshlrev_b32_e32 v7, 2, v7
	v_cmp_eq_u32_e32 vcc, 0, v25
	s_waitcnt lgkmcnt(0)
	v_add_f32_e32 v5, v5, v6
	ds_bpermute_b32 v6, v7, v5
	s_waitcnt lgkmcnt(0)
	v_add_f32_e32 v5, v5, v6
	s_and_saveexec_b64 s[10:11], s[6:7]
	s_xor_b64 s[10:11], exec, s[10:11]
	s_cbranch_execnz .LBB68_31
; %bb.28:
	s_andn2_saveexec_b64 s[6:7], s[10:11]
	s_cbranch_execnz .LBB68_34
.LBB68_29:
	s_or_b64 exec, exec, s[6:7]
	s_and_saveexec_b64 s[6:7], vcc
	s_cbranch_execnz .LBB68_35
.LBB68_30:
	s_endpgm
.LBB68_31:
	v_cmp_eq_u32_e64 s[6:7], 0, v0
	ds_write_b64 v1, v[2:3]
	s_and_saveexec_b64 s[12:13], s[6:7]
; %bb.32:
	ds_write_b32 v26, v5 offset:18944
; %bb.33:
	s_or_b64 exec, exec, s[12:13]
                                        ; implicit-def: $vgpr1
                                        ; implicit-def: $vgpr26
	s_andn2_saveexec_b64 s[6:7], s[10:11]
	s_cbranch_execz .LBB68_29
.LBB68_34:
	s_waitcnt lgkmcnt(0)
	s_barrier
	ds_read2_b64 v[6:9], v1 offset0:32 offset1:64
	v_add_u32_e32 v10, 0x4a04, v26
	ds_read2_b32 v[10:11], v10 offset1:1
	s_waitcnt lgkmcnt(1)
	v_pk_add_f16 v6, v6, v2
	v_pk_add_f16 v7, v7, v3
	ds_read_b64 v[2:3], v1 offset:768
	ds_read_b32 v1, v26 offset:18956
	s_waitcnt lgkmcnt(2)
	v_add_f32_e32 v5, v5, v10
	v_pk_add_f16 v6, v8, v6
	v_pk_add_f16 v7, v9, v7
	v_add_f32_e32 v5, v5, v11
	s_waitcnt lgkmcnt(1)
	v_pk_add_f16 v2, v2, v6
	v_pk_add_f16 v3, v3, v7
	s_waitcnt lgkmcnt(0)
	v_add_f32_e32 v5, v5, v1
	s_or_b64 exec, exec, s[6:7]
	s_and_saveexec_b64 s[6:7], vcc
	s_cbranch_execz .LBB68_30
.LBB68_35:
	s_cmp_eq_u64 s[20:21], 0
	s_cselect_b64 s[6:7], -1, 0
	s_cmp_lg_u32 s9, 0
	s_cselect_b64 s[10:11], -1, 0
	s_or_b64 s[6:7], s[10:11], s[6:7]
	s_and_b64 vcc, exec, s[6:7]
	s_cbranch_vccnz .LBB68_37
; %bb.36:
	s_lshl_b64 s[6:7], s[34:35], 2
	s_add_u32 s6, s20, s6
	s_addc_u32 s7, s21, s7
	v_mov_b32_e32 v1, 0
	global_load_dword v1, v1, s[6:7]
	v_max_f32_e32 v6, v4, v4
	s_mov_b32 s6, 0x3fb8aa3b
	s_mov_b32 s7, 0xc2ce8ed0
	s_waitcnt vmcnt(0)
	v_max_f32_e32 v7, v1, v1
	v_max_f32_e32 v6, v6, v7
	v_sub_f32_e32 v4, v4, v6
	v_sub_f32_e32 v1, v1, v6
	v_mul_f32_e32 v7, 0x3fb8aa3b, v4
	v_mul_f32_e32 v8, 0x3fb8aa3b, v1
	v_fma_f32 v9, v4, s6, -v7
	v_rndne_f32_e32 v10, v7
	v_fma_f32 v11, v1, s6, -v8
	v_rndne_f32_e32 v12, v8
	v_fmac_f32_e32 v9, 0x32a5705f, v4
	v_sub_f32_e32 v7, v7, v10
	v_fmac_f32_e32 v11, 0x32a5705f, v1
	v_sub_f32_e32 v8, v8, v12
	v_add_f32_e32 v7, v7, v9
	v_cvt_i32_f32_e32 v10, v10
	v_add_f32_e32 v8, v8, v11
	v_exp_f32_e32 v7, v7
	v_cvt_i32_f32_e32 v12, v12
	v_exp_f32_e32 v8, v8
	v_cmp_ngt_f32_e32 vcc, s7, v4
	v_ldexp_f32 v7, v7, v10
	s_mov_b32 s6, 0x42b17218
	v_ldexp_f32 v8, v8, v12
	v_cndmask_b32_e32 v7, 0, v7, vcc
	v_cmp_ngt_f32_e32 vcc, s7, v1
	v_mov_b32_e32 v9, 0x7f800000
	v_cndmask_b32_e32 v8, 0, v8, vcc
	v_cmp_nlt_f32_e32 vcc, s6, v4
	v_cndmask_b32_e32 v4, v9, v7, vcc
	v_cvt_f16_f32_e32 v7, v4
	v_cmp_nlt_f32_e32 vcc, s6, v1
	v_cndmask_b32_e32 v1, v9, v8, vcc
	v_fmac_f32_e32 v1, v5, v4
	v_mov_b32_e32 v5, v1
	v_mul_u32_u24_e32 v1, 0x10001, v7
	v_pk_mul_f16 v2, v2, v1
	v_pk_mul_f16 v3, v3, v1
	v_mov_b32_e32 v4, v6
.LBB68_37:
	v_cmp_gt_i32_e32 vcc, s30, v23
	s_and_b64 exec, exec, vcc
	s_cbranch_execz .LBB68_30
; %bb.38:
	v_div_scale_f32 v1, s[6:7], v5, v5, 1.0
	v_div_scale_f32 v6, vcc, 1.0, v5, 1.0
	s_mul_i32 s33, s33, s30
	v_add_u32_e32 v10, s33, v23
	s_load_dword s4, s[4:5], 0xd4
	v_mul_lo_u32 v10, v10, s31
	v_mov_b32_e32 v7, 0
	v_mov_b32_e32 v9, s25
	s_waitcnt lgkmcnt(0)
	s_cmp_lg_u32 s4, 1
	v_rcp_f32_e32 v8, v1
	v_fma_f32 v11, -v1, v8, 1.0
	v_fmac_f32_e32 v8, v11, v8
	v_mul_f32_e32 v11, v6, v8
	v_fma_f32 v12, -v1, v11, v6
	v_fmac_f32_e32 v11, v12, v8
	v_fma_f32 v1, -v1, v11, v6
	v_div_fmas_f32 v8, v1, v8, v11
	v_cmp_eq_u32_e32 vcc, 0, v0
	v_add_u32_e32 v0, s34, v10
	v_mul_lo_u32 v0, s4, v0
	v_cvt_f32_f16_e32 v11, v2
	v_cvt_f32_f16_sdwa v12, v2 dst_sel:DWORD dst_unused:UNUSED_PAD src0_sel:WORD_1
	v_cvt_f32_f16_e32 v10, v3
	v_add_u32_e32 v0, s9, v0
	v_lshl_add_u32 v6, v0, 7, v22
	v_lshlrev_b64 v[1:2], 2, v[6:7]
	v_cvt_f32_f16_sdwa v3, v3 dst_sel:DWORD dst_unused:UNUSED_PAD src0_sel:WORD_1
	v_add_co_u32_e64 v1, s[4:5], s24, v1
	v_addc_co_u32_e64 v2, s[4:5], v9, v2, s[4:5]
	s_cselect_b64 s[4:5], -1, 0
	v_div_fixup_f32 v6, v8, v5, 1.0
	v_cndmask_b32_e64 v9, v6, 1.0, s[4:5]
	s_and_b64 s[4:5], vcc, s[4:5]
	v_mul_f32_e32 v6, v9, v11
	v_mul_f32_e32 v7, v9, v12
	;; [unrolled: 1-line block ×4, first 2 shown]
	global_store_dwordx4 v[1:2], v[6:9], off
	s_and_b64 exec, exec, s[4:5]
	s_cbranch_execz .LBB68_30
; %bb.39:
	v_ashrrev_i32_e32 v1, 31, v0
	v_lshlrev_b64 v[0:1], 3, v[0:1]
	v_mov_b32_e32 v2, s27
	v_add_co_u32_e32 v0, vcc, s26, v0
	v_addc_co_u32_e32 v1, vcc, v2, v1, vcc
	global_store_dwordx2 v[0:1], v[4:5], off
	s_endpgm
	.section	.rodata,"a",@progbits
	.p2align	6, 0x0
	.amdhsa_kernel _ZL15flash_attn_tileILi128ELi128ELi2ELi1ELb0EEvPKcS1_S1_S1_S1_PKiPfP15HIP_vector_typeIfLj2EEffffjfiS5_IjLj3EEiiiiiiiiiiiliiliiiiil
		.amdhsa_group_segment_fixed_size 19520
		.amdhsa_private_segment_fixed_size 32
		.amdhsa_kernarg_size 464
		.amdhsa_user_sgpr_count 8
		.amdhsa_user_sgpr_private_segment_buffer 1
		.amdhsa_user_sgpr_dispatch_ptr 0
		.amdhsa_user_sgpr_queue_ptr 0
		.amdhsa_user_sgpr_kernarg_segment_ptr 1
		.amdhsa_user_sgpr_dispatch_id 0
		.amdhsa_user_sgpr_flat_scratch_init 1
		.amdhsa_user_sgpr_private_segment_size 0
		.amdhsa_uses_dynamic_stack 0
		.amdhsa_system_sgpr_private_segment_wavefront_offset 1
		.amdhsa_system_sgpr_workgroup_id_x 1
		.amdhsa_system_sgpr_workgroup_id_y 1
		.amdhsa_system_sgpr_workgroup_id_z 1
		.amdhsa_system_sgpr_workgroup_info 0
		.amdhsa_system_vgpr_workitem_id 1
		.amdhsa_next_free_vgpr 81
		.amdhsa_next_free_sgpr 96
		.amdhsa_reserve_vcc 1
		.amdhsa_reserve_flat_scratch 1
		.amdhsa_float_round_mode_32 0
		.amdhsa_float_round_mode_16_64 0
		.amdhsa_float_denorm_mode_32 3
		.amdhsa_float_denorm_mode_16_64 3
		.amdhsa_dx10_clamp 1
		.amdhsa_ieee_mode 1
		.amdhsa_fp16_overflow 0
		.amdhsa_exception_fp_ieee_invalid_op 0
		.amdhsa_exception_fp_denorm_src 0
		.amdhsa_exception_fp_ieee_div_zero 0
		.amdhsa_exception_fp_ieee_overflow 0
		.amdhsa_exception_fp_ieee_underflow 0
		.amdhsa_exception_fp_ieee_inexact 0
		.amdhsa_exception_int_div_zero 0
	.end_amdhsa_kernel
	.section	.text._ZL15flash_attn_tileILi128ELi128ELi2ELi1ELb0EEvPKcS1_S1_S1_S1_PKiPfP15HIP_vector_typeIfLj2EEffffjfiS5_IjLj3EEiiiiiiiiiiiliiliiiiil,"axG",@progbits,_ZL15flash_attn_tileILi128ELi128ELi2ELi1ELb0EEvPKcS1_S1_S1_S1_PKiPfP15HIP_vector_typeIfLj2EEffffjfiS5_IjLj3EEiiiiiiiiiiiliiliiiiil,comdat
.Lfunc_end68:
	.size	_ZL15flash_attn_tileILi128ELi128ELi2ELi1ELb0EEvPKcS1_S1_S1_S1_PKiPfP15HIP_vector_typeIfLj2EEffffjfiS5_IjLj3EEiiiiiiiiiiiliiliiiiil, .Lfunc_end68-_ZL15flash_attn_tileILi128ELi128ELi2ELi1ELb0EEvPKcS1_S1_S1_S1_PKiPfP15HIP_vector_typeIfLj2EEffffjfiS5_IjLj3EEiiiiiiiiiiiliiliiiiil
                                        ; -- End function
	.set _ZL15flash_attn_tileILi128ELi128ELi2ELi1ELb0EEvPKcS1_S1_S1_S1_PKiPfP15HIP_vector_typeIfLj2EEffffjfiS5_IjLj3EEiiiiiiiiiiiliiliiiiil.num_vgpr, 81
	.set _ZL15flash_attn_tileILi128ELi128ELi2ELi1ELb0EEvPKcS1_S1_S1_S1_PKiPfP15HIP_vector_typeIfLj2EEffffjfiS5_IjLj3EEiiiiiiiiiiiliiliiiiil.num_agpr, 0
	.set _ZL15flash_attn_tileILi128ELi128ELi2ELi1ELb0EEvPKcS1_S1_S1_S1_PKiPfP15HIP_vector_typeIfLj2EEffffjfiS5_IjLj3EEiiiiiiiiiiiliiliiiiil.numbered_sgpr, 52
	.set _ZL15flash_attn_tileILi128ELi128ELi2ELi1ELb0EEvPKcS1_S1_S1_S1_PKiPfP15HIP_vector_typeIfLj2EEffffjfiS5_IjLj3EEiiiiiiiiiiiliiliiiiil.num_named_barrier, 0
	.set _ZL15flash_attn_tileILi128ELi128ELi2ELi1ELb0EEvPKcS1_S1_S1_S1_PKiPfP15HIP_vector_typeIfLj2EEffffjfiS5_IjLj3EEiiiiiiiiiiiliiliiiiil.private_seg_size, 32
	.set _ZL15flash_attn_tileILi128ELi128ELi2ELi1ELb0EEvPKcS1_S1_S1_S1_PKiPfP15HIP_vector_typeIfLj2EEffffjfiS5_IjLj3EEiiiiiiiiiiiliiliiiiil.uses_vcc, 1
	.set _ZL15flash_attn_tileILi128ELi128ELi2ELi1ELb0EEvPKcS1_S1_S1_S1_PKiPfP15HIP_vector_typeIfLj2EEffffjfiS5_IjLj3EEiiiiiiiiiiiliiliiiiil.uses_flat_scratch, 1
	.set _ZL15flash_attn_tileILi128ELi128ELi2ELi1ELb0EEvPKcS1_S1_S1_S1_PKiPfP15HIP_vector_typeIfLj2EEffffjfiS5_IjLj3EEiiiiiiiiiiiliiliiiiil.has_dyn_sized_stack, 0
	.set _ZL15flash_attn_tileILi128ELi128ELi2ELi1ELb0EEvPKcS1_S1_S1_S1_PKiPfP15HIP_vector_typeIfLj2EEffffjfiS5_IjLj3EEiiiiiiiiiiiliiliiiiil.has_recursion, 0
	.set _ZL15flash_attn_tileILi128ELi128ELi2ELi1ELb0EEvPKcS1_S1_S1_S1_PKiPfP15HIP_vector_typeIfLj2EEffffjfiS5_IjLj3EEiiiiiiiiiiiliiliiiiil.has_indirect_call, 0
	.section	.AMDGPU.csdata,"",@progbits
; Kernel info:
; codeLenInByte = 11784
; TotalNumSgprs: 58
; NumVgprs: 81
; ScratchSize: 32
; MemoryBound: 0
; FloatMode: 240
; IeeeMode: 1
; LDSByteSize: 19520 bytes/workgroup (compile time only)
; SGPRBlocks: 12
; VGPRBlocks: 20
; NumSGPRsForWavesPerEU: 102
; NumVGPRsForWavesPerEU: 81
; Occupancy: 3
; WaveLimiterHint : 1
; COMPUTE_PGM_RSRC2:SCRATCH_EN: 1
; COMPUTE_PGM_RSRC2:USER_SGPR: 8
; COMPUTE_PGM_RSRC2:TRAP_HANDLER: 0
; COMPUTE_PGM_RSRC2:TGID_X_EN: 1
; COMPUTE_PGM_RSRC2:TGID_Y_EN: 1
; COMPUTE_PGM_RSRC2:TGID_Z_EN: 1
; COMPUTE_PGM_RSRC2:TIDIG_COMP_CNT: 1
	.section	.text._ZL33flash_attn_stream_k_fixup_uniformILi128ELi2ELi1EEvPfPK15HIP_vector_typeIfLj2EEiiiiiiS1_IjLj3EES5_S5_,"axG",@progbits,_ZL33flash_attn_stream_k_fixup_uniformILi128ELi2ELi1EEvPfPK15HIP_vector_typeIfLj2EEiiiiiiS1_IjLj3EES5_S5_,comdat
	.globl	_ZL33flash_attn_stream_k_fixup_uniformILi128ELi2ELi1EEvPfPK15HIP_vector_typeIfLj2EEiiiiiiS1_IjLj3EES5_S5_ ; -- Begin function _ZL33flash_attn_stream_k_fixup_uniformILi128ELi2ELi1EEvPfPK15HIP_vector_typeIfLj2EEiiiiiiS1_IjLj3EES5_S5_
	.p2align	8
	.type	_ZL33flash_attn_stream_k_fixup_uniformILi128ELi2ELi1EEvPfPK15HIP_vector_typeIfLj2EEiiiiiiS1_IjLj3EES5_S5_,@function
_ZL33flash_attn_stream_k_fixup_uniformILi128ELi2ELi1EEvPfPK15HIP_vector_typeIfLj2EEiiiiiiS1_IjLj3EES5_S5_: ; @_ZL33flash_attn_stream_k_fixup_uniformILi128ELi2ELi1EEvPfPK15HIP_vector_typeIfLj2EEiiiiiiS1_IjLj3EES5_S5_
; %bb.0:
	s_load_dwordx8 s[12:19], s[4:5], 0x1c
	s_load_dwordx2 s[10:11], s[4:5], 0x10
	s_load_dwordx4 s[0:3], s[4:5], 0x3c
	s_waitcnt lgkmcnt(0)
	s_mul_hi_u32 s9, s15, s6
	s_add_i32 s9, s6, s9
	s_lshr_b32 s9, s9, s16
	s_mul_i32 s15, s9, s17
	s_sub_i32 s15, s6, s15
	s_mul_hi_u32 s16, s15, s18
	s_add_i32 s16, s15, s16
	s_lshr_b32 s16, s16, s19
	s_mul_i32 s0, s16, s0
	s_sub_i32 s0, s15, s0
	;; [unrolled: 5-line block ×3, first 2 shown]
	s_lshl_b32 s0, s17, 1
	s_add_i32 s0, s0, s7
	s_cmp_lt_i32 s0, s10
	s_cselect_b64 s[0:1], -1, 0
	s_add_i32 s2, s15, s8
	s_cmp_lt_i32 s2, s13
	s_cselect_b64 s[2:3], -1, 0
	s_and_b64 s[0:1], s[0:1], s[2:3]
	s_andn2_b64 vcc, exec, s[0:1]
	s_cbranch_vccnz .LBB69_6
; %bb.1:
	s_load_dwordx4 s[0:3], s[4:5], 0x0
	s_mul_i32 s4, s9, s10
	s_add_i32 s4, s4, s7
	s_mul_i32 s4, s4, s11
	s_mul_i32 s16, s16, s13
	s_add_i32 s4, s4, s8
	s_add_i32 s4, s4, s16
	s_mul_i32 s5, s11, s17
	s_add_i32 s4, s4, s15
	s_lshl_b32 s5, s5, 8
	s_lshl_b32 s4, s4, 7
	s_add_i32 s5, s5, s4
	v_or_b32_e32 v1, s5, v0
	v_ashrrev_i32_e32 v2, 31, v1
	v_lshlrev_b64 v[1:2], 2, v[1:2]
	s_waitcnt lgkmcnt(0)
	v_mov_b32_e32 v3, s1
	v_add_co_u32_e32 v1, vcc, s0, v1
	v_addc_co_u32_e32 v2, vcc, v3, v2, vcc
	global_load_dword v8, v[1:2], off
	s_add_i32 s4, s7, s8
	s_mul_i32 s7, s14, s6
	s_add_i32 s5, s7, s14
	s_lshl_b32 s0, s5, 1
	s_add_i32 s0, s4, s0
	s_add_i32 s0, s0, -2
	s_ashr_i32 s1, s0, 31
	s_lshl_b64 s[0:1], s[0:1], 3
	s_add_u32 s0, s2, s0
	s_addc_u32 s1, s3, s1
	s_load_dword s10, s[0:1], 0x4
	s_add_i32 s8, s5, -2
	s_cmp_lt_i32 s8, s7
	s_cbranch_scc1 .LBB69_4
; %bb.2:
	s_lshl_b32 s8, s12, 3
	s_ashr_i32 s9, s8, 31
	s_lshl_b64 s[8:9], s[8:9], 2
	s_add_u32 s8, s2, s8
	s_addc_u32 s11, s3, s9
	s_add_i32 s6, s6, 1
	s_add_i32 s9, s5, -1
	s_mul_i32 s5, s14, s6
	s_load_dword s0, s[0:1], 0x0
	s_lshl_b32 s1, s4, 7
	s_lshl_b32 s6, s5, 8
	s_add_i32 s1, s1, s6
	v_or_b32_e32 v0, s1, v0
	s_lshl_b32 s1, s5, 1
	s_add_i32 s1, s4, s1
	s_lshl_b32 s4, s12, 1
	s_add_i32 s1, s1, s4
	v_add_u32_e32 v3, 0xfffffe00, v0
	s_add_i32 s4, s1, -4
	s_waitcnt lgkmcnt(0)
	v_mov_b32_e32 v7, s10
	v_mov_b32_e32 v6, s0
	;; [unrolled: 1-line block ×3, first 2 shown]
	s_mov_b32 s6, 0x3fb8aa3b
	s_mov_b32 s10, 0xc2ce8ed0
	;; [unrolled: 1-line block ×3, first 2 shown]
	v_mov_b32_e32 v5, 0x7f800000
	s_mov_b32 s12, 0xc1a00000
.LBB69_3:                               ; =>This Inner Loop Header: Depth=1
	v_ashrrev_i32_e32 v4, 31, v3
	v_lshlrev_b64 v[9:10], 2, v[3:4]
	s_ashr_i32 s5, s4, 31
	v_add_co_u32_e32 v9, vcc, s8, v9
	v_addc_co_u32_e32 v10, vcc, v0, v10, vcc
	global_load_dword v4, v[9:10], off
	s_lshl_b64 s[0:1], s[4:5], 3
	s_add_u32 s0, s2, s0
	s_addc_u32 s1, s3, s1
	s_load_dwordx2 s[14:15], s[0:1], 0x0
	s_waitcnt vmcnt(1)
	v_mov_b32_e32 v9, v8
	v_max_f32_e32 v8, v6, v6
	v_mov_b32_e32 v10, v7
	s_add_i32 s9, s9, -1
	s_waitcnt lgkmcnt(0)
	v_max_f32_e64 v7, s14, s14
	v_max_f32_e32 v7, v8, v7
	v_sub_f32_e32 v11, s14, v7
	v_sub_f32_e32 v8, v6, v7
	v_mul_f32_e32 v12, 0x3fb8aa3b, v11
	v_mov_b32_e32 v6, v7
	v_mul_f32_e32 v7, 0x3fb8aa3b, v8
	v_fma_f32 v15, v11, s6, -v12
	v_rndne_f32_e32 v16, v12
	v_fma_f32 v13, v8, s6, -v7
	v_rndne_f32_e32 v14, v7
	v_fmac_f32_e32 v15, 0x32a5705f, v11
	v_sub_f32_e32 v12, v12, v16
	v_fmac_f32_e32 v13, 0x32a5705f, v8
	v_sub_f32_e32 v7, v7, v14
	v_add_f32_e32 v12, v12, v15
	v_cvt_i32_f32_e32 v16, v16
	v_add_f32_e32 v7, v7, v13
	v_exp_f32_e32 v12, v12
	v_cvt_i32_f32_e32 v14, v14
	v_exp_f32_e32 v7, v7
	v_cmp_ngt_f32_e32 vcc, s10, v11
	v_ldexp_f32 v12, v12, v16
	v_cmp_ngt_f32_e64 s[0:1], s10, v8
	v_ldexp_f32 v7, v7, v14
	v_cndmask_b32_e32 v12, 0, v12, vcc
	v_cmp_nlt_f32_e32 vcc, s11, v11
	v_cndmask_b32_e64 v7, 0, v7, s[0:1]
	v_cmp_nlt_f32_e64 s[0:1], s11, v8
	v_cndmask_b32_e32 v12, v5, v12, vcc
	v_cmp_le_f32_e32 vcc, s12, v11
	v_cndmask_b32_e64 v7, v5, v7, s[0:1]
	v_cmp_le_f32_e64 s[0:1], s12, v8
	v_cndmask_b32_e32 v8, 0, v12, vcc
	s_add_i32 s4, s4, -2
	v_cndmask_b32_e64 v11, 0, v7, s[0:1]
	v_mul_f32_e32 v7, s15, v8
	v_add_u32_e32 v3, 0xffffff00, v3
	s_cmp_le_i32 s9, s7
	v_fmac_f32_e32 v7, v10, v11
	s_waitcnt vmcnt(0)
	v_mul_f32_e32 v8, v4, v8
	v_fmac_f32_e32 v8, v9, v11
	s_cbranch_scc0 .LBB69_3
	s_branch .LBB69_5
.LBB69_4:
	s_waitcnt lgkmcnt(0)
	v_mov_b32_e32 v7, s10
.LBB69_5:
	s_waitcnt vmcnt(0)
	v_div_scale_f32 v0, s[0:1], v7, v7, v8
	v_div_scale_f32 v3, vcc, v8, v7, v8
	v_rcp_f32_e32 v4, v0
	v_fma_f32 v5, -v0, v4, 1.0
	v_fmac_f32_e32 v4, v5, v4
	v_mul_f32_e32 v5, v3, v4
	v_fma_f32 v6, -v0, v5, v3
	v_fmac_f32_e32 v5, v6, v4
	v_fma_f32 v0, -v0, v5, v3
	v_div_fmas_f32 v0, v0, v4, v5
	v_div_fixup_f32 v0, v0, v7, v8
	global_store_dword v[1:2], v0, off
.LBB69_6:
	s_endpgm
	.section	.rodata,"a",@progbits
	.p2align	6, 0x0
	.amdhsa_kernel _ZL33flash_attn_stream_k_fixup_uniformILi128ELi2ELi1EEvPfPK15HIP_vector_typeIfLj2EEiiiiiiS1_IjLj3EES5_S5_
		.amdhsa_group_segment_fixed_size 0
		.amdhsa_private_segment_fixed_size 0
		.amdhsa_kernarg_size 76
		.amdhsa_user_sgpr_count 6
		.amdhsa_user_sgpr_private_segment_buffer 1
		.amdhsa_user_sgpr_dispatch_ptr 0
		.amdhsa_user_sgpr_queue_ptr 0
		.amdhsa_user_sgpr_kernarg_segment_ptr 1
		.amdhsa_user_sgpr_dispatch_id 0
		.amdhsa_user_sgpr_flat_scratch_init 0
		.amdhsa_user_sgpr_private_segment_size 0
		.amdhsa_uses_dynamic_stack 0
		.amdhsa_system_sgpr_private_segment_wavefront_offset 0
		.amdhsa_system_sgpr_workgroup_id_x 1
		.amdhsa_system_sgpr_workgroup_id_y 1
		.amdhsa_system_sgpr_workgroup_id_z 1
		.amdhsa_system_sgpr_workgroup_info 0
		.amdhsa_system_vgpr_workitem_id 0
		.amdhsa_next_free_vgpr 17
		.amdhsa_next_free_sgpr 20
		.amdhsa_reserve_vcc 1
		.amdhsa_reserve_flat_scratch 0
		.amdhsa_float_round_mode_32 0
		.amdhsa_float_round_mode_16_64 0
		.amdhsa_float_denorm_mode_32 3
		.amdhsa_float_denorm_mode_16_64 3
		.amdhsa_dx10_clamp 1
		.amdhsa_ieee_mode 1
		.amdhsa_fp16_overflow 0
		.amdhsa_exception_fp_ieee_invalid_op 0
		.amdhsa_exception_fp_denorm_src 0
		.amdhsa_exception_fp_ieee_div_zero 0
		.amdhsa_exception_fp_ieee_overflow 0
		.amdhsa_exception_fp_ieee_underflow 0
		.amdhsa_exception_fp_ieee_inexact 0
		.amdhsa_exception_int_div_zero 0
	.end_amdhsa_kernel
	.section	.text._ZL33flash_attn_stream_k_fixup_uniformILi128ELi2ELi1EEvPfPK15HIP_vector_typeIfLj2EEiiiiiiS1_IjLj3EES5_S5_,"axG",@progbits,_ZL33flash_attn_stream_k_fixup_uniformILi128ELi2ELi1EEvPfPK15HIP_vector_typeIfLj2EEiiiiiiS1_IjLj3EES5_S5_,comdat
.Lfunc_end69:
	.size	_ZL33flash_attn_stream_k_fixup_uniformILi128ELi2ELi1EEvPfPK15HIP_vector_typeIfLj2EEiiiiiiS1_IjLj3EES5_S5_, .Lfunc_end69-_ZL33flash_attn_stream_k_fixup_uniformILi128ELi2ELi1EEvPfPK15HIP_vector_typeIfLj2EEiiiiiiS1_IjLj3EES5_S5_
                                        ; -- End function
	.set _ZL33flash_attn_stream_k_fixup_uniformILi128ELi2ELi1EEvPfPK15HIP_vector_typeIfLj2EEiiiiiiS1_IjLj3EES5_S5_.num_vgpr, 17
	.set _ZL33flash_attn_stream_k_fixup_uniformILi128ELi2ELi1EEvPfPK15HIP_vector_typeIfLj2EEiiiiiiS1_IjLj3EES5_S5_.num_agpr, 0
	.set _ZL33flash_attn_stream_k_fixup_uniformILi128ELi2ELi1EEvPfPK15HIP_vector_typeIfLj2EEiiiiiiS1_IjLj3EES5_S5_.numbered_sgpr, 20
	.set _ZL33flash_attn_stream_k_fixup_uniformILi128ELi2ELi1EEvPfPK15HIP_vector_typeIfLj2EEiiiiiiS1_IjLj3EES5_S5_.num_named_barrier, 0
	.set _ZL33flash_attn_stream_k_fixup_uniformILi128ELi2ELi1EEvPfPK15HIP_vector_typeIfLj2EEiiiiiiS1_IjLj3EES5_S5_.private_seg_size, 0
	.set _ZL33flash_attn_stream_k_fixup_uniformILi128ELi2ELi1EEvPfPK15HIP_vector_typeIfLj2EEiiiiiiS1_IjLj3EES5_S5_.uses_vcc, 1
	.set _ZL33flash_attn_stream_k_fixup_uniformILi128ELi2ELi1EEvPfPK15HIP_vector_typeIfLj2EEiiiiiiS1_IjLj3EES5_S5_.uses_flat_scratch, 0
	.set _ZL33flash_attn_stream_k_fixup_uniformILi128ELi2ELi1EEvPfPK15HIP_vector_typeIfLj2EEiiiiiiS1_IjLj3EES5_S5_.has_dyn_sized_stack, 0
	.set _ZL33flash_attn_stream_k_fixup_uniformILi128ELi2ELi1EEvPfPK15HIP_vector_typeIfLj2EEiiiiiiS1_IjLj3EES5_S5_.has_recursion, 0
	.set _ZL33flash_attn_stream_k_fixup_uniformILi128ELi2ELi1EEvPfPK15HIP_vector_typeIfLj2EEiiiiiiS1_IjLj3EES5_S5_.has_indirect_call, 0
	.section	.AMDGPU.csdata,"",@progbits
; Kernel info:
; codeLenInByte = 836
; TotalNumSgprs: 24
; NumVgprs: 17
; ScratchSize: 0
; MemoryBound: 0
; FloatMode: 240
; IeeeMode: 1
; LDSByteSize: 0 bytes/workgroup (compile time only)
; SGPRBlocks: 2
; VGPRBlocks: 4
; NumSGPRsForWavesPerEU: 24
; NumVGPRsForWavesPerEU: 17
; Occupancy: 10
; WaveLimiterHint : 0
; COMPUTE_PGM_RSRC2:SCRATCH_EN: 0
; COMPUTE_PGM_RSRC2:USER_SGPR: 6
; COMPUTE_PGM_RSRC2:TRAP_HANDLER: 0
; COMPUTE_PGM_RSRC2:TGID_X_EN: 1
; COMPUTE_PGM_RSRC2:TGID_Y_EN: 1
; COMPUTE_PGM_RSRC2:TGID_Z_EN: 1
; COMPUTE_PGM_RSRC2:TIDIG_COMP_CNT: 0
	.section	.text._ZL33flash_attn_stream_k_fixup_generalILi128ELi2ELi1EEvPfPK15HIP_vector_typeIfLj2EEiiiiS1_IjLj3EES5_S5_S5_,"axG",@progbits,_ZL33flash_attn_stream_k_fixup_generalILi128ELi2ELi1EEvPfPK15HIP_vector_typeIfLj2EEiiiiS1_IjLj3EES5_S5_S5_,comdat
	.globl	_ZL33flash_attn_stream_k_fixup_generalILi128ELi2ELi1EEvPfPK15HIP_vector_typeIfLj2EEiiiiS1_IjLj3EES5_S5_S5_ ; -- Begin function _ZL33flash_attn_stream_k_fixup_generalILi128ELi2ELi1EEvPfPK15HIP_vector_typeIfLj2EEiiiiS1_IjLj3EES5_S5_S5_
	.p2align	8
	.type	_ZL33flash_attn_stream_k_fixup_generalILi128ELi2ELi1EEvPfPK15HIP_vector_typeIfLj2EEiiiiS1_IjLj3EES5_S5_S5_,@function
_ZL33flash_attn_stream_k_fixup_generalILi128ELi2ELi1EEvPfPK15HIP_vector_typeIfLj2EEiiiiS1_IjLj3EES5_S5_S5_: ; @_ZL33flash_attn_stream_k_fixup_generalILi128ELi2ELi1EEvPfPK15HIP_vector_typeIfLj2EEiiiiS1_IjLj3EES5_S5_S5_
; %bb.0:
	s_load_dwordx4 s[0:3], s[4:5], 0x10
	s_load_dword s22, s[4:5], 0x50
	s_mov_b32 s12, 0
	s_waitcnt lgkmcnt(0)
	s_mul_hi_i32 s13, s3, s6
	s_cmp_lg_u64 s[12:13], 0
	s_mul_i32 s9, s3, s6
	s_cbranch_scc0 .LBB70_20
; %bb.1:
	s_add_u32 s10, s22, 0
	s_addc_u32 s11, 0, 0
	s_xor_b64 s[10:11], s[10:11], 0
	v_cvt_f32_u32_e32 v1, s10
	v_cvt_f32_u32_e32 v2, s11
	s_sub_u32 s12, 0, s10
	s_subb_u32 s18, 0, s11
	v_madmk_f32 v1, v2, 0x4f800000, v1
	v_rcp_f32_e32 v1, v1
	v_mul_f32_e32 v1, 0x5f7ffffc, v1
	v_mul_f32_e32 v2, 0x2f800000, v1
	v_trunc_f32_e32 v2, v2
	v_madmk_f32 v1, v2, 0xcf800000, v1
	v_cvt_u32_f32_e32 v2, v2
	v_cvt_u32_f32_e32 v1, v1
	v_readfirstlane_b32 s19, v2
	v_readfirstlane_b32 s14, v1
	s_mul_i32 s15, s12, s19
	s_mul_hi_u32 s21, s12, s14
	s_mul_i32 s20, s18, s14
	s_add_i32 s15, s21, s15
	s_add_i32 s15, s15, s20
	s_mul_i32 s23, s12, s14
	s_mul_i32 s21, s14, s15
	s_mul_hi_u32 s24, s14, s23
	s_mul_hi_u32 s20, s14, s15
	s_add_u32 s21, s24, s21
	s_addc_u32 s20, 0, s20
	s_mul_hi_u32 s25, s19, s23
	s_mul_i32 s23, s19, s23
	s_add_u32 s21, s21, s23
	s_mul_hi_u32 s24, s19, s15
	s_addc_u32 s20, s20, s25
	s_addc_u32 s21, s24, 0
	s_mul_i32 s15, s19, s15
	s_add_u32 s15, s20, s15
	s_addc_u32 s20, 0, s21
	s_add_u32 s21, s14, s15
	s_cselect_b64 s[14:15], -1, 0
	s_cmp_lg_u64 s[14:15], 0
	s_addc_u32 s19, s19, s20
	s_mul_i32 s14, s12, s19
	s_mul_hi_u32 s15, s12, s21
	s_add_i32 s14, s15, s14
	s_mul_i32 s18, s18, s21
	s_add_i32 s14, s14, s18
	s_mul_i32 s12, s12, s21
	s_mul_hi_u32 s18, s19, s12
	s_mul_i32 s20, s19, s12
	s_mul_i32 s24, s21, s14
	s_mul_hi_u32 s12, s21, s12
	s_mul_hi_u32 s23, s21, s14
	s_add_u32 s12, s12, s24
	s_addc_u32 s23, 0, s23
	s_add_u32 s12, s12, s20
	s_mul_hi_u32 s15, s19, s14
	s_addc_u32 s12, s23, s18
	s_addc_u32 s15, s15, 0
	s_mul_i32 s14, s19, s14
	s_add_u32 s12, s12, s14
	s_addc_u32 s18, 0, s15
	s_add_u32 s20, s21, s12
	s_cselect_b64 s[14:15], -1, 0
	s_cmp_lg_u64 s[14:15], 0
	s_addc_u32 s18, s19, s18
	s_ashr_i32 s14, s13, 31
	s_add_u32 s12, s9, s14
	s_mov_b32 s15, s14
	s_addc_u32 s13, s13, s14
	s_xor_b64 s[12:13], s[12:13], s[14:15]
	s_mul_i32 s21, s12, s18
	s_mul_hi_u32 s23, s12, s20
	s_mul_hi_u32 s19, s12, s18
	s_add_u32 s21, s23, s21
	s_addc_u32 s19, 0, s19
	s_mul_hi_u32 s24, s13, s20
	s_mul_i32 s20, s13, s20
	s_add_u32 s20, s21, s20
	s_mul_hi_u32 s23, s13, s18
	s_addc_u32 s19, s19, s24
	s_addc_u32 s20, s23, 0
	s_mul_i32 s18, s13, s18
	s_add_u32 s23, s19, s18
	s_addc_u32 s24, 0, s20
	s_mul_i32 s18, s10, s24
	s_mul_hi_u32 s19, s10, s23
	s_add_i32 s18, s19, s18
	s_mul_i32 s19, s11, s23
	s_add_i32 s25, s18, s19
	s_sub_i32 s20, s13, s25
	s_mul_i32 s18, s10, s23
	s_sub_u32 s12, s12, s18
	s_cselect_b64 s[18:19], -1, 0
	s_cmp_lg_u64 s[18:19], 0
	s_subb_u32 s26, s20, s11
	s_sub_u32 s27, s12, s10
	s_cselect_b64 s[20:21], -1, 0
	s_cmp_lg_u64 s[20:21], 0
	s_subb_u32 s20, s26, 0
	s_cmp_ge_u32 s20, s11
	s_cselect_b32 s21, -1, 0
	s_cmp_ge_u32 s27, s10
	s_cselect_b32 s26, -1, 0
	s_cmp_eq_u32 s20, s11
	s_cselect_b32 s20, s26, s21
	s_add_u32 s21, s23, 1
	s_addc_u32 s26, s24, 0
	s_add_u32 s27, s23, 2
	s_addc_u32 s28, s24, 0
	s_cmp_lg_u32 s20, 0
	s_cselect_b32 s20, s27, s21
	s_cselect_b32 s21, s28, s26
	s_cmp_lg_u64 s[18:19], 0
	s_subb_u32 s13, s13, s25
	s_cmp_ge_u32 s13, s11
	s_cselect_b32 s18, -1, 0
	s_cmp_ge_u32 s12, s10
	s_cselect_b32 s10, -1, 0
	s_cmp_eq_u32 s13, s11
	s_cselect_b32 s10, s10, s18
	s_cmp_lg_u32 s10, 0
	s_cselect_b32 s11, s21, s24
	s_cselect_b32 s10, s20, s23
	s_xor_b64 s[12:13], s[14:15], 0
	s_xor_b64 s[10:11], s[10:11], s[12:13]
	s_sub_u32 s10, s10, s12
	s_load_dwordx4 s[12:15], s[4:5], 0x44
	s_cbranch_execnz .LBB70_3
.LBB70_2:
	v_cvt_f32_u32_e32 v1, s22
	s_sub_i32 s10, 0, s22
	v_rcp_iflag_f32_e32 v1, v1
	v_mul_f32_e32 v1, 0x4f7ffffe, v1
	v_cvt_u32_f32_e32 v1, v1
	v_readfirstlane_b32 s11, v1
	s_mul_i32 s10, s10, s11
	s_mul_hi_u32 s10, s11, s10
	s_add_i32 s11, s11, s10
	s_mul_hi_u32 s10, s9, s11
	s_waitcnt lgkmcnt(0)
	s_mul_i32 s15, s10, s22
	s_sub_i32 s9, s9, s15
	s_add_i32 s11, s10, 1
	s_sub_i32 s15, s9, s22
	s_cmp_ge_u32 s9, s22
	s_cselect_b32 s10, s11, s10
	s_cselect_b32 s9, s15, s9
	s_add_i32 s11, s10, 1
	s_cmp_ge_u32 s9, s22
	s_cselect_b32 s10, s11, s10
.LBB70_3:
	s_add_i32 s9, s6, 1
	s_mul_hi_i32 s21, s3, s9
	s_mov_b32 s20, 0
	s_cmp_lg_u64 s[20:21], 0
	s_mul_i32 s9, s3, s9
	s_cbranch_scc0 .LBB70_21
; %bb.4:
	s_add_u32 s16, s22, 0
	s_addc_u32 s17, 0, 0
	s_xor_b64 s[18:19], s[16:17], 0
	v_cvt_f32_u32_e32 v1, s18
	v_cvt_f32_u32_e32 v2, s19
	s_sub_u32 s11, 0, s18
	s_waitcnt lgkmcnt(0)
	s_subb_u32 s15, 0, s19
	v_madmk_f32 v1, v2, 0x4f800000, v1
	v_rcp_f32_e32 v1, v1
	v_mul_f32_e32 v1, 0x5f7ffffc, v1
	v_mul_f32_e32 v2, 0x2f800000, v1
	v_trunc_f32_e32 v2, v2
	v_madmk_f32 v1, v2, 0xcf800000, v1
	v_cvt_u32_f32_e32 v2, v2
	v_cvt_u32_f32_e32 v1, v1
	v_readfirstlane_b32 s20, v2
	v_readfirstlane_b32 s23, v1
	s_mul_i32 s24, s11, s20
	s_mul_hi_u32 s26, s11, s23
	s_mul_i32 s25, s15, s23
	s_add_i32 s24, s26, s24
	s_add_i32 s24, s24, s25
	s_mul_i32 s27, s11, s23
	s_mul_i32 s26, s23, s24
	s_mul_hi_u32 s28, s23, s27
	s_mul_hi_u32 s25, s23, s24
	s_add_u32 s26, s28, s26
	s_addc_u32 s25, 0, s25
	s_mul_hi_u32 s29, s20, s27
	s_mul_i32 s27, s20, s27
	s_add_u32 s26, s26, s27
	s_mul_hi_u32 s28, s20, s24
	s_addc_u32 s25, s25, s29
	s_addc_u32 s26, s28, 0
	s_mul_i32 s24, s20, s24
	s_add_u32 s24, s25, s24
	s_addc_u32 s26, 0, s26
	s_add_u32 s23, s23, s24
	s_cselect_b64 s[24:25], -1, 0
	s_cmp_lg_u64 s[24:25], 0
	s_addc_u32 s20, s20, s26
	s_mul_i32 s24, s11, s20
	s_mul_hi_u32 s25, s11, s23
	s_add_i32 s24, s25, s24
	s_mul_i32 s15, s15, s23
	s_add_i32 s24, s24, s15
	s_mul_i32 s11, s11, s23
	s_mul_hi_u32 s25, s20, s11
	s_mul_i32 s26, s20, s11
	s_mul_i32 s28, s23, s24
	s_mul_hi_u32 s11, s23, s11
	s_mul_hi_u32 s27, s23, s24
	s_add_u32 s11, s11, s28
	s_addc_u32 s27, 0, s27
	s_add_u32 s11, s11, s26
	s_mul_hi_u32 s15, s20, s24
	s_addc_u32 s11, s27, s25
	s_addc_u32 s15, s15, 0
	s_mul_i32 s24, s20, s24
	s_add_u32 s11, s11, s24
	s_addc_u32 s15, 0, s15
	s_add_u32 s11, s23, s11
	s_cselect_b64 s[24:25], -1, 0
	s_cmp_lg_u64 s[24:25], 0
	s_addc_u32 s15, s20, s15
	s_ashr_i32 s24, s21, 31
	s_add_u32 s20, s9, s24
	s_mov_b32 s25, s24
	s_addc_u32 s21, s21, s24
	s_xor_b64 s[20:21], s[20:21], s[24:25]
	s_mul_i32 s26, s20, s15
	s_mul_hi_u32 s27, s20, s11
	s_mul_hi_u32 s23, s20, s15
	s_add_u32 s26, s27, s26
	s_addc_u32 s23, 0, s23
	s_mul_hi_u32 s28, s21, s11
	s_mul_i32 s11, s21, s11
	s_add_u32 s11, s26, s11
	s_mul_hi_u32 s27, s21, s15
	s_addc_u32 s11, s23, s28
	s_addc_u32 s23, s27, 0
	s_mul_i32 s15, s21, s15
	s_add_u32 s11, s11, s15
	s_addc_u32 s15, 0, s23
	s_mul_i32 s23, s18, s15
	s_mul_hi_u32 s26, s18, s11
	s_add_i32 s23, s26, s23
	s_mul_i32 s26, s19, s11
	s_add_i32 s23, s23, s26
	s_sub_i32 s28, s21, s23
	s_mul_i32 s26, s18, s11
	s_sub_u32 s20, s20, s26
	s_cselect_b64 s[26:27], -1, 0
	s_cmp_lg_u64 s[26:27], 0
	s_subb_u32 s30, s28, s19
	s_sub_u32 s31, s20, s18
	s_cselect_b64 s[28:29], -1, 0
	s_cmp_lg_u64 s[28:29], 0
	s_subb_u32 s28, s30, 0
	s_cmp_ge_u32 s28, s19
	s_cselect_b32 s29, -1, 0
	s_cmp_ge_u32 s31, s18
	s_cselect_b32 s30, -1, 0
	s_cmp_eq_u32 s28, s19
	s_cselect_b32 s28, s30, s29
	s_add_u32 s29, s11, 1
	s_addc_u32 s30, s15, 0
	s_add_u32 s31, s11, 2
	s_addc_u32 s33, s15, 0
	s_cmp_lg_u32 s28, 0
	s_cselect_b32 s28, s31, s29
	s_cselect_b32 s29, s33, s30
	s_cmp_lg_u64 s[26:27], 0
	s_subb_u32 s21, s21, s23
	s_cmp_ge_u32 s21, s19
	s_cselect_b32 s23, -1, 0
	s_cmp_ge_u32 s20, s18
	s_cselect_b32 s18, -1, 0
	s_cmp_eq_u32 s21, s19
	s_cselect_b32 s18, s18, s23
	s_cmp_lg_u32 s18, 0
	s_cselect_b32 s19, s29, s15
	s_cselect_b32 s18, s28, s11
	s_xor_b64 s[20:21], s[24:25], 0
	s_xor_b64 s[18:19], s[18:19], s[20:21]
	s_sub_u32 s18, s18, s20
	s_cbranch_execnz .LBB70_6
.LBB70_5:
	v_cvt_f32_u32_e32 v1, s22
	s_sub_i32 s11, 0, s22
	v_rcp_iflag_f32_e32 v1, v1
	v_mul_f32_e32 v1, 0x4f7ffffe, v1
	v_cvt_u32_f32_e32 v1, v1
	s_waitcnt lgkmcnt(0)
	v_readfirstlane_b32 s15, v1
	s_mul_i32 s11, s11, s15
	s_mul_hi_u32 s11, s15, s11
	s_add_i32 s15, s15, s11
	s_mul_hi_u32 s11, s9, s15
	s_mul_i32 s16, s11, s22
	s_sub_i32 s9, s9, s16
	s_add_i32 s15, s11, 1
	s_sub_i32 s16, s9, s22
	s_cmp_ge_u32 s9, s22
	s_cselect_b32 s11, s15, s11
	s_cselect_b32 s9, s16, s9
	s_add_i32 s15, s11, 1
	s_cmp_ge_u32 s9, s22
	s_cselect_b32 s18, s15, s11
.LBB70_6:
	s_cmp_eq_u32 s10, s18
	s_waitcnt lgkmcnt(0)
	s_mul_hi_u32 s9, s10, s12
	s_cselect_b64 s[16:17], -1, 0
	s_add_i32 s9, s9, s10
	s_lshr_b32 s11, s9, s13
	s_mul_i32 s9, s11, s14
	s_cmp_eq_u32 s9, s10
	s_mul_hi_u32 s9, s18, s12
	s_cselect_b64 s[20:21], -1, 0
	s_add_i32 s9, s9, s18
	s_lshr_b32 s9, s9, s13
	s_cmp_eq_u32 s11, s9
	s_mul_i32 s9, s9, s14
	s_cselect_b64 s[24:25], -1, 0
	s_cmp_lg_u32 s9, s18
	s_cselect_b64 s[18:19], -1, 0
	s_and_b64 s[18:19], s[24:25], s[18:19]
	s_or_b64 s[16:17], s[16:17], s[20:21]
	s_or_b64 s[16:17], s[16:17], s[18:19]
	s_and_b64 vcc, exec, s[16:17]
	s_cbranch_vccnz .LBB70_23
; %bb.7:
	s_load_dwordx8 s[24:31], s[4:5], 0x20
	s_load_dword s15, s[4:5], 0x40
	s_waitcnt lgkmcnt(0)
	s_mul_hi_u32 s9, s10, s24
	s_add_i32 s9, s9, s10
	s_lshr_b32 s9, s9, s25
	s_mul_i32 s16, s9, s26
	s_sub_i32 s16, s10, s16
	s_mul_hi_u32 s17, s16, s27
	s_add_i32 s17, s16, s17
	s_lshr_b32 s24, s17, s28
	s_mul_i32 s17, s24, s29
	s_sub_i32 s16, s16, s17
	;; [unrolled: 5-line block ×3, first 2 shown]
	s_mul_hi_u32 s16, s15, s12
	s_add_i32 s15, s15, s16
	s_lshr_b32 s25, s15, s13
	s_lshl_b32 s15, s25, 1
	s_add_i32 s15, s15, s7
	s_cmp_lt_i32 s15, s0
	s_cselect_b64 s[16:17], -1, 0
	s_add_i32 s15, s23, s8
	s_cmp_lt_i32 s15, s2
	s_cselect_b64 s[18:19], -1, 0
	s_and_b64 s[16:17], s[16:17], s[18:19]
	s_andn2_b64 vcc, exec, s[16:17]
	s_cbranch_vccnz .LBB70_23
; %bb.8:
	s_load_dwordx4 s[16:19], s[4:5], 0x0
	s_mov_b32 s4, 0
	s_lshl_b32 s20, s22, 3
	s_mov_b32 s21, s4
	s_add_i32 s15, s7, s8
	s_lshl_b64 s[20:21], s[20:21], 2
	s_waitcnt lgkmcnt(0)
	s_add_u32 s20, s18, s20
	s_mul_i32 s0, s9, s0
	s_addc_u32 s21, s19, s21
	s_add_i32 s0, s0, s7
	s_mul_i32 s0, s0, s1
	s_mul_i32 s24, s24, s2
	s_add_i32 s0, s0, s8
	s_add_i32 s0, s0, s24
	s_mul_i32 s2, s1, s25
	s_add_i32 s0, s0, s23
	s_lshl_b32 s2, s2, 8
	s_lshl_b32 s0, s0, 7
	s_add_i32 s2, s2, s0
	v_or_b32_e32 v1, s2, v0
	v_ashrrev_i32_e32 v2, 31, v1
	v_lshlrev_b64 v[1:2], 2, v[1:2]
	v_mov_b32_e32 v3, s17
	v_add_co_u32_e32 v1, vcc, s16, v1
	v_addc_co_u32_e32 v2, vcc, v3, v2, vcc
	global_load_dword v3, v[1:2], off
	v_cvt_f32_u32_e32 v4, s22
	s_lshl_b32 s0, s6, 1
	s_add_i32 s0, s0, s15
	s_ashr_i32 s1, s0, 31
	s_lshl_b64 s[0:1], s[0:1], 3
	v_rcp_iflag_f32_e32 v4, v4
	s_add_u32 s0, s18, s0
	s_addc_u32 s1, s19, s1
	s_load_dwordx2 s[0:1], s[0:1], 0x0
	v_mul_f32_e32 v4, 0x4f7ffffe, v4
	v_cvt_u32_f32_e32 v4, v4
	s_add_i32 s24, s6, -1
	v_lshl_or_b32 v0, s15, 7, v0
	s_waitcnt lgkmcnt(0)
	v_mov_b32_e32 v6, s1
	v_mov_b32_e32 v7, s0
	s_mov_b32 s2, 0x3fb8aa3b
	s_mov_b32 s16, 0xc2ce8ed0
	;; [unrolled: 1-line block ×4, first 2 shown]
	v_mov_b32_e32 v5, 0x7f800000
	s_mul_hi_i32 s5, s24, s3
	s_cmp_lg_u64 s[4:5], 0
	s_mul_i32 s8, s24, s3
	s_cbranch_scc0 .LBB70_19
.LBB70_9:
	s_add_u32 s0, s22, 0
	s_addc_u32 s1, 0, 0
	s_xor_b64 s[0:1], s[0:1], 0
	v_cvt_f32_u32_e32 v8, s0
	v_cvt_f32_u32_e32 v9, s1
	s_sub_u32 s9, 0, s0
	s_subb_u32 s25, 0, s1
	v_mac_f32_e32 v8, 0x4f800000, v9
	v_rcp_f32_e32 v8, v8
	v_mul_f32_e32 v8, 0x5f7ffffc, v8
	v_mul_f32_e32 v9, 0x2f800000, v8
	v_trunc_f32_e32 v9, v9
	v_mac_f32_e32 v8, 0xcf800000, v9
	v_cvt_u32_f32_e32 v9, v9
	v_cvt_u32_f32_e32 v8, v8
	v_readfirstlane_b32 s26, v9
	v_readfirstlane_b32 s6, v8
	s_mul_i32 s7, s9, s26
	s_mul_hi_u32 s28, s9, s6
	s_mul_i32 s27, s25, s6
	s_add_i32 s7, s28, s7
	s_mul_i32 s29, s9, s6
	s_add_i32 s7, s7, s27
	s_mul_i32 s28, s6, s7
	s_mul_hi_u32 s30, s6, s29
	s_mul_hi_u32 s27, s6, s7
	s_add_u32 s28, s30, s28
	s_addc_u32 s27, 0, s27
	s_mul_hi_u32 s31, s26, s29
	s_mul_i32 s29, s26, s29
	s_add_u32 s28, s28, s29
	s_mul_hi_u32 s30, s26, s7
	s_addc_u32 s27, s27, s31
	s_addc_u32 s28, s30, 0
	s_mul_i32 s7, s26, s7
	s_add_u32 s7, s27, s7
	s_addc_u32 s27, 0, s28
	s_add_u32 s28, s6, s7
	s_cselect_b64 s[6:7], -1, 0
	s_cmp_lg_u64 s[6:7], 0
	s_addc_u32 s26, s26, s27
	s_mul_i32 s6, s9, s26
	s_mul_hi_u32 s7, s9, s28
	s_add_i32 s6, s7, s6
	s_mul_i32 s25, s25, s28
	s_add_i32 s6, s6, s25
	s_mul_i32 s9, s9, s28
	s_mul_hi_u32 s25, s26, s9
	s_mul_i32 s27, s26, s9
	s_mul_i32 s30, s28, s6
	s_mul_hi_u32 s9, s28, s9
	s_mul_hi_u32 s29, s28, s6
	s_add_u32 s9, s9, s30
	s_addc_u32 s29, 0, s29
	s_add_u32 s9, s9, s27
	s_mul_hi_u32 s7, s26, s6
	s_addc_u32 s9, s29, s25
	s_addc_u32 s7, s7, 0
	s_mul_i32 s6, s26, s6
	s_add_u32 s6, s9, s6
	s_addc_u32 s9, 0, s7
	s_add_u32 s25, s28, s6
	s_cselect_b64 s[6:7], -1, 0
	s_cmp_lg_u64 s[6:7], 0
	s_addc_u32 s9, s26, s9
	s_ashr_i32 s6, s5, 31
	s_add_u32 s26, s8, s6
	s_mov_b32 s7, s6
	s_addc_u32 s27, s5, s6
	s_xor_b64 s[26:27], s[26:27], s[6:7]
	s_mul_i32 s28, s26, s9
	s_mul_hi_u32 s29, s26, s25
	s_mul_hi_u32 s5, s26, s9
	s_add_u32 s28, s29, s28
	s_addc_u32 s5, 0, s5
	s_mul_hi_u32 s30, s27, s25
	s_mul_i32 s25, s27, s25
	s_add_u32 s25, s28, s25
	s_mul_hi_u32 s29, s27, s9
	s_addc_u32 s5, s5, s30
	s_addc_u32 s25, s29, 0
	s_mul_i32 s9, s27, s9
	s_add_u32 s5, s5, s9
	s_addc_u32 s9, 0, s25
	s_mul_i32 s25, s0, s9
	s_mul_hi_u32 s28, s0, s5
	s_add_i32 s25, s28, s25
	s_mul_i32 s28, s1, s5
	s_add_i32 s25, s25, s28
	s_sub_i32 s30, s27, s25
	s_mul_i32 s28, s0, s5
	s_sub_u32 s26, s26, s28
	s_cselect_b64 s[28:29], -1, 0
	s_cmp_lg_u64 s[28:29], 0
	s_subb_u32 s33, s30, s1
	s_sub_u32 s34, s26, s0
	s_cselect_b64 s[30:31], -1, 0
	s_cmp_lg_u64 s[30:31], 0
	s_subb_u32 s30, s33, 0
	s_cmp_ge_u32 s30, s1
	s_cselect_b32 s31, -1, 0
	s_cmp_ge_u32 s34, s0
	s_cselect_b32 s33, -1, 0
	s_cmp_eq_u32 s30, s1
	s_cselect_b32 s30, s33, s31
	s_add_u32 s31, s5, 1
	s_addc_u32 s33, s9, 0
	s_add_u32 s34, s5, 2
	s_addc_u32 s35, s9, 0
	s_cmp_lg_u32 s30, 0
	s_cselect_b32 s30, s34, s31
	s_cselect_b32 s31, s35, s33
	s_cmp_lg_u64 s[28:29], 0
	s_subb_u32 s25, s27, s25
	s_cmp_ge_u32 s25, s1
	s_cselect_b32 s27, -1, 0
	s_cmp_ge_u32 s26, s0
	s_cselect_b32 s0, -1, 0
	s_cmp_eq_u32 s25, s1
	s_cselect_b32 s0, s0, s27
	s_cmp_lg_u32 s0, 0
	s_cselect_b32 s1, s31, s9
	s_cselect_b32 s0, s30, s5
	s_xor_b64 s[6:7], s[6:7], 0
	s_xor_b64 s[0:1], s[0:1], s[6:7]
	s_sub_u32 s6, s0, s6
	s_cbranch_execnz .LBB70_11
.LBB70_10:
	s_sub_i32 s0, 0, s22
	v_readfirstlane_b32 s1, v4
	s_mul_i32 s0, s0, s1
	s_mul_hi_u32 s0, s1, s0
	s_add_i32 s1, s1, s0
	s_mul_hi_u32 s0, s8, s1
	s_mul_i32 s5, s0, s22
	s_sub_i32 s5, s8, s5
	s_add_i32 s1, s0, 1
	s_sub_i32 s6, s5, s22
	s_cmp_ge_u32 s5, s22
	s_cselect_b32 s0, s1, s0
	s_cselect_b32 s5, s6, s5
	s_add_i32 s1, s0, 1
	s_cmp_ge_u32 s5, s22
	s_cselect_b32 s6, s1, s0
.LBB70_11:
	s_cmp_lg_u32 s10, s6
	s_mov_b64 s[8:9], -1
                                        ; implicit-def: $sgpr0_sgpr1
                                        ; implicit-def: $vgpr10
                                        ; implicit-def: $vgpr8
                                        ; implicit-def: $vgpr9
                                        ; implicit-def: $sgpr5
                                        ; implicit-def: $sgpr7
	s_cbranch_scc1 .LBB70_14
; %bb.12:
	s_andn2_b64 vcc, exec, s[8:9]
	s_cbranch_vccz .LBB70_17
.LBB70_13:
	s_andn2_b64 vcc, exec, s[0:1]
	s_cbranch_vccnz .LBB70_18
	s_branch .LBB70_22
.LBB70_14:
	s_add_i32 s0, s24, s22
	s_lshl_b32 s0, s0, 1
	s_add_i32 s0, s0, s15
	s_mov_b32 s1, s4
	s_lshl_b64 s[0:1], s[0:1], 3
	s_add_u32 s8, s18, s0
	s_mul_hi_u32 s0, s6, s12
	s_addc_u32 s9, s19, s1
	s_add_i32 s0, s0, s6
	s_lshr_b32 s5, s0, s13
	s_mul_i32 s0, s5, s14
	s_cmp_eq_u32 s0, s6
	s_cselect_b64 s[0:1], -1, 0
	s_cmp_lt_u32 s5, s11
	s_cselect_b64 s[26:27], -1, 0
	s_or_b64 s[26:27], s[26:27], s[0:1]
	s_mov_b64 s[0:1], -1
	s_and_b64 vcc, exec, s[26:27]
	s_mov_b32 s5, s24
	s_mov_b32 s7, s10
	s_cbranch_vccnz .LBB70_16
; %bb.15:
	s_add_i32 s5, s24, -1
	s_mov_b64 s[0:1], 0
	s_mov_b32 s7, s6
.LBB70_16:
	v_lshl_add_u32 v8, s24, 8, v0
	v_ashrrev_i32_e32 v9, 31, v8
	v_lshlrev_b64 v[8:9], 2, v[8:9]
	v_mov_b32_e32 v10, s21
	v_add_co_u32_e32 v8, vcc, s20, v8
	v_addc_co_u32_e32 v9, vcc, v10, v9, vcc
	global_load_dword v10, v[8:9], off
	s_load_dwordx2 s[8:9], s[8:9], 0x0
	v_max_f32_e32 v8, v7, v7
	s_waitcnt lgkmcnt(0)
	v_max_f32_e64 v9, s8, s8
	v_max_f32_e32 v8, v8, v9
	v_sub_f32_e32 v9, v7, v8
	v_sub_f32_e32 v11, s8, v8
	v_mul_f32_e32 v12, 0x3fb8aa3b, v9
	v_mul_f32_e32 v13, 0x3fb8aa3b, v11
	v_fma_f32 v14, v9, s2, -v12
	v_rndne_f32_e32 v15, v12
	v_fma_f32 v16, v11, s2, -v13
	v_rndne_f32_e32 v17, v13
	v_fmac_f32_e32 v14, 0x32a5705f, v9
	v_sub_f32_e32 v12, v12, v15
	v_fmac_f32_e32 v16, 0x32a5705f, v11
	v_sub_f32_e32 v13, v13, v17
	v_add_f32_e32 v12, v12, v14
	v_cvt_i32_f32_e32 v15, v15
	v_add_f32_e32 v13, v13, v16
	v_exp_f32_e32 v12, v12
	v_cvt_i32_f32_e32 v17, v17
	v_exp_f32_e32 v13, v13
	v_cmp_ngt_f32_e32 vcc, s16, v9
	v_ldexp_f32 v12, v12, v15
	v_cndmask_b32_e32 v12, 0, v12, vcc
	v_ldexp_f32 v13, v13, v17
	v_cmp_ngt_f32_e32 vcc, s16, v11
	v_cndmask_b32_e32 v13, 0, v13, vcc
	v_cmp_nlt_f32_e32 vcc, s17, v9
	v_cndmask_b32_e32 v12, v5, v12, vcc
	v_cmp_nlt_f32_e32 vcc, s17, v11
	v_cndmask_b32_e32 v13, v5, v13, vcc
	v_cmp_le_f32_e32 vcc, s23, v9
	v_cndmask_b32_e32 v12, 0, v12, vcc
	v_cmp_le_f32_e32 vcc, s23, v11
	v_cndmask_b32_e32 v11, 0, v13, vcc
	v_mul_f32_e32 v9, s9, v11
	v_fmac_f32_e32 v9, v6, v12
	s_waitcnt vmcnt(0)
	v_mul_f32_e32 v10, v10, v11
	v_fmac_f32_e32 v10, v3, v12
	s_cbranch_execnz .LBB70_13
.LBB70_17:
	s_add_i32 s5, s24, -1
	s_mov_b32 s7, s10
	v_mov_b32_e32 v9, v6
	v_mov_b32_e32 v8, v7
	s_waitcnt vmcnt(0)
	v_mov_b32_e32 v10, v3
	s_cbranch_execz .LBB70_22
.LBB70_18:
	s_mov_b32 s10, s7
	s_mov_b32 s24, s5
	v_mov_b32_e32 v6, v9
	v_mov_b32_e32 v7, v8
	s_waitcnt vmcnt(0)
	v_mov_b32_e32 v3, v10
	s_mul_hi_i32 s5, s24, s3
	s_cmp_lg_u64 s[4:5], 0
	s_mul_i32 s8, s24, s3
	s_cbranch_scc1 .LBB70_9
.LBB70_19:
                                        ; implicit-def: $sgpr6_sgpr7
	s_branch .LBB70_10
.LBB70_20:
                                        ; implicit-def: $sgpr10_sgpr11
	s_load_dwordx4 s[12:15], s[4:5], 0x44
	s_branch .LBB70_2
.LBB70_21:
                                        ; implicit-def: $sgpr18_sgpr19
	s_branch .LBB70_5
.LBB70_22:
	v_div_scale_f32 v0, s[0:1], v9, v9, v10
	s_waitcnt vmcnt(0)
	v_div_scale_f32 v3, vcc, v10, v9, v10
	v_rcp_f32_e32 v4, v0
	v_fma_f32 v5, -v0, v4, 1.0
	v_fmac_f32_e32 v4, v5, v4
	v_mul_f32_e32 v5, v3, v4
	v_fma_f32 v6, -v0, v5, v3
	v_fmac_f32_e32 v5, v6, v4
	v_fma_f32 v0, -v0, v5, v3
	v_div_fmas_f32 v0, v0, v4, v5
	v_div_fixup_f32 v0, v0, v9, v10
	global_store_dword v[1:2], v0, off
.LBB70_23:
	s_endpgm
	.section	.rodata,"a",@progbits
	.p2align	6, 0x0
	.amdhsa_kernel _ZL33flash_attn_stream_k_fixup_generalILi128ELi2ELi1EEvPfPK15HIP_vector_typeIfLj2EEiiiiS1_IjLj3EES5_S5_S5_
		.amdhsa_group_segment_fixed_size 0
		.amdhsa_private_segment_fixed_size 0
		.amdhsa_kernarg_size 336
		.amdhsa_user_sgpr_count 6
		.amdhsa_user_sgpr_private_segment_buffer 1
		.amdhsa_user_sgpr_dispatch_ptr 0
		.amdhsa_user_sgpr_queue_ptr 0
		.amdhsa_user_sgpr_kernarg_segment_ptr 1
		.amdhsa_user_sgpr_dispatch_id 0
		.amdhsa_user_sgpr_flat_scratch_init 0
		.amdhsa_user_sgpr_private_segment_size 0
		.amdhsa_uses_dynamic_stack 0
		.amdhsa_system_sgpr_private_segment_wavefront_offset 0
		.amdhsa_system_sgpr_workgroup_id_x 1
		.amdhsa_system_sgpr_workgroup_id_y 1
		.amdhsa_system_sgpr_workgroup_id_z 1
		.amdhsa_system_sgpr_workgroup_info 0
		.amdhsa_system_vgpr_workitem_id 0
		.amdhsa_next_free_vgpr 18
		.amdhsa_next_free_sgpr 36
		.amdhsa_reserve_vcc 1
		.amdhsa_reserve_flat_scratch 0
		.amdhsa_float_round_mode_32 0
		.amdhsa_float_round_mode_16_64 0
		.amdhsa_float_denorm_mode_32 3
		.amdhsa_float_denorm_mode_16_64 3
		.amdhsa_dx10_clamp 1
		.amdhsa_ieee_mode 1
		.amdhsa_fp16_overflow 0
		.amdhsa_exception_fp_ieee_invalid_op 0
		.amdhsa_exception_fp_denorm_src 0
		.amdhsa_exception_fp_ieee_div_zero 0
		.amdhsa_exception_fp_ieee_overflow 0
		.amdhsa_exception_fp_ieee_underflow 0
		.amdhsa_exception_fp_ieee_inexact 0
		.amdhsa_exception_int_div_zero 0
	.end_amdhsa_kernel
	.section	.text._ZL33flash_attn_stream_k_fixup_generalILi128ELi2ELi1EEvPfPK15HIP_vector_typeIfLj2EEiiiiS1_IjLj3EES5_S5_S5_,"axG",@progbits,_ZL33flash_attn_stream_k_fixup_generalILi128ELi2ELi1EEvPfPK15HIP_vector_typeIfLj2EEiiiiS1_IjLj3EES5_S5_S5_,comdat
.Lfunc_end70:
	.size	_ZL33flash_attn_stream_k_fixup_generalILi128ELi2ELi1EEvPfPK15HIP_vector_typeIfLj2EEiiiiS1_IjLj3EES5_S5_S5_, .Lfunc_end70-_ZL33flash_attn_stream_k_fixup_generalILi128ELi2ELi1EEvPfPK15HIP_vector_typeIfLj2EEiiiiS1_IjLj3EES5_S5_S5_
                                        ; -- End function
	.set _ZL33flash_attn_stream_k_fixup_generalILi128ELi2ELi1EEvPfPK15HIP_vector_typeIfLj2EEiiiiS1_IjLj3EES5_S5_S5_.num_vgpr, 18
	.set _ZL33flash_attn_stream_k_fixup_generalILi128ELi2ELi1EEvPfPK15HIP_vector_typeIfLj2EEiiiiS1_IjLj3EES5_S5_S5_.num_agpr, 0
	.set _ZL33flash_attn_stream_k_fixup_generalILi128ELi2ELi1EEvPfPK15HIP_vector_typeIfLj2EEiiiiS1_IjLj3EES5_S5_S5_.numbered_sgpr, 36
	.set _ZL33flash_attn_stream_k_fixup_generalILi128ELi2ELi1EEvPfPK15HIP_vector_typeIfLj2EEiiiiS1_IjLj3EES5_S5_S5_.num_named_barrier, 0
	.set _ZL33flash_attn_stream_k_fixup_generalILi128ELi2ELi1EEvPfPK15HIP_vector_typeIfLj2EEiiiiS1_IjLj3EES5_S5_S5_.private_seg_size, 0
	.set _ZL33flash_attn_stream_k_fixup_generalILi128ELi2ELi1EEvPfPK15HIP_vector_typeIfLj2EEiiiiS1_IjLj3EES5_S5_S5_.uses_vcc, 1
	.set _ZL33flash_attn_stream_k_fixup_generalILi128ELi2ELi1EEvPfPK15HIP_vector_typeIfLj2EEiiiiS1_IjLj3EES5_S5_S5_.uses_flat_scratch, 0
	.set _ZL33flash_attn_stream_k_fixup_generalILi128ELi2ELi1EEvPfPK15HIP_vector_typeIfLj2EEiiiiS1_IjLj3EES5_S5_S5_.has_dyn_sized_stack, 0
	.set _ZL33flash_attn_stream_k_fixup_generalILi128ELi2ELi1EEvPfPK15HIP_vector_typeIfLj2EEiiiiS1_IjLj3EES5_S5_S5_.has_recursion, 0
	.set _ZL33flash_attn_stream_k_fixup_generalILi128ELi2ELi1EEvPfPK15HIP_vector_typeIfLj2EEiiiiS1_IjLj3EES5_S5_S5_.has_indirect_call, 0
	.section	.AMDGPU.csdata,"",@progbits
; Kernel info:
; codeLenInByte = 2932
; TotalNumSgprs: 40
; NumVgprs: 18
; ScratchSize: 0
; MemoryBound: 0
; FloatMode: 240
; IeeeMode: 1
; LDSByteSize: 0 bytes/workgroup (compile time only)
; SGPRBlocks: 4
; VGPRBlocks: 4
; NumSGPRsForWavesPerEU: 40
; NumVGPRsForWavesPerEU: 18
; Occupancy: 10
; WaveLimiterHint : 0
; COMPUTE_PGM_RSRC2:SCRATCH_EN: 0
; COMPUTE_PGM_RSRC2:USER_SGPR: 6
; COMPUTE_PGM_RSRC2:TRAP_HANDLER: 0
; COMPUTE_PGM_RSRC2:TGID_X_EN: 1
; COMPUTE_PGM_RSRC2:TGID_Y_EN: 1
; COMPUTE_PGM_RSRC2:TGID_Z_EN: 1
; COMPUTE_PGM_RSRC2:TIDIG_COMP_CNT: 0
	.section	.text._ZL15flash_attn_tileILi128ELi128ELi8ELi8ELb1EEvPKcS1_S1_S1_S1_PKiPfP15HIP_vector_typeIfLj2EEffffjfiS5_IjLj3EEiiiiiiiiiiiliiliiiiil,"axG",@progbits,_ZL15flash_attn_tileILi128ELi128ELi8ELi8ELb1EEvPKcS1_S1_S1_S1_PKiPfP15HIP_vector_typeIfLj2EEffffjfiS5_IjLj3EEiiiiiiiiiiiliiliiiiil,comdat
	.globl	_ZL15flash_attn_tileILi128ELi128ELi8ELi8ELb1EEvPKcS1_S1_S1_S1_PKiPfP15HIP_vector_typeIfLj2EEffffjfiS5_IjLj3EEiiiiiiiiiiiliiliiiiil ; -- Begin function _ZL15flash_attn_tileILi128ELi128ELi8ELi8ELb1EEvPKcS1_S1_S1_S1_PKiPfP15HIP_vector_typeIfLj2EEffffjfiS5_IjLj3EEiiiiiiiiiiiliiliiiiil
	.p2align	8
	.type	_ZL15flash_attn_tileILi128ELi128ELi8ELi8ELb1EEvPKcS1_S1_S1_S1_PKiPfP15HIP_vector_typeIfLj2EEffffjfiS5_IjLj3EEiiiiiiiiiiiliiliiiiil,@function
_ZL15flash_attn_tileILi128ELi128ELi8ELi8ELb1EEvPKcS1_S1_S1_S1_PKiPfP15HIP_vector_typeIfLj2EEffffjfiS5_IjLj3EEiiiiiiiiiiiliiliiiiil: ; @_ZL15flash_attn_tileILi128ELi128ELi8ELi8ELb1EEvPKcS1_S1_S1_S1_PKiPfP15HIP_vector_typeIfLj2EEffffjfiS5_IjLj3EEiiiiiiiiiiiliiliiiiil
; %bb.0:
	s_load_dwordx4 s[0:3], s[4:5], 0x5c
	s_load_dwordx2 s[30:31], s[4:5], 0x80
	s_load_dwordx2 s[36:37], s[4:5], 0xb8
	s_mov_b64 s[34:35], 0
	s_waitcnt lgkmcnt(0)
	s_ashr_i32 s9, s3, 31
	s_lshr_b32 s9, s9, 29
	s_add_i32 s9, s3, s9
	s_ashr_i32 s9, s9, 3
	v_cvt_f32_u32_e32 v2, s9
	s_sub_i32 s10, 0, s9
	v_rcp_iflag_f32_e32 v2, v2
	v_mul_f32_e32 v2, 0x4f7ffffe, v2
	v_cvt_u32_f32_e32 v2, v2
	v_readfirstlane_b32 s11, v2
	s_mul_i32 s10, s10, s11
	s_mul_hi_u32 s10, s11, s10
	s_add_i32 s11, s11, s10
	s_mul_hi_u32 s10, s8, s11
	s_mul_i32 s11, s10, s9
	s_sub_i32 s11, s8, s11
	s_add_i32 s12, s10, 1
	s_sub_i32 s13, s11, s9
	s_cmp_ge_u32 s11, s9
	s_cselect_b32 s10, s12, s10
	s_cselect_b32 s11, s13, s11
	s_add_i32 s12, s10, 1
	s_cmp_ge_u32 s11, s9
	s_cselect_b32 s33, s12, s10
	s_abs_i32 s9, s31
	v_cvt_f32_u32_e32 v2, s9
	s_lshl_b32 s8, s8, 3
	s_mul_i32 s12, s33, s3
	s_sub_i32 s13, 0, s9
	v_rcp_iflag_f32_e32 v2, v2
	s_sub_i32 s28, s8, s12
	s_abs_i32 s11, s3
	s_xor_b32 s10, s3, s31
	v_mul_f32_e32 v2, 0x4f7ffffe, v2
	v_cvt_u32_f32_e32 v2, v2
	s_ashr_i32 s10, s10, 31
	v_readfirstlane_b32 s8, v2
	s_mul_i32 s13, s13, s8
	s_mul_hi_u32 s12, s8, s13
	s_add_i32 s8, s8, s12
	s_mul_hi_u32 s8, s11, s8
	s_mul_i32 s12, s8, s9
	s_sub_i32 s11, s11, s12
	s_add_i32 s13, s8, 1
	s_sub_i32 s12, s11, s9
	s_cmp_ge_u32 s11, s9
	s_cselect_b32 s8, s13, s8
	s_cselect_b32 s11, s12, s11
	s_add_i32 s12, s8, 1
	s_cmp_ge_u32 s11, s9
	s_cselect_b32 s8, s12, s8
	s_xor_b32 s8, s8, s10
	s_sub_i32 s31, s8, s10
	s_abs_i32 s29, s31
	v_cvt_f32_u32_e32 v2, s29
	s_load_dwordx16 s[8:23], s[4:5], 0x0
	v_rcp_iflag_f32_e32 v2, v2
	s_waitcnt lgkmcnt(0)
	s_cmp_eq_u64 s[14:15], 0
	v_mul_f32_e32 v2, 0x4f7ffffe, v2
	v_cvt_u32_f32_e32 v2, v2
	v_readfirstlane_b32 s38, v2
	s_cbranch_scc1 .LBB71_2
; %bb.1:
	s_abs_i32 s26, s36
	v_cvt_f32_u32_e32 v2, s26
	s_sub_i32 s35, 0, s26
	s_abs_i32 s34, s33
	s_ashr_i32 s27, s33, 31
	v_rcp_iflag_f32_e32 v2, v2
	s_load_dwordx2 s[24:25], s[4:5], 0xc8
	v_mul_f32_e32 v2, 0x4f7ffffe, v2
	v_cvt_u32_f32_e32 v2, v2
	v_readfirstlane_b32 s36, v2
	s_mul_i32 s35, s35, s36
	s_mul_hi_u32 s35, s36, s35
	s_add_i32 s36, s36, s35
	s_mul_hi_u32 s35, s34, s36
	s_mul_i32 s35, s35, s26
	s_sub_i32 s34, s34, s35
	s_sub_i32 s35, s34, s26
	s_cmp_ge_u32 s34, s26
	s_cselect_b32 s34, s35, s34
	s_sub_i32 s35, s34, s26
	s_cmp_ge_u32 s34, s26
	s_cselect_b32 s26, s35, s34
	s_xor_b32 s26, s26, s27
	s_sub_i32 s26, s26, s27
	s_ashr_i32 s27, s26, 31
	s_waitcnt lgkmcnt(0)
	s_mul_hi_u32 s34, s24, s26
	s_mul_i32 s27, s24, s27
	s_mul_i32 s25, s25, s26
	s_add_i32 s27, s34, s27
	s_add_i32 s27, s27, s25
	s_mul_i32 s24, s24, s26
	s_add_u32 s34, s14, s24
	s_addc_u32 s35, s15, s27
.LBB71_2:
	s_load_dwordx4 s[24:27], s[4:5], 0x70
	v_lshl_add_u32 v34, s6, 3, v1
	v_mul_hi_u32 v2, s0, v34
	s_waitcnt lgkmcnt(0)
	s_mul_i32 s0, s33, s26
	v_add_u32_e32 v2, v34, v2
	s_ashr_i32 s15, s0, 31
	v_lshrrev_b32_e32 v2, s1, v2
	s_mul_i32 s14, s28, s25
	s_add_u32 s0, s8, s0
	v_mul_lo_u32 v2, v2, s2
	s_addc_u32 s8, s9, s15
	s_ashr_i32 s1, s14, 31
	s_add_u32 s14, s0, s14
	s_addc_u32 s15, s8, s1
	s_ashr_i32 s1, s24, 31
	s_mov_b32 s0, s24
	v_sub_u32_e32 v3, v34, v2
	s_lshr_b64 s[8:9], s[0:1], 2
	v_mad_u64_u32 v[4:5], s[8:9], s8, v3, 0
	s_lshr_b32 s0, s1, 2
	s_ashr_i32 s9, s25, 31
	v_mov_b32_e32 v2, v5
	v_mad_u64_u32 v[5:6], s[0:1], s0, v3, v[2:3]
	v_mov_b32_e32 v2, s15
	s_mov_b32 s8, s25
	v_lshlrev_b64 v[4:5], 2, v[4:5]
	s_lshr_b64 s[0:1], s[8:9], 2
	v_add_co_u32_e32 v4, vcc, s14, v4
	v_addc_co_u32_e32 v5, vcc, v2, v5, vcc
	v_lshlrev_b32_e32 v2, 4, v0
	v_add_co_u32_e32 v9, vcc, v4, v2
	v_addc_co_u32_e32 v10, vcc, 0, v5, vcc
	global_load_dwordx4 v[5:8], v[9:10], off
	s_and_b32 s14, s25, -4
	v_mov_b32_e32 v4, s9
	v_add_co_u32_e32 v11, vcc, s14, v9
	v_addc_co_u32_e32 v12, vcc, v10, v4, vcc
	s_lshl_b64 s[24:25], s[0:1], 3
	global_load_dwordx4 v[12:15], v[11:12], off
	v_mov_b32_e32 v4, s25
	v_add_co_u32_e32 v16, vcc, s24, v9
	v_mad_u64_u32 v[20:21], s[24:25], s0, 12, v[9:10]
	v_addc_co_u32_e32 v17, vcc, v10, v4, vcc
	v_mov_b32_e32 v4, v21
	s_lshr_b32 s26, s9, 2
	global_load_dwordx4 v[16:19], v[16:17], off
	s_and_b32 s15, s9, 0x3fffffff
	s_lshl_b64 s[8:9], s[14:15], 2
	v_add_co_u32_e32 v24, vcc, s8, v9
	s_cmp_eq_u64 s[18:19], 0
	s_waitcnt vmcnt(2)
	v_mad_u64_u32 v[21:22], s[24:25], s26, 12, v[4:5]
	v_mov_b32_e32 v4, s9
	v_mad_u64_u32 v[28:29], s[8:9], s0, 20, v[9:10]
	global_load_dwordx4 v[20:23], v[20:21], off
	v_addc_co_u32_e32 v25, vcc, v10, v4, vcc
	v_mov_b32_e32 v4, v29
	v_mad_u64_u32 v[32:33], s[8:9], s0, 24, v[9:10]
	global_load_dwordx4 v[24:27], v[24:25], off
	v_mad_u64_u32 v[29:30], s[8:9], s26, 20, v[4:5]
	v_mov_b32_e32 v4, v33
	v_mad_u64_u32 v[35:36], s[8:9], s26, 24, v[4:5]
	global_load_dwordx4 v[28:31], v[28:29], off
	v_mad_u64_u32 v[9:10], s[0:1], s0, 28, v[9:10]
	v_mov_b32_e32 v33, v35
	global_load_dwordx4 v[35:38], v[32:33], off
	v_mov_b32_e32 v4, v10
	v_mad_u64_u32 v[10:11], s[0:1], s26, 28, v[4:5]
	s_load_dword s8, s[4:5], 0x40
	v_lshlrev_b32_e32 v11, 11, v1
	global_load_dwordx4 v[39:42], v[9:10], off
	v_lshlrev_b32_e32 v4, 3, v0
	v_or_b32_e32 v32, v11, v4
	s_waitcnt lgkmcnt(0)
	v_fma_mixlo_f16 v5, s8, v5, 0
	v_fma_mixlo_f16 v6, s8, v6, 0
	;; [unrolled: 1-line block ×4, first 2 shown]
	v_lshlrev_b32_e32 v6, 16, v6
	v_and_b32_e32 v5, 0xffff, v5
	v_lshlrev_b32_e32 v8, 16, v8
	v_and_b32_e32 v7, 0xffff, v7
	s_waitcnt vmcnt(6)
	v_fma_mixlo_f16 v9, s8, v12, 0
	v_fma_mixlo_f16 v10, s8, v13, 0
	v_or_b32_e32 v5, v6, v5
	v_or3_b32 v6, v8, v7, 0
	v_lshlrev_b32_e32 v7, 16, v10
	v_and_b32_e32 v8, 0xffff, v9
	v_or_b32_e32 v7, v7, v8
	v_fma_mixlo_f16 v8, s8, v14, 0
	v_fma_mixlo_f16 v9, s8, v15, 0
	v_lshlrev_b32_e32 v9, 16, v9
	v_and_b32_e32 v8, 0xffff, v8
	v_or3_b32 v5, 0, 0, v5
	v_or3_b32 v8, v9, v8, 0
	;; [unrolled: 1-line block ×3, first 2 shown]
	ds_write2_b64 v32, v[5:6], v[7:8] offset1:32
	s_waitcnt vmcnt(5)
	v_fma_mixlo_f16 v5, s8, v16, 0
	v_fma_mixlo_f16 v6, s8, v17, 0
	v_lshlrev_b32_e32 v6, 16, v6
	v_and_b32_e32 v5, 0xffff, v5
	v_or_b32_e32 v5, v6, v5
	v_fma_mixlo_f16 v6, s8, v18, 0
	v_fma_mixlo_f16 v7, s8, v19, 0
	v_lshlrev_b32_e32 v7, 16, v7
	v_and_b32_e32 v6, 0xffff, v6
	v_or3_b32 v6, v7, v6, 0
	v_or3_b32 v5, 0, 0, v5
	s_waitcnt vmcnt(4)
	v_fma_mixlo_f16 v7, s8, v20, 0
	v_fma_mixlo_f16 v8, s8, v21, 0
	v_lshlrev_b32_e32 v8, 16, v8
	v_and_b32_e32 v7, 0xffff, v7
	v_or_b32_e32 v7, v8, v7
	v_fma_mixlo_f16 v8, s8, v22, 0
	v_fma_mixlo_f16 v9, s8, v23, 0
	v_lshlrev_b32_e32 v9, 16, v9
	v_and_b32_e32 v8, 0xffff, v8
	v_or3_b32 v8, v9, v8, 0
	v_or3_b32 v7, 0, 0, v7
	ds_write2_b64 v32, v[5:6], v[7:8] offset0:64 offset1:96
	s_waitcnt vmcnt(3)
	v_fma_mixlo_f16 v5, s8, v24, 0
	v_fma_mixlo_f16 v6, s8, v25, 0
	v_lshlrev_b32_e32 v6, 16, v6
	v_and_b32_e32 v5, 0xffff, v5
	v_or_b32_e32 v5, v6, v5
	v_fma_mixlo_f16 v6, s8, v26, 0
	v_fma_mixlo_f16 v7, s8, v27, 0
	v_lshlrev_b32_e32 v7, 16, v7
	v_and_b32_e32 v6, 0xffff, v6
	v_or3_b32 v6, v7, v6, 0
	s_waitcnt vmcnt(2)
	v_fma_mixlo_f16 v7, s8, v28, 0
	v_fma_mixlo_f16 v8, s8, v29, 0
	v_lshlrev_b32_e32 v8, 16, v8
	v_and_b32_e32 v7, 0xffff, v7
	v_or_b32_e32 v7, v8, v7
	v_fma_mixlo_f16 v8, s8, v30, 0
	v_fma_mixlo_f16 v9, s8, v31, 0
	v_lshlrev_b32_e32 v9, 16, v9
	v_and_b32_e32 v8, 0xffff, v8
	v_or3_b32 v5, 0, 0, v5
	v_or3_b32 v8, v9, v8, 0
	;; [unrolled: 1-line block ×3, first 2 shown]
	ds_write2_b64 v32, v[5:6], v[7:8] offset0:128 offset1:160
	s_waitcnt vmcnt(1)
	v_fma_mixlo_f16 v5, s8, v35, 0
	v_fma_mixlo_f16 v6, s8, v36, 0
	v_lshlrev_b32_e32 v6, 16, v6
	v_and_b32_e32 v5, 0xffff, v5
	v_or_b32_e32 v5, v6, v5
	v_fma_mixlo_f16 v6, s8, v37, 0
	v_fma_mixlo_f16 v7, s8, v38, 0
	v_lshlrev_b32_e32 v7, 16, v7
	v_and_b32_e32 v6, 0xffff, v6
	v_or3_b32 v6, v7, v6, 0
	s_waitcnt vmcnt(0)
	v_fma_mixlo_f16 v7, s8, v39, 0
	v_fma_mixlo_f16 v8, s8, v40, 0
	v_lshlrev_b32_e32 v8, 16, v8
	v_and_b32_e32 v7, 0xffff, v7
	v_or_b32_e32 v7, v8, v7
	v_fma_mixlo_f16 v8, s8, v41, 0
	v_fma_mixlo_f16 v9, s8, v42, 0
	v_lshlrev_b32_e32 v9, 16, v9
	v_and_b32_e32 v8, 0xffff, v8
	v_or3_b32 v5, 0, 0, v5
	v_or3_b32 v8, v9, v8, 0
	;; [unrolled: 1-line block ×3, first 2 shown]
	ds_write2_b64 v32, v[5:6], v[7:8] offset0:192 offset1:224
	s_waitcnt lgkmcnt(0)
	s_barrier
	s_cbranch_scc1 .LBB71_4
; %bb.3:
	s_load_dword s0, s[4:5], 0xd0
	s_mov_b32 s1, 0
	s_waitcnt lgkmcnt(0)
	s_mul_i32 s0, s0, s33
	s_add_i32 s0, s0, s6
	s_lshl_b64 s[0:1], s[0:1], 2
	s_add_u32 s0, s18, s0
	s_addc_u32 s1, s19, s1
	s_load_dword s30, s[0:1], 0x0
.LBB71_4:
	s_lshl_b32 s6, s7, 6
	s_waitcnt lgkmcnt(0)
	s_cmp_lt_i32 s6, s30
	v_mbcnt_lo_u32_b32 v5, -1, 0
	s_cbranch_scc1 .LBB71_10
; %bb.5:
	v_mbcnt_hi_u32_b32 v10, -1, v5
	v_and_b32_e32 v6, 0x60, v10
	v_add_u32_e32 v72, 32, v6
	v_xor_b32_e32 v74, 16, v10
	v_xor_b32_e32 v76, 8, v10
	;; [unrolled: 1-line block ×5, first 2 shown]
	v_lshlrev_b32_e32 v33, 2, v0
	s_cbranch_execz .LBB71_11
; %bb.6:
	v_mov_b32_e32 v49, 0
	v_mov_b32_e32 v67, 0
	;; [unrolled: 1-line block ×32, first 2 shown]
.LBB71_7:
	v_cmp_lt_i32_e32 vcc, v74, v72
	v_cndmask_b32_e32 v9, v10, v74, vcc
	v_cmp_lt_i32_e32 vcc, v76, v72
	v_lshlrev_b32_e32 v12, 2, v9
	v_cndmask_b32_e32 v9, v10, v76, vcc
	v_lshlrev_b32_e32 v13, 2, v9
	ds_bpermute_b32 v9, v12, v60
	v_cmp_lt_i32_e32 vcc, v73, v72
	v_cndmask_b32_e32 v11, v10, v73, vcc
	v_lshlrev_b32_e32 v14, 2, v11
	v_cmp_lt_i32_e32 vcc, v77, v72
	s_waitcnt lgkmcnt(0)
	v_add_f32_e32 v9, v60, v9
	ds_bpermute_b32 v15, v13, v9
	v_cndmask_b32_e32 v11, v10, v77, vcc
	v_lshlrev_b32_e32 v16, 2, v11
	ds_bpermute_b32 v11, v12, v61
	v_cmp_lt_i32_e32 vcc, v75, v72
	s_waitcnt lgkmcnt(1)
	v_add_f32_e32 v9, v9, v15
	ds_bpermute_b32 v15, v14, v9
	v_cndmask_b32_e32 v10, v10, v75, vcc
	s_waitcnt lgkmcnt(1)
	v_add_f32_e32 v11, v61, v11
	v_lshlrev_b32_e32 v18, 2, v10
	ds_bpermute_b32 v10, v12, v62
	s_waitcnt lgkmcnt(1)
	v_add_f32_e32 v9, v9, v15
	ds_bpermute_b32 v15, v16, v9
	ds_bpermute_b32 v17, v13, v11
	;; [unrolled: 1-line block ×3, first 2 shown]
	s_waitcnt lgkmcnt(3)
	v_add_f32_e32 v10, v62, v10
	ds_bpermute_b32 v19, v13, v10
	s_waitcnt lgkmcnt(3)
	v_add_f32_e32 v9, v9, v15
	ds_bpermute_b32 v15, v18, v9
	;; [unrolled: 3-line block ×6, first 2 shown]
	s_waitcnt lgkmcnt(2)
	v_add_f32_e32 v10, v10, v19
	s_cmp_lg_u64 s[16:17], 0
	s_waitcnt lgkmcnt(1)
	v_add_f32_e32 v15, v64, v15
	ds_bpermute_b32 v21, v13, v15
	s_waitcnt lgkmcnt(1)
	v_add_f32_e32 v11, v11, v17
	v_add_f32_e32 v17, v63, v20
	ds_bpermute_b32 v20, v16, v10
	ds_bpermute_b32 v22, v18, v11
	s_waitcnt lgkmcnt(2)
	v_add_f32_e32 v15, v15, v21
	ds_bpermute_b32 v21, v14, v15
	ds_bpermute_b32 v19, v13, v17
	s_waitcnt lgkmcnt(3)
	v_add_f32_e32 v20, v10, v20
	ds_bpermute_b32 v23, v18, v20
	s_waitcnt lgkmcnt(3)
	v_add_f32_e32 v10, v11, v22
	s_waitcnt lgkmcnt(2)
	v_add_f32_e32 v15, v15, v21
	ds_bpermute_b32 v21, v16, v15
	s_waitcnt lgkmcnt(2)
	v_add_f32_e32 v17, v17, v19
	s_waitcnt lgkmcnt(1)
	v_add_f32_e32 v11, v20, v23
	ds_bpermute_b32 v20, v12, v65
	ds_bpermute_b32 v19, v14, v17
	s_waitcnt lgkmcnt(2)
	v_add_f32_e32 v15, v15, v21
	ds_bpermute_b32 v21, v12, v66
	ds_bpermute_b32 v12, v12, v67
	s_waitcnt lgkmcnt(3)
	v_add_f32_e32 v20, v65, v20
	ds_bpermute_b32 v23, v13, v20
	s_waitcnt lgkmcnt(3)
	v_add_f32_e32 v17, v17, v19
	s_waitcnt lgkmcnt(2)
	v_add_f32_e32 v21, v66, v21
	;; [unrolled: 2-line block ×3, first 2 shown]
	ds_bpermute_b32 v24, v13, v21
	ds_bpermute_b32 v13, v13, v12
	s_waitcnt lgkmcnt(2)
	v_add_f32_e32 v20, v20, v23
	ds_bpermute_b32 v23, v14, v20
	ds_bpermute_b32 v19, v16, v17
	s_waitcnt lgkmcnt(3)
	v_add_f32_e32 v21, v21, v24
	s_waitcnt lgkmcnt(2)
	v_add_f32_e32 v12, v12, v13
	ds_bpermute_b32 v24, v14, v21
	ds_bpermute_b32 v13, v14, v12
	s_waitcnt lgkmcnt(3)
	v_add_f32_e32 v14, v20, v23
	ds_bpermute_b32 v20, v16, v14
	s_waitcnt lgkmcnt(3)
	v_add_f32_e32 v17, v17, v19
	s_waitcnt lgkmcnt(2)
	v_add_f32_e32 v21, v21, v24
	;; [unrolled: 2-line block ×3, first 2 shown]
	ds_bpermute_b32 v23, v16, v21
	ds_bpermute_b32 v13, v16, v12
	s_waitcnt lgkmcnt(2)
	v_add_f32_e32 v14, v14, v20
	ds_bpermute_b32 v19, v18, v17
	ds_bpermute_b32 v22, v18, v15
	s_waitcnt lgkmcnt(3)
	v_add_f32_e32 v20, v21, v23
	s_waitcnt lgkmcnt(2)
	v_add_f32_e32 v23, v12, v13
	ds_bpermute_b32 v16, v18, v14
	ds_bpermute_b32 v21, v18, v20
	;; [unrolled: 1-line block ×3, first 2 shown]
	s_cselect_b64 s[0:1], -1, 0
	s_cmp_eq_u32 s7, 0
	s_cselect_b64 s[8:9], -1, 0
	s_and_b64 s[0:1], s[8:9], s[0:1]
	s_waitcnt lgkmcnt(4)
	v_add_f32_e32 v12, v17, v19
	s_waitcnt lgkmcnt(3)
	v_add_f32_e32 v13, v15, v22
	;; [unrolled: 2-line block ×5, first 2 shown]
	s_and_b64 vcc, exec, s[0:1]
	s_cbranch_vccz .LBB71_78
; %bb.8:
	s_ashr_i32 s29, s28, 31
	s_lshl_b64 s[0:1], s[28:29], 2
	s_add_u32 s0, s16, s0
	s_addc_u32 s1, s17, s1
	v_mov_b32_e32 v25, 0
	global_load_dwordx4 v[17:20], v25, s[0:1]
	global_load_dwordx4 v[21:24], v25, s[0:1] offset:16
	v_max_f32_e32 v25, v1, v1
	v_max_f32_e32 v26, v2, v2
	s_mov_b32 s6, 0x3fb8aa3b
	v_max_f32_e32 v27, v3, v3
	s_mov_b32 s1, 0xc2ce8ed0
	s_mov_b32 s0, 0x42b17218
	v_mov_b32_e32 v51, 0x7f800000
	s_waitcnt vmcnt(1)
	v_max_f32_e32 v28, v17, v17
	v_max_f32_e32 v25, v25, v28
	;; [unrolled: 1-line block ×3, first 2 shown]
	v_sub_f32_e32 v1, v1, v25
	v_max_f32_e32 v26, v26, v29
	v_sub_f32_e32 v17, v17, v25
	v_mul_f32_e32 v28, 0x3fb8aa3b, v1
	v_max_f32_e32 v30, v19, v19
	v_sub_f32_e32 v2, v2, v26
	v_mul_f32_e32 v29, 0x3fb8aa3b, v17
	v_fma_f32 v53, v1, s6, -v28
	v_rndne_f32_e32 v54, v28
	v_max_f32_e32 v27, v27, v30
	v_sub_f32_e32 v18, v18, v26
	v_mul_f32_e32 v30, 0x3fb8aa3b, v2
	v_fma_f32 v55, v17, s6, -v29
	v_rndne_f32_e32 v56, v29
	v_fmac_f32_e32 v53, 0x32a5705f, v1
	v_sub_f32_e32 v28, v28, v54
	v_mul_f32_e32 v31, 0x3fb8aa3b, v18
	v_fma_f32 v57, v2, s6, -v30
	v_rndne_f32_e32 v58, v30
	v_fmac_f32_e32 v55, 0x32a5705f, v17
	v_sub_f32_e32 v29, v29, v56
	v_add_f32_e32 v28, v28, v53
	v_fma_f32 v59, v18, s6, -v31
	v_rndne_f32_e32 v60, v31
	v_cvt_i32_f32_e32 v54, v54
	v_fmac_f32_e32 v57, 0x32a5705f, v2
	v_sub_f32_e32 v30, v30, v58
	v_add_f32_e32 v29, v29, v55
	v_exp_f32_e32 v28, v28
	v_cvt_i32_f32_e32 v56, v56
	v_fmac_f32_e32 v59, 0x32a5705f, v18
	v_sub_f32_e32 v31, v31, v60
	v_add_f32_e32 v30, v30, v57
	v_exp_f32_e32 v29, v29
	v_cvt_i32_f32_e32 v58, v58
	v_add_f32_e32 v31, v31, v59
	v_exp_f32_e32 v30, v30
	v_cvt_i32_f32_e32 v60, v60
	v_exp_f32_e32 v31, v31
	v_ldexp_f32 v28, v28, v54
	v_cmp_ngt_f32_e32 vcc, s1, v1
	v_ldexp_f32 v29, v29, v56
	v_cndmask_b32_e32 v28, 0, v28, vcc
	v_cmp_ngt_f32_e32 vcc, s1, v17
	v_ldexp_f32 v30, v30, v58
	v_cndmask_b32_e32 v29, 0, v29, vcc
	;; [unrolled: 3-line block ×3, first 2 shown]
	v_cmp_ngt_f32_e32 vcc, s1, v18
	v_sub_f32_e32 v3, v3, v27
	v_cndmask_b32_e32 v31, 0, v31, vcc
	v_cmp_nlt_f32_e32 vcc, s0, v1
	v_mul_f32_e32 v32, 0x3fb8aa3b, v3
	v_cndmask_b32_e32 v1, v51, v28, vcc
	v_sub_f32_e32 v19, v19, v27
	v_fma_f32 v61, v3, s6, -v32
	v_rndne_f32_e32 v62, v32
	v_cmp_nlt_f32_e32 vcc, s0, v17
	v_cvt_f16_f32_e32 v28, v1
	v_mul_f32_e32 v52, 0x3fb8aa3b, v19
	v_fmac_f32_e32 v61, 0x32a5705f, v3
	v_sub_f32_e32 v32, v32, v62
	v_cndmask_b32_e32 v17, v51, v29, vcc
	v_cmp_nlt_f32_e32 vcc, s0, v2
	v_fma_f32 v63, v19, s6, -v52
	v_rndne_f32_e32 v64, v52
	v_add_f32_e32 v32, v32, v61
	v_cndmask_b32_e32 v2, v51, v30, vcc
	v_cvt_i32_f32_e32 v62, v62
	v_fmac_f32_e32 v63, 0x32a5705f, v19
	v_sub_f32_e32 v52, v52, v64
	v_exp_f32_e32 v32, v32
	v_cvt_f16_f32_e32 v29, v2
	v_add_f32_e32 v52, v52, v63
	v_fmac_f32_e32 v17, v9, v1
	v_mul_u32_u24_e32 v1, 0x10001, v28
	v_exp_f32_e32 v52, v52
	v_cmp_nlt_f32_e32 vcc, s0, v18
	v_pk_mul_f16 v49, v49, v1
	v_pk_mul_f16 v50, v50, v1
	v_cvt_i32_f32_e32 v1, v64
	v_cndmask_b32_e32 v18, v51, v31, vcc
	v_ldexp_f32 v32, v32, v62
	v_fmac_f32_e32 v18, v10, v2
	v_mul_u32_u24_e32 v2, 0x10001, v29
	v_cmp_ngt_f32_e32 vcc, s1, v3
	v_pk_mul_f16 v47, v47, v2
	v_pk_mul_f16 v48, v48, v2
	v_cndmask_b32_e32 v2, 0, v32, vcc
	v_cmp_nlt_f32_e32 vcc, s0, v3
	v_cndmask_b32_e32 v2, v51, v2, vcc
	v_ldexp_f32 v1, v52, v1
	v_cmp_ngt_f32_e32 vcc, s1, v19
	v_cndmask_b32_e32 v1, 0, v1, vcc
	v_cmp_nlt_f32_e32 vcc, s0, v19
	v_cndmask_b32_e32 v19, v51, v1, vcc
	v_fmac_f32_e32 v19, v11, v2
	v_cvt_f16_f32_e32 v1, v2
	v_max_f32_e32 v2, v20, v20
	v_max_f32_e32 v3, v4, v4
	;; [unrolled: 1-line block ×3, first 2 shown]
	v_sub_f32_e32 v2, v4, v28
	v_mul_f32_e32 v3, 0x3fb8aa3b, v2
	v_fma_f32 v4, v2, s6, -v3
	v_rndne_f32_e32 v9, v3
	v_fmac_f32_e32 v4, 0x32a5705f, v2
	v_sub_f32_e32 v3, v3, v9
	v_add_f32_e32 v3, v3, v4
	v_exp_f32_e32 v3, v3
	v_cvt_i32_f32_e32 v4, v9
	v_mul_u32_u24_e32 v1, 0x10001, v1
	v_pk_mul_f16 v45, v45, v1
	v_pk_mul_f16 v46, v46, v1
	v_ldexp_f32 v1, v3, v4
	v_sub_f32_e32 v3, v20, v28
	v_mul_f32_e32 v4, 0x3fb8aa3b, v3
	v_fma_f32 v9, v3, s6, -v4
	v_rndne_f32_e32 v10, v4
	v_fmac_f32_e32 v9, 0x32a5705f, v3
	v_sub_f32_e32 v4, v4, v10
	v_add_f32_e32 v4, v4, v9
	v_exp_f32_e32 v4, v4
	v_cvt_i32_f32_e32 v9, v10
	v_cmp_ngt_f32_e32 vcc, s1, v2
	v_cndmask_b32_e32 v1, 0, v1, vcc
	v_cmp_nlt_f32_e32 vcc, s0, v2
	v_cndmask_b32_e32 v1, v51, v1, vcc
	v_ldexp_f32 v2, v4, v9
	v_cmp_ngt_f32_e32 vcc, s1, v3
	v_cndmask_b32_e32 v2, 0, v2, vcc
	v_cmp_nlt_f32_e32 vcc, s0, v3
	v_cndmask_b32_e32 v20, v51, v2, vcc
	s_waitcnt vmcnt(0)
	v_max_f32_e32 v2, v21, v21
	v_max_f32_e32 v3, v5, v5
	v_max_f32_e32 v29, v3, v2
	v_sub_f32_e32 v2, v5, v29
	v_mul_f32_e32 v3, 0x3fb8aa3b, v2
	v_fma_f32 v4, v2, s6, -v3
	v_rndne_f32_e32 v5, v3
	v_fmac_f32_e32 v4, 0x32a5705f, v2
	v_sub_f32_e32 v3, v3, v5
	v_fmac_f32_e32 v20, v12, v1
	v_cvt_f16_f32_e32 v1, v1
	v_add_f32_e32 v3, v3, v4
	v_exp_f32_e32 v3, v3
	v_cvt_i32_f32_e32 v4, v5
	v_mul_u32_u24_e32 v1, 0x10001, v1
	v_pk_mul_f16 v43, v43, v1
	v_pk_mul_f16 v44, v44, v1
	v_ldexp_f32 v1, v3, v4
	v_sub_f32_e32 v3, v21, v29
	v_mul_f32_e32 v4, 0x3fb8aa3b, v3
	v_fma_f32 v5, v3, s6, -v4
	v_rndne_f32_e32 v9, v4
	v_fmac_f32_e32 v5, 0x32a5705f, v3
	v_sub_f32_e32 v4, v4, v9
	v_add_f32_e32 v4, v4, v5
	v_exp_f32_e32 v4, v4
	v_cvt_i32_f32_e32 v5, v9
	v_cmp_ngt_f32_e32 vcc, s1, v2
	v_cndmask_b32_e32 v1, 0, v1, vcc
	v_cmp_nlt_f32_e32 vcc, s0, v2
	v_cndmask_b32_e32 v1, v51, v1, vcc
	v_ldexp_f32 v2, v4, v5
	v_cmp_ngt_f32_e32 vcc, s1, v3
	v_cndmask_b32_e32 v2, 0, v2, vcc
	v_cmp_nlt_f32_e32 vcc, s0, v3
	v_cndmask_b32_e32 v21, v51, v2, vcc
	v_max_f32_e32 v2, v22, v22
	v_max_f32_e32 v3, v6, v6
	v_max_f32_e32 v30, v3, v2
	v_sub_f32_e32 v2, v6, v30
	v_mul_f32_e32 v3, 0x3fb8aa3b, v2
	v_fma_f32 v4, v2, s6, -v3
	v_rndne_f32_e32 v5, v3
	v_fmac_f32_e32 v4, 0x32a5705f, v2
	v_sub_f32_e32 v3, v3, v5
	v_fmac_f32_e32 v21, v13, v1
	v_cvt_f16_f32_e32 v1, v1
	v_add_f32_e32 v3, v3, v4
	v_exp_f32_e32 v3, v3
	v_cvt_i32_f32_e32 v4, v5
	v_mul_u32_u24_e32 v1, 0x10001, v1
	v_pk_mul_f16 v41, v41, v1
	v_pk_mul_f16 v42, v42, v1
	v_ldexp_f32 v1, v3, v4
	v_sub_f32_e32 v3, v22, v30
	v_mul_f32_e32 v4, 0x3fb8aa3b, v3
	v_fma_f32 v5, v3, s6, -v4
	v_rndne_f32_e32 v6, v4
	v_fmac_f32_e32 v5, 0x32a5705f, v3
	v_sub_f32_e32 v4, v4, v6
	v_add_f32_e32 v4, v4, v5
	v_exp_f32_e32 v4, v4
	v_cvt_i32_f32_e32 v5, v6
	v_cmp_ngt_f32_e32 vcc, s1, v2
	v_cndmask_b32_e32 v1, 0, v1, vcc
	v_cmp_nlt_f32_e32 vcc, s0, v2
	v_cndmask_b32_e32 v1, v51, v1, vcc
	v_ldexp_f32 v2, v4, v5
	v_cmp_ngt_f32_e32 vcc, s1, v3
	v_cndmask_b32_e32 v2, 0, v2, vcc
	v_cmp_nlt_f32_e32 vcc, s0, v3
	v_cndmask_b32_e32 v22, v51, v2, vcc
	v_max_f32_e32 v2, v23, v23
	v_max_f32_e32 v3, v7, v7
	v_max_f32_e32 v31, v3, v2
	v_sub_f32_e32 v2, v7, v31
	v_mul_f32_e32 v3, 0x3fb8aa3b, v2
	v_fma_f32 v4, v2, s6, -v3
	v_rndne_f32_e32 v5, v3
	v_fmac_f32_e32 v4, 0x32a5705f, v2
	v_sub_f32_e32 v3, v3, v5
	v_fmac_f32_e32 v22, v14, v1
	v_cvt_f16_f32_e32 v1, v1
	v_add_f32_e32 v3, v3, v4
	v_exp_f32_e32 v3, v3
	v_cvt_i32_f32_e32 v4, v5
	v_mul_u32_u24_e32 v1, 0x10001, v1
	v_pk_mul_f16 v39, v39, v1
	v_pk_mul_f16 v40, v40, v1
	v_ldexp_f32 v1, v3, v4
	v_sub_f32_e32 v3, v23, v31
	v_mul_f32_e32 v4, 0x3fb8aa3b, v3
	v_fma_f32 v5, v3, s6, -v4
	v_rndne_f32_e32 v6, v4
	v_fmac_f32_e32 v5, 0x32a5705f, v3
	v_sub_f32_e32 v4, v4, v6
	v_add_f32_e32 v4, v4, v5
	v_exp_f32_e32 v4, v4
	v_cvt_i32_f32_e32 v5, v6
	v_cmp_ngt_f32_e32 vcc, s1, v2
	v_cndmask_b32_e32 v1, 0, v1, vcc
	v_cmp_nlt_f32_e32 vcc, s0, v2
	v_cndmask_b32_e32 v1, v51, v1, vcc
	v_ldexp_f32 v2, v4, v5
	v_cmp_ngt_f32_e32 vcc, s1, v3
	v_cndmask_b32_e32 v2, 0, v2, vcc
	v_cmp_nlt_f32_e32 vcc, s0, v3
	v_cndmask_b32_e32 v23, v51, v2, vcc
	v_max_f32_e32 v2, v24, v24
	v_max_f32_e32 v3, v8, v8
	;; [unrolled: 1-line block ×3, first 2 shown]
	v_sub_f32_e32 v2, v8, v32
	v_mul_f32_e32 v3, 0x3fb8aa3b, v2
	v_fma_f32 v4, v2, s6, -v3
	v_rndne_f32_e32 v5, v3
	v_fmac_f32_e32 v4, 0x32a5705f, v2
	v_sub_f32_e32 v3, v3, v5
	v_fmac_f32_e32 v23, v15, v1
	v_cvt_f16_f32_e32 v1, v1
	v_add_f32_e32 v3, v3, v4
	v_exp_f32_e32 v3, v3
	v_cvt_i32_f32_e32 v4, v5
	v_mul_u32_u24_e32 v1, 0x10001, v1
	v_pk_mul_f16 v37, v37, v1
	v_pk_mul_f16 v38, v38, v1
	v_ldexp_f32 v1, v3, v4
	v_sub_f32_e32 v3, v24, v32
	v_mul_f32_e32 v4, 0x3fb8aa3b, v3
	v_fma_f32 v5, v3, s6, -v4
	v_rndne_f32_e32 v6, v4
	v_fmac_f32_e32 v5, 0x32a5705f, v3
	v_sub_f32_e32 v4, v4, v6
	v_add_f32_e32 v4, v4, v5
	v_exp_f32_e32 v4, v4
	v_cvt_i32_f32_e32 v5, v6
	v_cmp_ngt_f32_e32 vcc, s1, v2
	v_cndmask_b32_e32 v1, 0, v1, vcc
	v_cmp_nlt_f32_e32 vcc, s0, v2
	v_cndmask_b32_e32 v1, v51, v1, vcc
	v_ldexp_f32 v2, v4, v5
	v_cvt_f16_f32_e32 v4, v1
	v_cmp_ngt_f32_e32 vcc, s1, v3
	v_cndmask_b32_e32 v2, 0, v2, vcc
	v_cmp_nlt_f32_e32 vcc, s0, v3
	v_cndmask_b32_e32 v24, v51, v2, vcc
	v_fmac_f32_e32 v24, v16, v1
	v_mul_u32_u24_e32 v1, 0x10001, v4
	v_pk_mul_f16 v35, v35, v1
	v_pk_mul_f16 v36, v36, v1
	v_mov_b32_e32 v1, v25
	v_mov_b32_e32 v2, v26
	;; [unrolled: 1-line block ×16, first 2 shown]
	v_cmp_gt_i32_e32 vcc, s2, v34
	s_and_saveexec_b64 s[0:1], vcc
	s_cbranch_execnz .LBB71_79
.LBB71_9:
	s_endpgm
.LBB71_10:
                                        ; implicit-def: $vgpr10
                                        ; implicit-def: $vgpr72
                                        ; implicit-def: $vgpr74
                                        ; implicit-def: $vgpr76
                                        ; implicit-def: $vgpr73
                                        ; implicit-def: $vgpr77
                                        ; implicit-def: $vgpr75
	v_lshlrev_b32_e32 v33, 2, v0
.LBB71_11:
	s_sub_i32 s0, 0, s29
	s_mul_i32 s0, s0, s38
	s_mul_hi_u32 s0, s38, s0
	s_add_i32 s38, s38, s0
	s_load_dwordx4 s[24:27], s[4:5], 0x98
	s_load_dword s14, s[4:5], 0x54
	s_load_dwordx2 s[0:1], s[4:5], 0x8c
	s_abs_i32 s19, s28
	s_mul_hi_u32 s36, s19, s38
	s_waitcnt lgkmcnt(0)
	s_ashr_i32 s15, s26, 2
	s_ashr_i32 s26, s37, 1
	;; [unrolled: 1-line block ×4, first 2 shown]
	s_mul_hi_u32 s37, s24, s33
	s_mul_i32 s39, s24, s0
	s_add_i32 s37, s37, s39
	s_mul_i32 s25, s25, s33
	s_ashr_i32 s38, s28, 31
	s_ashr_i32 s31, s31, 31
	s_add_i32 s37, s37, s25
	s_mul_i32 s24, s24, s33
	s_add_u32 s10, s10, s24
	s_mul_i32 s25, s36, s29
	s_addc_u32 s11, s11, s37
	s_sub_i32 s19, s19, s25
	s_xor_b32 s24, s38, s31
	s_add_i32 s25, s36, 1
	s_sub_i32 s31, s19, s29
	s_cmp_ge_u32 s19, s29
	s_cselect_b32 s25, s25, s36
	s_cselect_b32 s19, s31, s19
	s_add_i32 s31, s25, 1
	s_cmp_ge_u32 s19, s29
	s_cselect_b32 s19, s31, s25
	s_load_dwordx2 s[8:9], s[4:5], 0xa8
	s_xor_b32 s19, s19, s24
	v_lshrrev_b32_e32 v6, 2, v0
	s_sub_i32 s19, s19, s24
	v_lshl_add_u32 v6, v1, 3, v6
	s_mul_i32 s1, s19, s1
	v_mul_u32_u24_e32 v8, 0x50, v6
	v_mul_lo_u32 v6, s18, v6
	s_ashr_i32 s24, s1, 31
	s_add_u32 s1, s10, s1
	s_addc_u32 s10, s11, s24
	s_waitcnt lgkmcnt(0)
	s_mul_hi_u32 s11, s8, s33
	s_mul_i32 s0, s8, s0
	v_and_b32_e32 v7, 12, v33
	s_add_i32 s0, s11, s0
	s_mul_i32 s9, s9, s33
	v_lshlrev_b32_e32 v9, 2, v7
	v_ashrrev_i32_e32 v7, 31, v6
	s_add_i32 s0, s0, s9
	s_mul_i32 s8, s8, s33
	v_lshlrev_b64 v[6:7], 2, v[6:7]
	s_add_u32 s8, s12, s8
	s_mul_i32 s19, s19, s27
	s_movk_i32 s11, 0x6000
	s_addc_u32 s0, s13, s0
	s_ashr_i32 s9, s19, 31
	v_add3_u32 v12, v8, v9, s11
	v_mov_b32_e32 v8, s10
	v_add_co_u32_e32 v6, vcc, s1, v6
	s_add_u32 s8, s8, s19
	v_addc_co_u32_e32 v7, vcc, v8, v7, vcc
	s_addc_u32 s9, s0, s9
	s_movk_i32 s0, 0x50
	v_add_co_u32_e32 v13, vcc, v6, v9
	v_mov_b32_e32 v6, 0x6000
	v_mad_u32_u24 v15, v0, s0, v6
	v_mad_u64_u32 v[9:10], s[0:1], v3, s26, v[0:1]
	v_mov_b32_e32 v3, 0x4000
	v_lshl_add_u32 v16, v1, 10, v3
	v_lshrrev_b32_e32 v3, 4, v0
	v_lshl_add_u32 v1, v1, 1, v3
	v_mul_lo_u32 v6, s15, v1
	v_addc_co_u32_e32 v14, vcc, 0, v7, vcc
	v_and_b32_e32 v3, 60, v33
	v_ashrrev_i32_e32 v7, 31, v6
	v_lshlrev_b32_e32 v3, 2, v3
	v_lshlrev_b64 v[6:7], 2, v[6:7]
	v_lshl_or_b32 v1, v1, 8, v3
	v_add_u32_e32 v17, 0x6000, v1
	v_mov_b32_e32 v1, s9
	v_add_co_u32_e32 v6, vcc, s8, v6
	v_addc_co_u32_e32 v1, vcc, v1, v7, vcc
	v_add_co_u32_e32 v18, vcc, v6, v3
	s_add_u32 s0, s4, 0xd0
	v_mov_b32_e32 v56, 0
	v_addc_co_u32_e32 v19, vcc, 0, v1, vcc
	v_or_b32_e32 v20, 0x6000, v4
	s_addc_u32 s1, s5, 0
	v_mov_b32_e32 v59, 0xfeffffff
	v_mov_b32_e32 v36, 0
	s_mov_b32 s10, 0x3f200000
	s_mov_b32 s11, 0x3fb8aa3b
	;; [unrolled: 1-line block ×4, first 2 shown]
	v_mov_b32_e32 v21, 0xbd5c1c4e
	v_mov_b32_e32 v22, 0x3e088382
	v_mov_b32_e32 v23, 0xbeaaaa99
	s_brev_b32 s19, -2
	s_mov_b32 s24, 0x10001
	v_add_u32_e32 v24, v16, v2
	v_mov_b32_e32 v25, 0x7f800000
	v_mbcnt_hi_u32_b32 v10, -1, v5
	v_mov_b32_e32 v35, 0
	v_mov_b32_e32 v38, 0
	;; [unrolled: 1-line block ×29, first 2 shown]
.LBB71_12:                              ; =>This Inner Loop Header: Depth=1
	s_mul_hi_i32 s9, s6, s18
	s_mul_i32 s8, s6, s18
	s_lshl_b64 s[8:9], s[8:9], 2
	v_mov_b32_e32 v1, s9
	v_add_co_u32_e32 v5, vcc, s8, v13
	v_addc_co_u32_e32 v6, vcc, v14, v1, vcc
	global_load_dwordx4 v[1:4], v[5:6], off
	v_mov_b32_e32 v72, 0
	v_mov_b32_e32 v69, 0
	;; [unrolled: 1-line block ×16, first 2 shown]
	s_waitcnt vmcnt(0)
	ds_write_b128 v12, v[1:4]
	s_waitcnt lgkmcnt(0)
	s_barrier
	ds_read_b128 v[1:4], v15
	ds_read_b128 v[74:77], v15 offset:2560
	ds_read_b128 v[78:81], v11
	ds_read_b128 v[82:85], v11 offset:256
	ds_read_b128 v[86:89], v11 offset:512
	;; [unrolled: 1-line block ×7, first 2 shown]
	s_waitcnt lgkmcnt(7)
	;;#ASMSTART
	v_dot2_f32_f16 v72, v1, v78, v72
	;;#ASMEND
	;;#ASMSTART
	v_dot2_f32_f16 v72, v2, v79, v72
	;;#ASMEND
	;;#ASMSTART
	v_dot2_f32_f16 v72, v3, v80, v72
	;;#ASMEND
	;;#ASMSTART
	v_dot2_f32_f16 v72, v4, v81, v72
	;;#ASMEND
	s_waitcnt lgkmcnt(6)
	;;#ASMSTART
	v_dot2_f32_f16 v69, v1, v82, v69
	;;#ASMEND
	;;#ASMSTART
	v_dot2_f32_f16 v69, v2, v83, v69
	;;#ASMEND
	;;#ASMSTART
	v_dot2_f32_f16 v69, v3, v84, v69
	;;#ASMEND
	;;#ASMSTART
	v_dot2_f32_f16 v69, v4, v85, v69
	;;#ASMEND
	;; [unrolled: 13-line block ×8, first 2 shown]
	;;#ASMSTART
	v_dot2_f32_f16 v73, v74, v78, v73
	;;#ASMEND
	;;#ASMSTART
	v_dot2_f32_f16 v73, v75, v79, v73
	;;#ASMEND
	;; [unrolled: 3-line block ×32, first 2 shown]
	ds_read_b128 v[74:77], v15 offset:16
	ds_read_b128 v[1:4], v15 offset:2576
	;; [unrolled: 1-line block ×10, first 2 shown]
	s_waitcnt lgkmcnt(7)
	;;#ASMSTART
	v_dot2_f32_f16 v72, v74, v78, v72
	;;#ASMEND
	;;#ASMSTART
	v_dot2_f32_f16 v72, v75, v79, v72
	;;#ASMEND
	;;#ASMSTART
	v_dot2_f32_f16 v72, v76, v80, v72
	;;#ASMEND
	;;#ASMSTART
	v_dot2_f32_f16 v72, v77, v81, v72
	;;#ASMEND
	s_waitcnt lgkmcnt(6)
	;;#ASMSTART
	v_dot2_f32_f16 v69, v74, v82, v69
	;;#ASMEND
	;;#ASMSTART
	v_dot2_f32_f16 v69, v75, v83, v69
	;;#ASMEND
	;;#ASMSTART
	v_dot2_f32_f16 v69, v76, v84, v69
	;;#ASMEND
	;;#ASMSTART
	v_dot2_f32_f16 v69, v77, v85, v69
	;;#ASMEND
	;; [unrolled: 13-line block ×8, first 2 shown]
	;;#ASMSTART
	v_dot2_f32_f16 v73, v1, v78, v73
	;;#ASMEND
	;;#ASMSTART
	v_dot2_f32_f16 v73, v2, v79, v73
	;;#ASMEND
	;; [unrolled: 3-line block ×32, first 2 shown]
	ds_read_b128 v[74:77], v15 offset:32
	ds_read_b128 v[1:4], v15 offset:2592
	;; [unrolled: 1-line block ×10, first 2 shown]
	s_waitcnt lgkmcnt(7)
	;;#ASMSTART
	v_dot2_f32_f16 v72, v74, v78, v72
	;;#ASMEND
	;;#ASMSTART
	v_dot2_f32_f16 v72, v75, v79, v72
	;;#ASMEND
	;;#ASMSTART
	v_dot2_f32_f16 v72, v76, v80, v72
	;;#ASMEND
	;;#ASMSTART
	v_dot2_f32_f16 v72, v77, v81, v72
	;;#ASMEND
	s_waitcnt lgkmcnt(6)
	;;#ASMSTART
	v_dot2_f32_f16 v69, v74, v82, v69
	;;#ASMEND
	;;#ASMSTART
	v_dot2_f32_f16 v69, v75, v83, v69
	;;#ASMEND
	;;#ASMSTART
	v_dot2_f32_f16 v69, v76, v84, v69
	;;#ASMEND
	;;#ASMSTART
	v_dot2_f32_f16 v69, v77, v85, v69
	;;#ASMEND
	;; [unrolled: 13-line block ×8, first 2 shown]
	;;#ASMSTART
	v_dot2_f32_f16 v73, v1, v78, v73
	;;#ASMEND
	;;#ASMSTART
	v_dot2_f32_f16 v73, v2, v79, v73
	;;#ASMEND
	;; [unrolled: 3-line block ×32, first 2 shown]
	ds_read_b128 v[74:77], v15 offset:48
	ds_read_b128 v[1:4], v15 offset:2608
	;; [unrolled: 1-line block ×10, first 2 shown]
	s_waitcnt lgkmcnt(7)
	;;#ASMSTART
	v_dot2_f32_f16 v72, v74, v78, v72
	;;#ASMEND
	;;#ASMSTART
	v_dot2_f32_f16 v72, v75, v79, v72
	;;#ASMEND
	;;#ASMSTART
	v_dot2_f32_f16 v72, v76, v80, v72
	;;#ASMEND
	;;#ASMSTART
	v_dot2_f32_f16 v72, v77, v81, v72
	;;#ASMEND
	s_waitcnt lgkmcnt(6)
	;;#ASMSTART
	v_dot2_f32_f16 v69, v74, v82, v69
	;;#ASMEND
	;;#ASMSTART
	v_dot2_f32_f16 v69, v75, v83, v69
	;;#ASMEND
	;;#ASMSTART
	v_dot2_f32_f16 v69, v76, v84, v69
	;;#ASMEND
	;;#ASMSTART
	v_dot2_f32_f16 v69, v77, v85, v69
	;;#ASMEND
	;; [unrolled: 13-line block ×8, first 2 shown]
	;;#ASMSTART
	v_dot2_f32_f16 v73, v1, v78, v73
	;;#ASMEND
	;;#ASMSTART
	v_dot2_f32_f16 v73, v2, v79, v73
	;;#ASMEND
	;; [unrolled: 3-line block ×32, first 2 shown]
	s_barrier
	global_load_dwordx4 v[1:4], v[5:6], off offset:64
	s_waitcnt vmcnt(0)
	ds_write_b128 v12, v[1:4]
	s_waitcnt lgkmcnt(0)
	s_barrier
	ds_read_b128 v[74:77], v15
	ds_read_b128 v[1:4], v15 offset:2560
	ds_read_b128 v[78:81], v11 offset:64
	;; [unrolled: 1-line block ×9, first 2 shown]
	s_waitcnt lgkmcnt(7)
	;;#ASMSTART
	v_dot2_f32_f16 v72, v74, v78, v72
	;;#ASMEND
	;;#ASMSTART
	v_dot2_f32_f16 v72, v75, v79, v72
	;;#ASMEND
	;;#ASMSTART
	v_dot2_f32_f16 v72, v76, v80, v72
	;;#ASMEND
	;;#ASMSTART
	v_dot2_f32_f16 v72, v77, v81, v72
	;;#ASMEND
	s_waitcnt lgkmcnt(6)
	;;#ASMSTART
	v_dot2_f32_f16 v69, v74, v82, v69
	;;#ASMEND
	;;#ASMSTART
	v_dot2_f32_f16 v69, v75, v83, v69
	;;#ASMEND
	;;#ASMSTART
	v_dot2_f32_f16 v69, v76, v84, v69
	;;#ASMEND
	;;#ASMSTART
	v_dot2_f32_f16 v69, v77, v85, v69
	;;#ASMEND
	;; [unrolled: 13-line block ×8, first 2 shown]
	;;#ASMSTART
	v_dot2_f32_f16 v73, v1, v78, v73
	;;#ASMEND
	;;#ASMSTART
	v_dot2_f32_f16 v73, v2, v79, v73
	;;#ASMEND
	;; [unrolled: 3-line block ×32, first 2 shown]
	ds_read_b128 v[74:77], v15 offset:16
	ds_read_b128 v[1:4], v15 offset:2576
	;; [unrolled: 1-line block ×10, first 2 shown]
	s_waitcnt lgkmcnt(7)
	;;#ASMSTART
	v_dot2_f32_f16 v72, v74, v78, v72
	;;#ASMEND
	;;#ASMSTART
	v_dot2_f32_f16 v72, v75, v79, v72
	;;#ASMEND
	;;#ASMSTART
	v_dot2_f32_f16 v72, v76, v80, v72
	;;#ASMEND
	;;#ASMSTART
	v_dot2_f32_f16 v72, v77, v81, v72
	;;#ASMEND
	s_waitcnt lgkmcnt(6)
	;;#ASMSTART
	v_dot2_f32_f16 v69, v74, v82, v69
	;;#ASMEND
	;;#ASMSTART
	v_dot2_f32_f16 v69, v75, v83, v69
	;;#ASMEND
	;;#ASMSTART
	v_dot2_f32_f16 v69, v76, v84, v69
	;;#ASMEND
	;;#ASMSTART
	v_dot2_f32_f16 v69, v77, v85, v69
	;;#ASMEND
	;; [unrolled: 13-line block ×8, first 2 shown]
	;;#ASMSTART
	v_dot2_f32_f16 v73, v1, v78, v73
	;;#ASMEND
	;;#ASMSTART
	v_dot2_f32_f16 v73, v2, v79, v73
	;;#ASMEND
	;; [unrolled: 3-line block ×32, first 2 shown]
	ds_read_b128 v[74:77], v15 offset:32
	ds_read_b128 v[1:4], v15 offset:2592
	;; [unrolled: 1-line block ×10, first 2 shown]
	s_waitcnt lgkmcnt(7)
	;;#ASMSTART
	v_dot2_f32_f16 v72, v74, v78, v72
	;;#ASMEND
	;;#ASMSTART
	v_dot2_f32_f16 v72, v75, v79, v72
	;;#ASMEND
	;;#ASMSTART
	v_dot2_f32_f16 v72, v76, v80, v72
	;;#ASMEND
	;;#ASMSTART
	v_dot2_f32_f16 v72, v77, v81, v72
	;;#ASMEND
	s_waitcnt lgkmcnt(6)
	;;#ASMSTART
	v_dot2_f32_f16 v69, v74, v82, v69
	;;#ASMEND
	;;#ASMSTART
	v_dot2_f32_f16 v69, v75, v83, v69
	;;#ASMEND
	;;#ASMSTART
	v_dot2_f32_f16 v69, v76, v84, v69
	;;#ASMEND
	;;#ASMSTART
	v_dot2_f32_f16 v69, v77, v85, v69
	;;#ASMEND
	;; [unrolled: 13-line block ×8, first 2 shown]
	;;#ASMSTART
	v_dot2_f32_f16 v73, v1, v78, v73
	;;#ASMEND
	;;#ASMSTART
	v_dot2_f32_f16 v73, v2, v79, v73
	;;#ASMEND
	;; [unrolled: 3-line block ×32, first 2 shown]
	ds_read_b128 v[74:77], v15 offset:48
	ds_read_b128 v[1:4], v15 offset:2608
	;; [unrolled: 1-line block ×10, first 2 shown]
	s_waitcnt lgkmcnt(7)
	;;#ASMSTART
	v_dot2_f32_f16 v72, v74, v78, v72
	;;#ASMEND
	;;#ASMSTART
	v_dot2_f32_f16 v72, v75, v79, v72
	;;#ASMEND
	;;#ASMSTART
	v_dot2_f32_f16 v72, v76, v80, v72
	;;#ASMEND
	;;#ASMSTART
	v_dot2_f32_f16 v72, v77, v81, v72
	;;#ASMEND
	s_waitcnt lgkmcnt(6)
	;;#ASMSTART
	v_dot2_f32_f16 v69, v74, v82, v69
	;;#ASMEND
	;;#ASMSTART
	v_dot2_f32_f16 v69, v75, v83, v69
	;;#ASMEND
	;;#ASMSTART
	v_dot2_f32_f16 v69, v76, v84, v69
	;;#ASMEND
	;;#ASMSTART
	v_dot2_f32_f16 v69, v77, v85, v69
	;;#ASMEND
	;; [unrolled: 13-line block ×8, first 2 shown]
	;;#ASMSTART
	v_dot2_f32_f16 v73, v1, v78, v73
	;;#ASMEND
	;;#ASMSTART
	v_dot2_f32_f16 v73, v2, v79, v73
	;;#ASMEND
	;; [unrolled: 3-line block ×32, first 2 shown]
	s_barrier
	global_load_dwordx4 v[1:4], v[5:6], off offset:128
	s_waitcnt vmcnt(0)
	ds_write_b128 v12, v[1:4]
	s_waitcnt lgkmcnt(0)
	s_barrier
	ds_read_b128 v[74:77], v15
	ds_read_b128 v[1:4], v15 offset:2560
	ds_read_b128 v[78:81], v11 offset:128
	;; [unrolled: 1-line block ×9, first 2 shown]
	s_waitcnt lgkmcnt(7)
	;;#ASMSTART
	v_dot2_f32_f16 v72, v74, v78, v72
	;;#ASMEND
	;;#ASMSTART
	v_dot2_f32_f16 v72, v75, v79, v72
	;;#ASMEND
	;;#ASMSTART
	v_dot2_f32_f16 v72, v76, v80, v72
	;;#ASMEND
	;;#ASMSTART
	v_dot2_f32_f16 v72, v77, v81, v72
	;;#ASMEND
	s_waitcnt lgkmcnt(6)
	;;#ASMSTART
	v_dot2_f32_f16 v69, v74, v82, v69
	;;#ASMEND
	;;#ASMSTART
	v_dot2_f32_f16 v69, v75, v83, v69
	;;#ASMEND
	;;#ASMSTART
	v_dot2_f32_f16 v69, v76, v84, v69
	;;#ASMEND
	;;#ASMSTART
	v_dot2_f32_f16 v69, v77, v85, v69
	;;#ASMEND
	;; [unrolled: 13-line block ×8, first 2 shown]
	;;#ASMSTART
	v_dot2_f32_f16 v73, v1, v78, v73
	;;#ASMEND
	;;#ASMSTART
	v_dot2_f32_f16 v73, v2, v79, v73
	;;#ASMEND
	;; [unrolled: 3-line block ×32, first 2 shown]
	ds_read_b128 v[74:77], v15 offset:16
	ds_read_b128 v[1:4], v15 offset:2576
	;; [unrolled: 1-line block ×10, first 2 shown]
	s_waitcnt lgkmcnt(7)
	;;#ASMSTART
	v_dot2_f32_f16 v72, v74, v78, v72
	;;#ASMEND
	;;#ASMSTART
	v_dot2_f32_f16 v72, v75, v79, v72
	;;#ASMEND
	;;#ASMSTART
	v_dot2_f32_f16 v72, v76, v80, v72
	;;#ASMEND
	;;#ASMSTART
	v_dot2_f32_f16 v72, v77, v81, v72
	;;#ASMEND
	s_waitcnt lgkmcnt(6)
	;;#ASMSTART
	v_dot2_f32_f16 v69, v74, v82, v69
	;;#ASMEND
	;;#ASMSTART
	v_dot2_f32_f16 v69, v75, v83, v69
	;;#ASMEND
	;;#ASMSTART
	v_dot2_f32_f16 v69, v76, v84, v69
	;;#ASMEND
	;;#ASMSTART
	v_dot2_f32_f16 v69, v77, v85, v69
	;;#ASMEND
	;; [unrolled: 13-line block ×8, first 2 shown]
	;;#ASMSTART
	v_dot2_f32_f16 v73, v1, v78, v73
	;;#ASMEND
	;;#ASMSTART
	v_dot2_f32_f16 v73, v2, v79, v73
	;;#ASMEND
	;; [unrolled: 3-line block ×32, first 2 shown]
	ds_read_b128 v[74:77], v15 offset:32
	ds_read_b128 v[1:4], v15 offset:2592
	;; [unrolled: 1-line block ×10, first 2 shown]
	s_waitcnt lgkmcnt(7)
	;;#ASMSTART
	v_dot2_f32_f16 v72, v74, v78, v72
	;;#ASMEND
	;;#ASMSTART
	v_dot2_f32_f16 v72, v75, v79, v72
	;;#ASMEND
	;;#ASMSTART
	v_dot2_f32_f16 v72, v76, v80, v72
	;;#ASMEND
	;;#ASMSTART
	v_dot2_f32_f16 v72, v77, v81, v72
	;;#ASMEND
	s_waitcnt lgkmcnt(6)
	;;#ASMSTART
	v_dot2_f32_f16 v69, v74, v82, v69
	;;#ASMEND
	;;#ASMSTART
	v_dot2_f32_f16 v69, v75, v83, v69
	;;#ASMEND
	;;#ASMSTART
	v_dot2_f32_f16 v69, v76, v84, v69
	;;#ASMEND
	;;#ASMSTART
	v_dot2_f32_f16 v69, v77, v85, v69
	;;#ASMEND
	;; [unrolled: 13-line block ×8, first 2 shown]
	;;#ASMSTART
	v_dot2_f32_f16 v73, v1, v78, v73
	;;#ASMEND
	;;#ASMSTART
	v_dot2_f32_f16 v73, v2, v79, v73
	;;#ASMEND
	;;#ASMSTART
	v_dot2_f32_f16 v73, v3, v80, v73
	;;#ASMEND
	;;#ASMSTART
	v_dot2_f32_f16 v73, v4, v81, v73
	;;#ASMEND
	;;#ASMSTART
	v_dot2_f32_f16 v71, v1, v82, v71
	;;#ASMEND
	;;#ASMSTART
	v_dot2_f32_f16 v71, v2, v83, v71
	;;#ASMEND
	;;#ASMSTART
	v_dot2_f32_f16 v71, v3, v84, v71
	;;#ASMEND
	;;#ASMSTART
	v_dot2_f32_f16 v71, v4, v85, v71
	;;#ASMEND
	;;#ASMSTART
	v_dot2_f32_f16 v70, v1, v86, v70
	;;#ASMEND
	;;#ASMSTART
	v_dot2_f32_f16 v70, v2, v87, v70
	;;#ASMEND
	;;#ASMSTART
	v_dot2_f32_f16 v70, v3, v88, v70
	;;#ASMEND
	;;#ASMSTART
	v_dot2_f32_f16 v70, v4, v89, v70
	;;#ASMEND
	;;#ASMSTART
	v_dot2_f32_f16 v68, v1, v90, v68
	;;#ASMEND
	;;#ASMSTART
	v_dot2_f32_f16 v68, v2, v91, v68
	;;#ASMEND
	;;#ASMSTART
	v_dot2_f32_f16 v68, v3, v92, v68
	;;#ASMEND
	;;#ASMSTART
	v_dot2_f32_f16 v68, v4, v93, v68
	;;#ASMEND
	;;#ASMSTART
	v_dot2_f32_f16 v66, v1, v94, v66
	;;#ASMEND
	;;#ASMSTART
	v_dot2_f32_f16 v66, v2, v95, v66
	;;#ASMEND
	;;#ASMSTART
	v_dot2_f32_f16 v66, v3, v96, v66
	;;#ASMEND
	;;#ASMSTART
	v_dot2_f32_f16 v66, v4, v97, v66
	;;#ASMEND
	;;#ASMSTART
	v_dot2_f32_f16 v63, v1, v98, v63
	;;#ASMEND
	;;#ASMSTART
	v_dot2_f32_f16 v63, v2, v99, v63
	;;#ASMEND
	;;#ASMSTART
	v_dot2_f32_f16 v63, v3, v100, v63
	;;#ASMEND
	;;#ASMSTART
	v_dot2_f32_f16 v63, v4, v101, v63
	;;#ASMEND
	;;#ASMSTART
	v_dot2_f32_f16 v61, v1, v102, v61
	;;#ASMEND
	;;#ASMSTART
	v_dot2_f32_f16 v61, v2, v103, v61
	;;#ASMEND
	;;#ASMSTART
	v_dot2_f32_f16 v61, v3, v104, v61
	;;#ASMEND
	;;#ASMSTART
	v_dot2_f32_f16 v61, v4, v105, v61
	;;#ASMEND
	;;#ASMSTART
	v_dot2_f32_f16 v8, v1, v106, v8
	;;#ASMEND
	;;#ASMSTART
	v_dot2_f32_f16 v8, v2, v107, v8
	;;#ASMEND
	;;#ASMSTART
	v_dot2_f32_f16 v8, v3, v108, v8
	;;#ASMEND
	;;#ASMSTART
	v_dot2_f32_f16 v8, v4, v109, v8
	;;#ASMEND
	ds_read_b128 v[74:77], v15 offset:48
	ds_read_b128 v[1:4], v15 offset:2608
	;; [unrolled: 1-line block ×10, first 2 shown]
	s_waitcnt lgkmcnt(7)
	;;#ASMSTART
	v_dot2_f32_f16 v72, v74, v78, v72
	;;#ASMEND
	;;#ASMSTART
	v_dot2_f32_f16 v72, v75, v79, v72
	;;#ASMEND
	;;#ASMSTART
	v_dot2_f32_f16 v72, v76, v80, v72
	;;#ASMEND
	;;#ASMSTART
	v_dot2_f32_f16 v72, v77, v81, v72
	;;#ASMEND
	s_waitcnt lgkmcnt(6)
	;;#ASMSTART
	v_dot2_f32_f16 v69, v74, v82, v69
	;;#ASMEND
	;;#ASMSTART
	v_dot2_f32_f16 v69, v75, v83, v69
	;;#ASMEND
	;;#ASMSTART
	v_dot2_f32_f16 v69, v76, v84, v69
	;;#ASMEND
	;;#ASMSTART
	v_dot2_f32_f16 v69, v77, v85, v69
	;;#ASMEND
	;; [unrolled: 13-line block ×8, first 2 shown]
	;;#ASMSTART
	v_dot2_f32_f16 v73, v1, v78, v73
	;;#ASMEND
	;;#ASMSTART
	v_dot2_f32_f16 v73, v2, v79, v73
	;;#ASMEND
	;; [unrolled: 3-line block ×32, first 2 shown]
	s_barrier
	global_load_dwordx4 v[1:4], v[5:6], off offset:192
	s_waitcnt vmcnt(0)
	ds_write_b128 v12, v[1:4]
	s_waitcnt lgkmcnt(0)
	s_barrier
	ds_read_b128 v[74:77], v15
	ds_read_b128 v[1:4], v15 offset:2560
	ds_read_b128 v[78:81], v11 offset:192
	;; [unrolled: 1-line block ×9, first 2 shown]
	s_waitcnt lgkmcnt(7)
	;;#ASMSTART
	v_dot2_f32_f16 v72, v74, v78, v72
	;;#ASMEND
	;;#ASMSTART
	v_dot2_f32_f16 v72, v75, v79, v72
	;;#ASMEND
	;;#ASMSTART
	v_dot2_f32_f16 v72, v76, v80, v72
	;;#ASMEND
	;;#ASMSTART
	v_dot2_f32_f16 v72, v77, v81, v72
	;;#ASMEND
	s_waitcnt lgkmcnt(6)
	;;#ASMSTART
	v_dot2_f32_f16 v69, v74, v82, v69
	;;#ASMEND
	;;#ASMSTART
	v_dot2_f32_f16 v69, v75, v83, v69
	;;#ASMEND
	;;#ASMSTART
	v_dot2_f32_f16 v69, v76, v84, v69
	;;#ASMEND
	;;#ASMSTART
	v_dot2_f32_f16 v69, v77, v85, v69
	;;#ASMEND
	s_waitcnt lgkmcnt(5)
	;;#ASMSTART
	v_dot2_f32_f16 v67, v74, v86, v67
	;;#ASMEND
	;;#ASMSTART
	v_dot2_f32_f16 v67, v75, v87, v67
	;;#ASMEND
	;;#ASMSTART
	v_dot2_f32_f16 v67, v76, v88, v67
	;;#ASMEND
	;;#ASMSTART
	v_dot2_f32_f16 v67, v77, v89, v67
	;;#ASMEND
	s_waitcnt lgkmcnt(4)
	;;#ASMSTART
	v_dot2_f32_f16 v65, v74, v90, v65
	;;#ASMEND
	;;#ASMSTART
	v_dot2_f32_f16 v65, v75, v91, v65
	;;#ASMEND
	;;#ASMSTART
	v_dot2_f32_f16 v65, v76, v92, v65
	;;#ASMEND
	;;#ASMSTART
	v_dot2_f32_f16 v65, v77, v93, v65
	;;#ASMEND
	s_waitcnt lgkmcnt(3)
	;;#ASMSTART
	v_dot2_f32_f16 v64, v74, v94, v64
	;;#ASMEND
	;;#ASMSTART
	v_dot2_f32_f16 v64, v75, v95, v64
	;;#ASMEND
	;;#ASMSTART
	v_dot2_f32_f16 v64, v76, v96, v64
	;;#ASMEND
	;;#ASMSTART
	v_dot2_f32_f16 v64, v77, v97, v64
	;;#ASMEND
	s_waitcnt lgkmcnt(2)
	;;#ASMSTART
	v_dot2_f32_f16 v62, v74, v98, v62
	;;#ASMEND
	;;#ASMSTART
	v_dot2_f32_f16 v62, v75, v99, v62
	;;#ASMEND
	;;#ASMSTART
	v_dot2_f32_f16 v62, v76, v100, v62
	;;#ASMEND
	;;#ASMSTART
	v_dot2_f32_f16 v62, v77, v101, v62
	;;#ASMEND
	s_waitcnt lgkmcnt(1)
	;;#ASMSTART
	v_dot2_f32_f16 v60, v74, v102, v60
	;;#ASMEND
	;;#ASMSTART
	v_dot2_f32_f16 v60, v75, v103, v60
	;;#ASMEND
	;;#ASMSTART
	v_dot2_f32_f16 v60, v76, v104, v60
	;;#ASMEND
	;;#ASMSTART
	v_dot2_f32_f16 v60, v77, v105, v60
	;;#ASMEND
	s_waitcnt lgkmcnt(0)
	;;#ASMSTART
	v_dot2_f32_f16 v7, v74, v106, v7
	;;#ASMEND
	;;#ASMSTART
	v_dot2_f32_f16 v7, v75, v107, v7
	;;#ASMEND
	;;#ASMSTART
	v_dot2_f32_f16 v7, v76, v108, v7
	;;#ASMEND
	;;#ASMSTART
	v_dot2_f32_f16 v7, v77, v109, v7
	;;#ASMEND
	;;#ASMSTART
	v_dot2_f32_f16 v73, v1, v78, v73
	;;#ASMEND
	;;#ASMSTART
	v_dot2_f32_f16 v73, v2, v79, v73
	;;#ASMEND
	;; [unrolled: 3-line block ×32, first 2 shown]
	ds_read_b128 v[74:77], v15 offset:16
	ds_read_b128 v[1:4], v15 offset:2576
	;; [unrolled: 1-line block ×10, first 2 shown]
	s_waitcnt lgkmcnt(7)
	;;#ASMSTART
	v_dot2_f32_f16 v72, v74, v78, v72
	;;#ASMEND
	;;#ASMSTART
	v_dot2_f32_f16 v72, v75, v79, v72
	;;#ASMEND
	;;#ASMSTART
	v_dot2_f32_f16 v72, v76, v80, v72
	;;#ASMEND
	;;#ASMSTART
	v_dot2_f32_f16 v72, v77, v81, v72
	;;#ASMEND
	s_waitcnt lgkmcnt(6)
	;;#ASMSTART
	v_dot2_f32_f16 v69, v74, v82, v69
	;;#ASMEND
	;;#ASMSTART
	v_dot2_f32_f16 v69, v75, v83, v69
	;;#ASMEND
	;;#ASMSTART
	v_dot2_f32_f16 v69, v76, v84, v69
	;;#ASMEND
	;;#ASMSTART
	v_dot2_f32_f16 v69, v77, v85, v69
	;;#ASMEND
	;; [unrolled: 13-line block ×8, first 2 shown]
	;;#ASMSTART
	v_dot2_f32_f16 v73, v1, v78, v73
	;;#ASMEND
	;;#ASMSTART
	v_dot2_f32_f16 v73, v2, v79, v73
	;;#ASMEND
	;; [unrolled: 3-line block ×32, first 2 shown]
	ds_read_b128 v[74:77], v15 offset:32
	ds_read_b128 v[1:4], v15 offset:2592
	;; [unrolled: 1-line block ×10, first 2 shown]
	s_waitcnt lgkmcnt(7)
	;;#ASMSTART
	v_dot2_f32_f16 v72, v74, v78, v72
	;;#ASMEND
	;;#ASMSTART
	v_dot2_f32_f16 v72, v75, v79, v72
	;;#ASMEND
	;;#ASMSTART
	v_dot2_f32_f16 v72, v76, v80, v72
	;;#ASMEND
	;;#ASMSTART
	v_dot2_f32_f16 v72, v77, v81, v72
	;;#ASMEND
	s_waitcnt lgkmcnt(6)
	;;#ASMSTART
	v_dot2_f32_f16 v69, v74, v82, v69
	;;#ASMEND
	;;#ASMSTART
	v_dot2_f32_f16 v69, v75, v83, v69
	;;#ASMEND
	;;#ASMSTART
	v_dot2_f32_f16 v69, v76, v84, v69
	;;#ASMEND
	;;#ASMSTART
	v_dot2_f32_f16 v69, v77, v85, v69
	;;#ASMEND
	;; [unrolled: 13-line block ×8, first 2 shown]
	;;#ASMSTART
	v_dot2_f32_f16 v73, v1, v78, v73
	;;#ASMEND
	;;#ASMSTART
	v_dot2_f32_f16 v73, v2, v79, v73
	;;#ASMEND
	;; [unrolled: 3-line block ×32, first 2 shown]
	ds_read_b128 v[74:77], v15 offset:48
	ds_read_b128 v[1:4], v15 offset:2608
	;; [unrolled: 1-line block ×10, first 2 shown]
	s_waitcnt lgkmcnt(7)
	;;#ASMSTART
	v_dot2_f32_f16 v72, v74, v78, v72
	;;#ASMEND
	;;#ASMSTART
	v_dot2_f32_f16 v72, v75, v79, v72
	;;#ASMEND
	;;#ASMSTART
	v_dot2_f32_f16 v72, v76, v80, v72
	;;#ASMEND
	;;#ASMSTART
	v_dot2_f32_f16 v72, v77, v81, v72
	;;#ASMEND
	s_waitcnt lgkmcnt(6)
	;;#ASMSTART
	v_dot2_f32_f16 v69, v74, v82, v69
	;;#ASMEND
	;;#ASMSTART
	v_dot2_f32_f16 v69, v75, v83, v69
	;;#ASMEND
	;;#ASMSTART
	v_dot2_f32_f16 v69, v76, v84, v69
	;;#ASMEND
	;;#ASMSTART
	v_dot2_f32_f16 v69, v77, v85, v69
	;;#ASMEND
	;; [unrolled: 13-line block ×8, first 2 shown]
	;;#ASMSTART
	v_dot2_f32_f16 v73, v1, v78, v73
	;;#ASMEND
	;;#ASMSTART
	v_dot2_f32_f16 v73, v2, v79, v73
	;;#ASMEND
	;; [unrolled: 3-line block ×31, first 2 shown]
	v_cmp_nlt_f32_e64 s[8:9], |v72|, s10
	;;#ASMSTART
	v_dot2_f32_f16 v8, v4, v109, v8
	;;#ASMEND
                                        ; implicit-def: $vgpr3
	s_and_saveexec_b64 s[26:27], s[8:9]
	s_xor_b64 s[8:9], exec, s[26:27]
	s_cbranch_execz .LBB71_14
; %bb.13:                               ;   in Loop: Header=BB71_12 Depth=1
	v_add_f32_e64 v1, |v72|, |v72|
	v_mul_f32_e32 v2, 0x3fb8aa3b, v1
	v_rndne_f32_e32 v3, v2
	v_sub_f32_e32 v4, v2, v3
	v_fma_f32 v2, v1, s11, -v2
	v_fmac_f32_e32 v2, 0x32a5705f, v1
	v_add_f32_e32 v2, v4, v2
	v_cvt_i32_f32_e32 v3, v3
	v_exp_f32_e32 v2, v2
	v_cmp_ngt_f32_e32 vcc, s12, v1
	v_ldexp_f32 v2, v2, v3
	v_cndmask_b32_e32 v2, 0, v2, vcc
	v_cmp_nlt_f32_e32 vcc, s13, v1
	v_cndmask_b32_e32 v1, v25, v2, vcc
	v_add_f32_e32 v1, 1.0, v1
	v_rcp_f32_e32 v1, v1
	v_fma_f32 v3, v1, -2.0, 1.0
.LBB71_14:                              ;   in Loop: Header=BB71_12 Depth=1
	s_andn2_saveexec_b64 s[8:9], s[8:9]
; %bb.15:                               ;   in Loop: Header=BB71_12 Depth=1
	v_mul_f32_e32 v1, v72, v72
	v_mov_b32_e32 v2, 0x3ca908c9
	v_fmac_f32_e32 v2, 0xbbbac73d, v1
	v_fma_f32 v2, v1, v2, v21
	v_fma_f32 v2, v1, v2, v22
	;; [unrolled: 1-line block ×3, first 2 shown]
	v_mul_f32_e64 v2, |v72|, v2
	v_fma_f32 v3, v1, v2, |v72|
; %bb.16:                               ;   in Loop: Header=BB71_12 Depth=1
	s_or_b64 exec, exec, s[8:9]
	v_add_u32_e32 v1, s6, v9
	v_ashrrev_i32_e32 v2, 31, v1
	v_lshlrev_b64 v[1:2], 1, v[1:2]
	v_mov_b32_e32 v4, s35
	v_add_co_u32_e32 v1, vcc, s34, v1
	v_addc_co_u32_e32 v2, vcc, v4, v2, vcc
	global_load_ushort v4, v[1:2], off
	v_cmp_nlt_f32_e64 s[8:9], |v73|, s10
                                        ; implicit-def: $vgpr6
	s_and_saveexec_b64 s[26:27], s[8:9]
	s_xor_b64 s[8:9], exec, s[26:27]
	s_cbranch_execz .LBB71_18
; %bb.17:                               ;   in Loop: Header=BB71_12 Depth=1
	v_add_f32_e64 v5, |v73|, |v73|
	v_mul_f32_e32 v6, 0x3fb8aa3b, v5
	v_rndne_f32_e32 v74, v6
	v_sub_f32_e32 v75, v6, v74
	v_fma_f32 v6, v5, s11, -v6
	v_fmac_f32_e32 v6, 0x32a5705f, v5
	v_add_f32_e32 v6, v75, v6
	v_cvt_i32_f32_e32 v74, v74
	v_exp_f32_e32 v6, v6
	v_cmp_ngt_f32_e32 vcc, s12, v5
	v_ldexp_f32 v6, v6, v74
	v_cndmask_b32_e32 v6, 0, v6, vcc
	v_cmp_nlt_f32_e32 vcc, s13, v5
	v_cndmask_b32_e32 v5, v25, v6, vcc
	v_add_f32_e32 v5, 1.0, v5
	v_rcp_f32_e32 v5, v5
	v_fma_f32 v6, v5, -2.0, 1.0
.LBB71_18:                              ;   in Loop: Header=BB71_12 Depth=1
	s_andn2_saveexec_b64 s[8:9], s[8:9]
; %bb.19:                               ;   in Loop: Header=BB71_12 Depth=1
	v_mul_f32_e32 v5, v73, v73
	v_mov_b32_e32 v6, 0x3ca908c9
	v_fmac_f32_e32 v6, 0xbbbac73d, v5
	v_fma_f32 v6, v5, v6, v21
	v_fma_f32 v6, v5, v6, v22
	v_fma_f32 v6, v5, v6, v23
	v_mul_f32_e64 v6, |v73|, v6
	v_fma_f32 v6, v5, v6, |v73|
; %bb.20:                               ;   in Loop: Header=BB71_12 Depth=1
	s_or_b64 exec, exec, s[8:9]
	global_load_ushort v5, v[1:2], off offset:64
	v_bfi_b32 v1, s19, v3, v72
	s_waitcnt vmcnt(1)
	v_fma_mix_f32 v81, s14, v1, v4 op_sel_hi:[0,0,1]
	v_and_b32_e32 v1, 0x60, v10
	v_add_u32_e32 v72, 32, v1
	v_xor_b32_e32 v74, 16, v10
	v_bfi_b32 v3, s19, v6, v73
	v_cmp_lt_i32_e32 vcc, v74, v72
	v_add_f32_e32 v2, 0x40051340, v81
	v_cndmask_b32_e32 v1, v10, v74, vcc
	v_lshlrev_b32_e32 v1, 2, v1
	v_xor_b32_e32 v76, 8, v10
	v_cmp_lt_i32_e32 vcc, v76, v72
	v_xor_b32_e32 v73, 4, v10
	v_xor_b32_e32 v77, 2, v10
	v_cmp_nlt_f32_e64 s[8:9], |v69|, s10
	s_waitcnt vmcnt(0)
	v_fma_mix_f32 v80, s14, v3, v5 op_sel_hi:[0,0,1]
	v_add_f32_e32 v3, 0x40051340, v80
	v_max3_f32 v3, v59, v2, v3
	ds_bpermute_b32 v6, v1, v3
	v_cndmask_b32_e32 v2, v10, v76, vcc
	v_lshlrev_b32_e32 v2, 2, v2
	v_cmp_lt_i32_e32 vcc, v73, v72
	s_waitcnt lgkmcnt(0)
	v_max_f32_e32 v6, v6, v6
	v_max_f32_e32 v6, v3, v6
	ds_bpermute_b32 v75, v2, v6
	v_cndmask_b32_e32 v3, v10, v73, vcc
	v_lshlrev_b32_e32 v3, 2, v3
	v_cmp_lt_i32_e32 vcc, v77, v72
	v_cndmask_b32_e32 v78, v10, v77, vcc
	s_waitcnt lgkmcnt(0)
	v_max_f32_e32 v75, v75, v75
	v_max_f32_e32 v6, v6, v75
	ds_bpermute_b32 v75, v3, v6
	v_lshlrev_b32_e32 v83, 2, v78
	s_waitcnt lgkmcnt(0)
	v_max_f32_e32 v75, v75, v75
	v_max_f32_e32 v6, v6, v75
	ds_bpermute_b32 v78, v83, v6
	v_xor_b32_e32 v75, 1, v10
	v_cmp_lt_i32_e32 vcc, v75, v72
	v_cndmask_b32_e32 v79, v10, v75, vcc
	v_lshlrev_b32_e32 v84, 2, v79
	s_waitcnt lgkmcnt(0)
	v_max_f32_e32 v78, v78, v78
	v_max_f32_e32 v82, v6, v78
	ds_bpermute_b32 v85, v84, v82
                                        ; implicit-def: $vgpr6
	s_and_saveexec_b64 s[26:27], s[8:9]
	s_xor_b64 s[8:9], exec, s[26:27]
	s_cbranch_execz .LBB71_22
; %bb.21:                               ;   in Loop: Header=BB71_12 Depth=1
	v_add_f32_e64 v6, |v69|, |v69|
	v_mul_f32_e32 v78, 0x3fb8aa3b, v6
	v_rndne_f32_e32 v79, v78
	v_sub_f32_e32 v86, v78, v79
	v_fma_f32 v78, v6, s11, -v78
	v_fmac_f32_e32 v78, 0x32a5705f, v6
	v_add_f32_e32 v78, v86, v78
	v_cvt_i32_f32_e32 v79, v79
	v_exp_f32_e32 v78, v78
	v_cmp_ngt_f32_e32 vcc, s12, v6
	v_ldexp_f32 v78, v78, v79
	v_cndmask_b32_e32 v78, 0, v78, vcc
	v_cmp_nlt_f32_e32 vcc, s13, v6
	v_cndmask_b32_e32 v6, v25, v78, vcc
	v_add_f32_e32 v6, 1.0, v6
	v_rcp_f32_e32 v6, v6
	v_fma_f32 v6, v6, -2.0, 1.0
.LBB71_22:                              ;   in Loop: Header=BB71_12 Depth=1
	s_andn2_saveexec_b64 s[8:9], s[8:9]
; %bb.23:                               ;   in Loop: Header=BB71_12 Depth=1
	v_mul_f32_e32 v6, v69, v69
	v_mov_b32_e32 v78, 0x3ca908c9
	v_fmac_f32_e32 v78, 0xbbbac73d, v6
	v_fma_f32 v78, v6, v78, v21
	v_fma_f32 v78, v6, v78, v22
	v_fma_f32 v78, v6, v78, v23
	v_mul_f32_e64 v78, |v69|, v78
	v_fma_f32 v6, v6, v78, |v69|
; %bb.24:                               ;   in Loop: Header=BB71_12 Depth=1
	s_or_b64 exec, exec, s[8:9]
	v_cmp_nlt_f32_e64 s[8:9], |v71|, s10
                                        ; implicit-def: $vgpr86
	s_and_saveexec_b64 s[26:27], s[8:9]
	s_xor_b64 s[8:9], exec, s[26:27]
	s_cbranch_execz .LBB71_26
; %bb.25:                               ;   in Loop: Header=BB71_12 Depth=1
	v_add_f32_e64 v78, |v71|, |v71|
	v_mul_f32_e32 v79, 0x3fb8aa3b, v78
	v_rndne_f32_e32 v86, v79
	v_sub_f32_e32 v87, v79, v86
	v_fma_f32 v79, v78, s11, -v79
	v_fmac_f32_e32 v79, 0x32a5705f, v78
	v_add_f32_e32 v79, v87, v79
	v_cvt_i32_f32_e32 v86, v86
	v_exp_f32_e32 v79, v79
	v_cmp_ngt_f32_e32 vcc, s12, v78
	v_ldexp_f32 v79, v79, v86
	v_cndmask_b32_e32 v79, 0, v79, vcc
	v_cmp_nlt_f32_e32 vcc, s13, v78
	v_cndmask_b32_e32 v78, v25, v79, vcc
	v_add_f32_e32 v78, 1.0, v78
	v_rcp_f32_e32 v78, v78
	v_fma_f32 v86, v78, -2.0, 1.0
.LBB71_26:                              ;   in Loop: Header=BB71_12 Depth=1
	s_andn2_saveexec_b64 s[8:9], s[8:9]
; %bb.27:                               ;   in Loop: Header=BB71_12 Depth=1
	v_mul_f32_e32 v78, v71, v71
	v_mov_b32_e32 v79, 0x3ca908c9
	v_fmac_f32_e32 v79, 0xbbbac73d, v78
	v_fma_f32 v79, v78, v79, v21
	v_fma_f32 v79, v78, v79, v22
	v_fma_f32 v79, v78, v79, v23
	v_mul_f32_e64 v79, |v71|, v79
	v_fma_f32 v86, v78, v79, |v71|
; %bb.28:                               ;   in Loop: Header=BB71_12 Depth=1
	s_or_b64 exec, exec, s[8:9]
	v_cvt_f32_f16_e32 v79, v4
	v_cvt_f32_f16_e32 v78, v5
	v_bfi_b32 v4, s19, v6, v69
	v_bfi_b32 v5, s19, v86, v71
	v_fma_f32 v71, s14, v4, v79
	v_fma_f32 v69, s14, v5, v78
	v_add_f32_e32 v4, 0x40051340, v71
	v_add_f32_e32 v5, 0x40051340, v69
	v_max3_f32 v4, v58, v4, v5
	ds_bpermute_b32 v5, v1, v4
	v_cmp_nlt_f32_e64 s[8:9], |v67|, s10
	s_waitcnt lgkmcnt(0)
	v_max_f32_e32 v5, v5, v5
	v_max_f32_e32 v4, v4, v5
	ds_bpermute_b32 v5, v2, v4
	s_waitcnt lgkmcnt(0)
	v_max_f32_e32 v5, v5, v5
	v_max_f32_e32 v4, v4, v5
	ds_bpermute_b32 v5, v3, v4
	;; [unrolled: 4-line block ×4, first 2 shown]
                                        ; implicit-def: $vgpr4
	s_and_saveexec_b64 s[26:27], s[8:9]
	s_xor_b64 s[8:9], exec, s[26:27]
	s_cbranch_execz .LBB71_30
; %bb.29:                               ;   in Loop: Header=BB71_12 Depth=1
	v_add_f32_e64 v4, |v67|, |v67|
	v_mul_f32_e32 v5, 0x3fb8aa3b, v4
	v_rndne_f32_e32 v6, v5
	v_sub_f32_e32 v86, v5, v6
	v_fma_f32 v5, v4, s11, -v5
	v_fmac_f32_e32 v5, 0x32a5705f, v4
	v_add_f32_e32 v5, v86, v5
	v_cvt_i32_f32_e32 v6, v6
	v_exp_f32_e32 v5, v5
	v_cmp_ngt_f32_e32 vcc, s12, v4
	v_ldexp_f32 v5, v5, v6
	v_cndmask_b32_e32 v5, 0, v5, vcc
	v_cmp_nlt_f32_e32 vcc, s13, v4
	v_cndmask_b32_e32 v4, v25, v5, vcc
	v_add_f32_e32 v4, 1.0, v4
	v_rcp_f32_e32 v4, v4
	v_fma_f32 v4, v4, -2.0, 1.0
.LBB71_30:                              ;   in Loop: Header=BB71_12 Depth=1
	s_andn2_saveexec_b64 s[8:9], s[8:9]
; %bb.31:                               ;   in Loop: Header=BB71_12 Depth=1
	v_mul_f32_e32 v4, v67, v67
	v_mov_b32_e32 v5, 0x3ca908c9
	v_fmac_f32_e32 v5, 0xbbbac73d, v4
	v_fma_f32 v5, v4, v5, v21
	v_fma_f32 v5, v4, v5, v22
	;; [unrolled: 1-line block ×3, first 2 shown]
	v_mul_f32_e64 v5, |v67|, v5
	v_fma_f32 v4, v4, v5, |v67|
; %bb.32:                               ;   in Loop: Header=BB71_12 Depth=1
	s_or_b64 exec, exec, s[8:9]
	v_cmp_nlt_f32_e64 s[8:9], |v70|, s10
                                        ; implicit-def: $vgpr5
	s_and_saveexec_b64 s[26:27], s[8:9]
	s_xor_b64 s[8:9], exec, s[26:27]
	s_cbranch_execz .LBB71_34
; %bb.33:                               ;   in Loop: Header=BB71_12 Depth=1
	v_add_f32_e64 v5, |v70|, |v70|
	v_mul_f32_e32 v6, 0x3fb8aa3b, v5
	v_rndne_f32_e32 v86, v6
	v_sub_f32_e32 v89, v6, v86
	v_fma_f32 v6, v5, s11, -v6
	v_fmac_f32_e32 v6, 0x32a5705f, v5
	v_add_f32_e32 v6, v89, v6
	v_cvt_i32_f32_e32 v86, v86
	v_exp_f32_e32 v6, v6
	v_cmp_ngt_f32_e32 vcc, s12, v5
	v_ldexp_f32 v6, v6, v86
	v_cndmask_b32_e32 v6, 0, v6, vcc
	v_cmp_nlt_f32_e32 vcc, s13, v5
	v_cndmask_b32_e32 v5, v25, v6, vcc
	v_add_f32_e32 v5, 1.0, v5
	v_rcp_f32_e32 v5, v5
	v_fma_f32 v5, v5, -2.0, 1.0
.LBB71_34:                              ;   in Loop: Header=BB71_12 Depth=1
	s_andn2_saveexec_b64 s[8:9], s[8:9]
; %bb.35:                               ;   in Loop: Header=BB71_12 Depth=1
	v_mul_f32_e32 v5, v70, v70
	v_mov_b32_e32 v6, 0x3ca908c9
	v_fmac_f32_e32 v6, 0xbbbac73d, v5
	v_fma_f32 v6, v5, v6, v21
	v_fma_f32 v6, v5, v6, v22
	v_fma_f32 v6, v5, v6, v23
	v_mul_f32_e64 v6, |v70|, v6
	v_fma_f32 v5, v5, v6, |v70|
; %bb.36:                               ;   in Loop: Header=BB71_12 Depth=1
	s_or_b64 exec, exec, s[8:9]
	v_bfi_b32 v4, s19, v4, v67
	v_bfi_b32 v5, s19, v5, v70
	v_fma_f32 v86, s14, v4, v79
	v_fma_f32 v67, s14, v5, v78
	v_add_f32_e32 v4, 0x40051340, v86
	v_add_f32_e32 v5, 0x40051340, v67
	v_max3_f32 v4, v55, v4, v5
	ds_bpermute_b32 v5, v1, v4
	v_cmp_nlt_f32_e64 s[8:9], |v65|, s10
	s_waitcnt lgkmcnt(0)
	v_max_f32_e32 v5, v5, v5
	v_max_f32_e32 v4, v4, v5
	ds_bpermute_b32 v5, v2, v4
	s_waitcnt lgkmcnt(0)
	v_max_f32_e32 v5, v5, v5
	v_max_f32_e32 v4, v4, v5
	ds_bpermute_b32 v5, v3, v4
	;; [unrolled: 4-line block ×4, first 2 shown]
                                        ; implicit-def: $vgpr4
	s_and_saveexec_b64 s[26:27], s[8:9]
	s_xor_b64 s[8:9], exec, s[26:27]
	s_cbranch_execz .LBB71_38
; %bb.37:                               ;   in Loop: Header=BB71_12 Depth=1
	v_add_f32_e64 v4, |v65|, |v65|
	v_mul_f32_e32 v5, 0x3fb8aa3b, v4
	v_rndne_f32_e32 v6, v5
	v_sub_f32_e32 v70, v5, v6
	v_fma_f32 v5, v4, s11, -v5
	v_fmac_f32_e32 v5, 0x32a5705f, v4
	v_add_f32_e32 v5, v70, v5
	v_cvt_i32_f32_e32 v6, v6
	v_exp_f32_e32 v5, v5
	v_cmp_ngt_f32_e32 vcc, s12, v4
	v_ldexp_f32 v5, v5, v6
	v_cndmask_b32_e32 v5, 0, v5, vcc
	v_cmp_nlt_f32_e32 vcc, s13, v4
	v_cndmask_b32_e32 v4, v25, v5, vcc
	v_add_f32_e32 v4, 1.0, v4
	v_rcp_f32_e32 v4, v4
	v_fma_f32 v4, v4, -2.0, 1.0
.LBB71_38:                              ;   in Loop: Header=BB71_12 Depth=1
	s_andn2_saveexec_b64 s[8:9], s[8:9]
; %bb.39:                               ;   in Loop: Header=BB71_12 Depth=1
	v_mul_f32_e32 v4, v65, v65
	v_mov_b32_e32 v5, 0x3ca908c9
	v_fmac_f32_e32 v5, 0xbbbac73d, v4
	v_fma_f32 v5, v4, v5, v21
	v_fma_f32 v5, v4, v5, v22
	;; [unrolled: 1-line block ×3, first 2 shown]
	v_mul_f32_e64 v5, |v65|, v5
	v_fma_f32 v4, v4, v5, |v65|
; %bb.40:                               ;   in Loop: Header=BB71_12 Depth=1
	s_or_b64 exec, exec, s[8:9]
	v_cmp_nlt_f32_e64 s[8:9], |v68|, s10
                                        ; implicit-def: $vgpr5
	s_and_saveexec_b64 s[26:27], s[8:9]
	s_xor_b64 s[8:9], exec, s[26:27]
	s_cbranch_execz .LBB71_42
; %bb.41:                               ;   in Loop: Header=BB71_12 Depth=1
	v_add_f32_e64 v5, |v68|, |v68|
	v_mul_f32_e32 v6, 0x3fb8aa3b, v5
	v_rndne_f32_e32 v70, v6
	v_sub_f32_e32 v89, v6, v70
	v_fma_f32 v6, v5, s11, -v6
	v_fmac_f32_e32 v6, 0x32a5705f, v5
	v_add_f32_e32 v6, v89, v6
	v_cvt_i32_f32_e32 v70, v70
	v_exp_f32_e32 v6, v6
	v_cmp_ngt_f32_e32 vcc, s12, v5
	v_ldexp_f32 v6, v6, v70
	v_cndmask_b32_e32 v6, 0, v6, vcc
	v_cmp_nlt_f32_e32 vcc, s13, v5
	v_cndmask_b32_e32 v5, v25, v6, vcc
	v_add_f32_e32 v5, 1.0, v5
	v_rcp_f32_e32 v5, v5
	v_fma_f32 v5, v5, -2.0, 1.0
.LBB71_42:                              ;   in Loop: Header=BB71_12 Depth=1
	s_andn2_saveexec_b64 s[8:9], s[8:9]
; %bb.43:                               ;   in Loop: Header=BB71_12 Depth=1
	v_mul_f32_e32 v5, v68, v68
	v_mov_b32_e32 v6, 0x3ca908c9
	v_fmac_f32_e32 v6, 0xbbbac73d, v5
	v_fma_f32 v6, v5, v6, v21
	v_fma_f32 v6, v5, v6, v22
	;; [unrolled: 1-line block ×3, first 2 shown]
	v_mul_f32_e64 v6, |v68|, v6
	v_fma_f32 v5, v5, v6, |v68|
; %bb.44:                               ;   in Loop: Header=BB71_12 Depth=1
	s_or_b64 exec, exec, s[8:9]
	v_bfi_b32 v4, s19, v4, v65
	v_bfi_b32 v5, s19, v5, v68
	v_fma_f32 v70, s14, v4, v79
	v_fma_f32 v65, s14, v5, v78
	v_add_f32_e32 v4, 0x40051340, v70
	v_add_f32_e32 v5, 0x40051340, v65
	v_max3_f32 v4, v53, v4, v5
	ds_bpermute_b32 v5, v1, v4
	v_cmp_nlt_f32_e64 s[8:9], |v64|, s10
	s_waitcnt lgkmcnt(0)
	v_max_f32_e32 v5, v5, v5
	v_max_f32_e32 v4, v4, v5
	ds_bpermute_b32 v5, v2, v4
	s_waitcnt lgkmcnt(0)
	v_max_f32_e32 v5, v5, v5
	v_max_f32_e32 v4, v4, v5
	ds_bpermute_b32 v5, v3, v4
	;; [unrolled: 4-line block ×4, first 2 shown]
                                        ; implicit-def: $vgpr5
	s_and_saveexec_b64 s[26:27], s[8:9]
	s_xor_b64 s[8:9], exec, s[26:27]
	s_cbranch_execz .LBB71_46
; %bb.45:                               ;   in Loop: Header=BB71_12 Depth=1
	v_add_f32_e64 v5, |v64|, |v64|
	v_mul_f32_e32 v6, 0x3fb8aa3b, v5
	v_rndne_f32_e32 v68, v6
	v_sub_f32_e32 v89, v6, v68
	v_fma_f32 v6, v5, s11, -v6
	v_fmac_f32_e32 v6, 0x32a5705f, v5
	v_add_f32_e32 v6, v89, v6
	v_cvt_i32_f32_e32 v68, v68
	v_exp_f32_e32 v6, v6
	v_cmp_ngt_f32_e32 vcc, s12, v5
	v_ldexp_f32 v6, v6, v68
	v_cndmask_b32_e32 v6, 0, v6, vcc
	v_cmp_nlt_f32_e32 vcc, s13, v5
	v_cndmask_b32_e32 v5, v25, v6, vcc
	v_add_f32_e32 v5, 1.0, v5
	v_rcp_f32_e32 v5, v5
	v_fma_f32 v5, v5, -2.0, 1.0
.LBB71_46:                              ;   in Loop: Header=BB71_12 Depth=1
	s_andn2_saveexec_b64 s[8:9], s[8:9]
; %bb.47:                               ;   in Loop: Header=BB71_12 Depth=1
	v_mul_f32_e32 v5, v64, v64
	v_mov_b32_e32 v6, 0x3ca908c9
	v_fmac_f32_e32 v6, 0xbbbac73d, v5
	v_fma_f32 v6, v5, v6, v21
	v_fma_f32 v6, v5, v6, v22
	;; [unrolled: 1-line block ×3, first 2 shown]
	v_mul_f32_e64 v6, |v64|, v6
	v_fma_f32 v5, v5, v6, |v64|
; %bb.48:                               ;   in Loop: Header=BB71_12 Depth=1
	s_or_b64 exec, exec, s[8:9]
	v_cmp_nlt_f32_e64 s[8:9], |v66|, s10
                                        ; implicit-def: $vgpr6
	s_and_saveexec_b64 s[26:27], s[8:9]
	s_xor_b64 s[8:9], exec, s[26:27]
	s_cbranch_execz .LBB71_50
; %bb.49:                               ;   in Loop: Header=BB71_12 Depth=1
	v_add_f32_e64 v6, |v66|, |v66|
	v_mul_f32_e32 v68, 0x3fb8aa3b, v6
	v_rndne_f32_e32 v89, v68
	v_sub_f32_e32 v92, v68, v89
	v_fma_f32 v68, v6, s11, -v68
	v_fmac_f32_e32 v68, 0x32a5705f, v6
	v_add_f32_e32 v68, v92, v68
	v_cvt_i32_f32_e32 v89, v89
	v_exp_f32_e32 v68, v68
	v_cmp_ngt_f32_e32 vcc, s12, v6
	v_ldexp_f32 v68, v68, v89
	v_cndmask_b32_e32 v68, 0, v68, vcc
	v_cmp_nlt_f32_e32 vcc, s13, v6
	v_cndmask_b32_e32 v6, v25, v68, vcc
	v_add_f32_e32 v6, 1.0, v6
	v_rcp_f32_e32 v6, v6
	v_fma_f32 v6, v6, -2.0, 1.0
.LBB71_50:                              ;   in Loop: Header=BB71_12 Depth=1
	s_andn2_saveexec_b64 s[8:9], s[8:9]
; %bb.51:                               ;   in Loop: Header=BB71_12 Depth=1
	v_mul_f32_e32 v6, v66, v66
	v_mov_b32_e32 v68, 0x3ca908c9
	v_fmac_f32_e32 v68, 0xbbbac73d, v6
	v_fma_f32 v68, v6, v68, v21
	v_fma_f32 v68, v6, v68, v22
	;; [unrolled: 1-line block ×3, first 2 shown]
	v_mul_f32_e64 v68, |v66|, v68
	v_fma_f32 v6, v6, v68, |v66|
; %bb.52:                               ;   in Loop: Header=BB71_12 Depth=1
	s_or_b64 exec, exec, s[8:9]
	v_bfi_b32 v5, s19, v5, v64
	v_bfi_b32 v6, s19, v6, v66
	v_fma_f32 v68, s14, v5, v79
	v_fma_f32 v64, s14, v6, v78
	v_add_f32_e32 v5, 0x40051340, v68
	v_add_f32_e32 v6, 0x40051340, v64
	v_max3_f32 v5, v51, v5, v6
	ds_bpermute_b32 v6, v1, v5
	v_cmp_nlt_f32_e64 s[8:9], |v62|, s10
	s_waitcnt lgkmcnt(0)
	v_max_f32_e32 v6, v6, v6
	v_max_f32_e32 v5, v5, v6
	ds_bpermute_b32 v6, v2, v5
	s_waitcnt lgkmcnt(0)
	v_max_f32_e32 v6, v6, v6
	v_max_f32_e32 v5, v5, v6
	ds_bpermute_b32 v6, v3, v5
	;; [unrolled: 4-line block ×4, first 2 shown]
                                        ; implicit-def: $vgpr6
	s_and_saveexec_b64 s[26:27], s[8:9]
	s_xor_b64 s[8:9], exec, s[26:27]
	s_cbranch_execz .LBB71_54
; %bb.53:                               ;   in Loop: Header=BB71_12 Depth=1
	v_add_f32_e64 v6, |v62|, |v62|
	v_mul_f32_e32 v66, 0x3fb8aa3b, v6
	v_rndne_f32_e32 v89, v66
	v_sub_f32_e32 v92, v66, v89
	v_fma_f32 v66, v6, s11, -v66
	v_fmac_f32_e32 v66, 0x32a5705f, v6
	v_add_f32_e32 v66, v92, v66
	v_cvt_i32_f32_e32 v89, v89
	v_exp_f32_e32 v66, v66
	v_cmp_ngt_f32_e32 vcc, s12, v6
	v_ldexp_f32 v66, v66, v89
	v_cndmask_b32_e32 v66, 0, v66, vcc
	v_cmp_nlt_f32_e32 vcc, s13, v6
	v_cndmask_b32_e32 v6, v25, v66, vcc
	v_add_f32_e32 v6, 1.0, v6
	v_rcp_f32_e32 v6, v6
	v_fma_f32 v6, v6, -2.0, 1.0
.LBB71_54:                              ;   in Loop: Header=BB71_12 Depth=1
	s_andn2_saveexec_b64 s[8:9], s[8:9]
; %bb.55:                               ;   in Loop: Header=BB71_12 Depth=1
	v_mul_f32_e32 v6, v62, v62
	v_mov_b32_e32 v66, 0x3ca908c9
	v_fmac_f32_e32 v66, 0xbbbac73d, v6
	v_fma_f32 v66, v6, v66, v21
	v_fma_f32 v66, v6, v66, v22
	;; [unrolled: 1-line block ×3, first 2 shown]
	v_mul_f32_e64 v66, |v62|, v66
	v_fma_f32 v6, v6, v66, |v62|
; %bb.56:                               ;   in Loop: Header=BB71_12 Depth=1
	s_or_b64 exec, exec, s[8:9]
	v_cmp_nlt_f32_e64 s[8:9], |v63|, s10
                                        ; implicit-def: $vgpr66
	s_and_saveexec_b64 s[26:27], s[8:9]
	s_xor_b64 s[8:9], exec, s[26:27]
	s_cbranch_execz .LBB71_58
; %bb.57:                               ;   in Loop: Header=BB71_12 Depth=1
	v_add_f32_e64 v66, |v63|, |v63|
	v_mul_f32_e32 v89, 0x3fb8aa3b, v66
	v_rndne_f32_e32 v92, v89
	v_sub_f32_e32 v93, v89, v92
	v_fma_f32 v89, v66, s11, -v89
	v_fmac_f32_e32 v89, 0x32a5705f, v66
	v_add_f32_e32 v89, v93, v89
	v_cvt_i32_f32_e32 v92, v92
	v_exp_f32_e32 v89, v89
	v_cmp_ngt_f32_e32 vcc, s12, v66
	v_ldexp_f32 v89, v89, v92
	v_cndmask_b32_e32 v89, 0, v89, vcc
	v_cmp_nlt_f32_e32 vcc, s13, v66
	v_cndmask_b32_e32 v66, v25, v89, vcc
	v_add_f32_e32 v66, 1.0, v66
	v_rcp_f32_e32 v66, v66
	v_fma_f32 v66, v66, -2.0, 1.0
.LBB71_58:                              ;   in Loop: Header=BB71_12 Depth=1
	s_andn2_saveexec_b64 s[8:9], s[8:9]
; %bb.59:                               ;   in Loop: Header=BB71_12 Depth=1
	v_mul_f32_e32 v66, v63, v63
	v_mov_b32_e32 v89, 0x3ca908c9
	v_fmac_f32_e32 v89, 0xbbbac73d, v66
	v_fma_f32 v89, v66, v89, v21
	v_fma_f32 v89, v66, v89, v22
	;; [unrolled: 1-line block ×3, first 2 shown]
	v_mul_f32_e64 v89, |v63|, v89
	v_fma_f32 v66, v66, v89, |v63|
; %bb.60:                               ;   in Loop: Header=BB71_12 Depth=1
	s_or_b64 exec, exec, s[8:9]
	v_bfi_b32 v6, s19, v6, v62
	v_bfi_b32 v62, s19, v66, v63
	v_fma_f32 v89, s14, v6, v79
	v_fma_f32 v66, s14, v62, v78
	v_add_f32_e32 v6, 0x40051340, v89
	v_add_f32_e32 v62, 0x40051340, v66
	v_max3_f32 v6, v31, v6, v62
	ds_bpermute_b32 v62, v1, v6
	v_cmp_nlt_f32_e64 s[8:9], |v60|, s10
                                        ; implicit-def: $vgpr63
	s_waitcnt lgkmcnt(0)
	v_max_f32_e32 v62, v62, v62
	v_max_f32_e32 v6, v6, v62
	ds_bpermute_b32 v62, v2, v6
	s_waitcnt lgkmcnt(0)
	v_max_f32_e32 v62, v62, v62
	v_max_f32_e32 v6, v6, v62
	ds_bpermute_b32 v62, v3, v6
	;; [unrolled: 4-line block ×4, first 2 shown]
	s_and_saveexec_b64 s[26:27], s[8:9]
	s_xor_b64 s[8:9], exec, s[26:27]
	s_cbranch_execz .LBB71_62
; %bb.61:                               ;   in Loop: Header=BB71_12 Depth=1
	v_add_f32_e64 v63, |v60|, |v60|
	v_mul_f32_e32 v92, 0x3fb8aa3b, v63
	v_rndne_f32_e32 v93, v92
	v_sub_f32_e32 v96, v92, v93
	v_fma_f32 v92, v63, s11, -v92
	v_fmac_f32_e32 v92, 0x32a5705f, v63
	v_add_f32_e32 v92, v96, v92
	v_cvt_i32_f32_e32 v93, v93
	v_exp_f32_e32 v92, v92
	v_cmp_ngt_f32_e32 vcc, s12, v63
	v_ldexp_f32 v92, v92, v93
	v_cndmask_b32_e32 v92, 0, v92, vcc
	v_cmp_nlt_f32_e32 vcc, s13, v63
	v_cndmask_b32_e32 v63, v25, v92, vcc
	v_add_f32_e32 v63, 1.0, v63
	v_rcp_f32_e32 v63, v63
	v_fma_f32 v63, v63, -2.0, 1.0
.LBB71_62:                              ;   in Loop: Header=BB71_12 Depth=1
	s_andn2_saveexec_b64 s[8:9], s[8:9]
; %bb.63:                               ;   in Loop: Header=BB71_12 Depth=1
	v_mul_f32_e32 v63, v60, v60
	v_mov_b32_e32 v92, 0x3ca908c9
	v_fmac_f32_e32 v92, 0xbbbac73d, v63
	v_fma_f32 v92, v63, v92, v21
	v_fma_f32 v92, v63, v92, v22
	;; [unrolled: 1-line block ×3, first 2 shown]
	v_mul_f32_e64 v92, |v60|, v92
	v_fma_f32 v63, v63, v92, |v60|
; %bb.64:                               ;   in Loop: Header=BB71_12 Depth=1
	s_or_b64 exec, exec, s[8:9]
	v_cmp_nlt_f32_e64 s[8:9], |v61|, s10
                                        ; implicit-def: $vgpr92
	s_and_saveexec_b64 s[26:27], s[8:9]
	s_xor_b64 s[8:9], exec, s[26:27]
	s_cbranch_execz .LBB71_66
; %bb.65:                               ;   in Loop: Header=BB71_12 Depth=1
	v_add_f32_e64 v92, |v61|, |v61|
	v_mul_f32_e32 v93, 0x3fb8aa3b, v92
	v_rndne_f32_e32 v96, v93
	v_sub_f32_e32 v97, v93, v96
	v_fma_f32 v93, v92, s11, -v93
	v_fmac_f32_e32 v93, 0x32a5705f, v92
	v_add_f32_e32 v93, v97, v93
	v_cvt_i32_f32_e32 v96, v96
	v_exp_f32_e32 v93, v93
	v_cmp_ngt_f32_e32 vcc, s12, v92
	v_ldexp_f32 v93, v93, v96
	v_cndmask_b32_e32 v93, 0, v93, vcc
	v_cmp_nlt_f32_e32 vcc, s13, v92
	v_cndmask_b32_e32 v92, v25, v93, vcc
	v_add_f32_e32 v92, 1.0, v92
	v_rcp_f32_e32 v92, v92
	v_fma_f32 v92, v92, -2.0, 1.0
.LBB71_66:                              ;   in Loop: Header=BB71_12 Depth=1
	s_andn2_saveexec_b64 s[8:9], s[8:9]
; %bb.67:                               ;   in Loop: Header=BB71_12 Depth=1
	v_mul_f32_e32 v92, v61, v61
	v_mov_b32_e32 v93, 0x3ca908c9
	v_fmac_f32_e32 v93, 0xbbbac73d, v92
	v_fma_f32 v93, v92, v93, v21
	v_fma_f32 v93, v92, v93, v22
	;; [unrolled: 1-line block ×3, first 2 shown]
	v_mul_f32_e64 v93, |v61|, v93
	v_fma_f32 v92, v92, v93, |v61|
; %bb.68:                               ;   in Loop: Header=BB71_12 Depth=1
	s_or_b64 exec, exec, s[8:9]
	v_bfi_b32 v60, s19, v63, v60
	v_bfi_b32 v61, s19, v92, v61
	v_fma_f32 v93, s14, v60, v79
	v_fma_f32 v92, s14, v61, v78
	v_add_f32_e32 v60, 0x40051340, v93
	v_add_f32_e32 v61, 0x40051340, v92
	v_max3_f32 v60, v29, v60, v61
	ds_bpermute_b32 v61, v1, v60
	v_cmp_nlt_f32_e64 s[8:9], |v7|, s10
                                        ; implicit-def: $vgpr63
	s_waitcnt lgkmcnt(0)
	v_max_f32_e32 v61, v61, v61
	v_max_f32_e32 v60, v60, v61
	ds_bpermute_b32 v61, v2, v60
	s_waitcnt lgkmcnt(0)
	v_max_f32_e32 v61, v61, v61
	v_max_f32_e32 v60, v60, v61
	ds_bpermute_b32 v61, v3, v60
	;; [unrolled: 4-line block ×4, first 2 shown]
	s_and_saveexec_b64 s[26:27], s[8:9]
	s_xor_b64 s[8:9], exec, s[26:27]
	s_cbranch_execz .LBB71_70
; %bb.69:                               ;   in Loop: Header=BB71_12 Depth=1
	v_add_f32_e64 v63, |v7|, |v7|
	v_mul_f32_e32 v96, 0x3fb8aa3b, v63
	v_rndne_f32_e32 v97, v96
	v_sub_f32_e32 v98, v96, v97
	v_fma_f32 v96, v63, s11, -v96
	v_fmac_f32_e32 v96, 0x32a5705f, v63
	v_add_f32_e32 v96, v98, v96
	v_cvt_i32_f32_e32 v97, v97
	v_exp_f32_e32 v96, v96
	v_cmp_ngt_f32_e32 vcc, s12, v63
	v_ldexp_f32 v96, v96, v97
	v_cndmask_b32_e32 v96, 0, v96, vcc
	v_cmp_nlt_f32_e32 vcc, s13, v63
	v_cndmask_b32_e32 v63, v25, v96, vcc
	v_add_f32_e32 v63, 1.0, v63
	v_rcp_f32_e32 v63, v63
	v_fma_f32 v63, v63, -2.0, 1.0
.LBB71_70:                              ;   in Loop: Header=BB71_12 Depth=1
	s_andn2_saveexec_b64 s[8:9], s[8:9]
; %bb.71:                               ;   in Loop: Header=BB71_12 Depth=1
	v_mul_f32_e32 v63, v7, v7
	v_mov_b32_e32 v96, 0x3ca908c9
	v_fmac_f32_e32 v96, 0xbbbac73d, v63
	v_fma_f32 v96, v63, v96, v21
	v_fma_f32 v96, v63, v96, v22
	;; [unrolled: 1-line block ×3, first 2 shown]
	v_mul_f32_e64 v96, |v7|, v96
	v_fma_f32 v63, v63, v96, |v7|
; %bb.72:                               ;   in Loop: Header=BB71_12 Depth=1
	s_or_b64 exec, exec, s[8:9]
	v_cmp_nlt_f32_e64 s[8:9], |v8|, s10
                                        ; implicit-def: $vgpr96
	s_and_saveexec_b64 s[26:27], s[8:9]
	s_xor_b64 s[8:9], exec, s[26:27]
	s_cbranch_execz .LBB71_74
; %bb.73:                               ;   in Loop: Header=BB71_12 Depth=1
	v_add_f32_e64 v96, |v8|, |v8|
	v_mul_f32_e32 v97, 0x3fb8aa3b, v96
	v_rndne_f32_e32 v98, v97
	v_sub_f32_e32 v99, v97, v98
	v_fma_f32 v97, v96, s11, -v97
	v_fmac_f32_e32 v97, 0x32a5705f, v96
	v_add_f32_e32 v97, v99, v97
	v_cvt_i32_f32_e32 v98, v98
	v_exp_f32_e32 v97, v97
	v_cmp_ngt_f32_e32 vcc, s12, v96
	v_ldexp_f32 v97, v97, v98
	v_cndmask_b32_e32 v97, 0, v97, vcc
	v_cmp_nlt_f32_e32 vcc, s13, v96
	v_cndmask_b32_e32 v96, v25, v97, vcc
	v_add_f32_e32 v96, 1.0, v96
	v_rcp_f32_e32 v96, v96
	v_fma_f32 v96, v96, -2.0, 1.0
.LBB71_74:                              ;   in Loop: Header=BB71_12 Depth=1
	s_andn2_saveexec_b64 s[8:9], s[8:9]
; %bb.75:                               ;   in Loop: Header=BB71_12 Depth=1
	v_mul_f32_e32 v96, v8, v8
	v_mov_b32_e32 v97, 0x3ca908c9
	v_fmac_f32_e32 v97, 0xbbbac73d, v96
	v_fma_f32 v97, v96, v97, v21
	v_fma_f32 v97, v96, v97, v22
	;; [unrolled: 1-line block ×3, first 2 shown]
	v_mul_f32_e64 v97, |v8|, v97
	v_fma_f32 v96, v96, v97, |v8|
; %bb.76:                               ;   in Loop: Header=BB71_12 Depth=1
	s_or_b64 exec, exec, s[8:9]
	v_bfi_b32 v7, s19, v63, v7
	v_bfi_b32 v8, s19, v96, v8
	v_fmac_f32_e32 v79, s14, v7
	v_fmac_f32_e32 v78, s14, v8
	v_add_f32_e32 v7, 0x40051340, v79
	v_add_f32_e32 v8, 0x40051340, v78
	v_max3_f32 v8, v27, v7, v8
	ds_bpermute_b32 v1, v1, v8
	s_waitcnt lgkmcnt(1)
	v_max_f32_e32 v61, v61, v61
	v_max_f32_e32 v7, v60, v60
	v_max_f32_e32 v7, v7, v61
	v_max_f32_e32 v60, v62, v62
	s_waitcnt lgkmcnt(0)
	v_max_f32_e32 v1, v1, v1
	v_max_f32_e32 v1, v8, v1
	ds_bpermute_b32 v2, v2, v1
	v_max_f32_e32 v8, v95, v95
	v_max_f32_e32 v5, v5, v5
	v_max_f32_e32 v4, v4, v4
	v_max_f32_e32 v6, v6, v6
	s_waitcnt lgkmcnt(0)
	v_max_f32_e32 v2, v2, v2
	v_max_f32_e32 v1, v1, v2
	ds_bpermute_b32 v2, v3, v1
	;; [unrolled: 8-line block ×4, first 2 shown]
	v_max_f32_e32 v60, v87, v87
	v_max_f32_e32 v2, v60, v8
	v_max_f32_e32 v1, v85, v85
	v_max_f32_e32 v8, v82, v82
	v_max_f32_e32 v1, v8, v1
	s_waitcnt lgkmcnt(0)
	v_max_f32_e32 v8, v62, v62
	v_sub_f32_e32 v60, v81, v1
	v_max_f32_e32 v8, v61, v8
	v_mul_f32_e32 v61, 0x3fb8aa3b, v60
	v_fma_f32 v62, v60, s11, -v61
	v_rndne_f32_e32 v63, v61
	v_fmac_f32_e32 v62, 0x32a5705f, v60
	v_sub_f32_e32 v61, v61, v63
	v_add_f32_e32 v61, v61, v62
	v_exp_f32_e32 v61, v61
	v_cvt_i32_f32_e32 v62, v63
	v_sub_f32_e32 v63, v59, v1
	v_cmp_ngt_f32_e32 vcc, s12, v60
	v_sub_f32_e32 v58, v58, v2
	v_ldexp_f32 v59, v61, v62
	v_sub_f32_e32 v61, v80, v1
	v_mul_f32_e32 v62, 0x3fb8aa3b, v61
	v_fma_f32 v80, v61, s11, -v62
	v_rndne_f32_e32 v81, v62
	v_fmac_f32_e32 v80, 0x32a5705f, v61
	v_sub_f32_e32 v62, v62, v81
	v_add_f32_e32 v62, v62, v80
	v_exp_f32_e32 v62, v62
	v_cvt_i32_f32_e32 v80, v81
	v_cndmask_b32_e32 v59, 0, v59, vcc
	v_cmp_nlt_f32_e32 vcc, s13, v60
	v_cndmask_b32_e32 v60, v25, v59, vcc
	v_ldexp_f32 v62, v62, v80
	v_mul_f32_e32 v80, 0x3fb8aa3b, v63
	v_fma_f32 v81, v63, s11, -v80
	v_rndne_f32_e32 v82, v80
	v_fmac_f32_e32 v81, 0x32a5705f, v63
	v_sub_f32_e32 v80, v80, v82
	v_add_f32_e32 v80, v80, v81
	v_exp_f32_e32 v80, v80
	v_cvt_i32_f32_e32 v81, v82
	v_cmp_ngt_f32_e32 vcc, s12, v61
	v_cndmask_b32_e32 v62, 0, v62, vcc
	v_cmp_nlt_f32_e32 vcc, s13, v61
	v_cndmask_b32_e32 v61, v25, v62, vcc
	v_ldexp_f32 v62, v80, v81
	v_cmp_ngt_f32_e32 vcc, s12, v63
	v_cndmask_b32_e32 v62, 0, v62, vcc
	v_cmp_nlt_f32_e32 vcc, s13, v63
	v_cndmask_b32_e32 v62, v25, v62, vcc
	v_cvt_f16_f32_e32 v63, v62
	v_cvt_f16_f32_e32 v59, v60
	v_add_f32_e32 v60, v60, v61
	v_fmac_f32_e32 v60, v56, v62
	v_sub_f32_e32 v62, v71, v2
	v_mul_f32_e32 v56, 0x3fb8aa3b, v62
	v_cvt_f16_f32_e32 v80, v61
	v_mul_u32_u24_e32 v61, 0x10001, v63
	v_fma_f32 v63, v62, s11, -v56
	v_rndne_f32_e32 v71, v56
	v_fmac_f32_e32 v63, 0x32a5705f, v62
	v_sub_f32_e32 v56, v56, v71
	v_add_f32_e32 v56, v56, v63
	v_exp_f32_e32 v63, v56
	v_cvt_i32_f32_e32 v71, v71
	v_pk_mul_f16 v56, v49, v61
	v_pk_mul_f16 v49, v50, v61
	v_sub_f32_e32 v61, v69, v2
	v_ldexp_f32 v50, v63, v71
	v_mul_f32_e32 v63, 0x3fb8aa3b, v61
	v_fma_f32 v69, v61, s11, -v63
	v_rndne_f32_e32 v71, v63
	v_fmac_f32_e32 v69, 0x32a5705f, v61
	v_sub_f32_e32 v63, v63, v71
	v_add_f32_e32 v63, v63, v69
	v_exp_f32_e32 v63, v63
	v_cvt_i32_f32_e32 v69, v71
	v_cmp_ngt_f32_e32 vcc, s12, v62
	v_cndmask_b32_e32 v50, 0, v50, vcc
	v_cmp_nlt_f32_e32 vcc, s13, v62
	v_ldexp_f32 v63, v63, v69
	v_mul_f32_e32 v69, 0x3fb8aa3b, v58
	v_fma_f32 v71, v58, s11, -v69
	v_rndne_f32_e32 v81, v69
	v_fmac_f32_e32 v71, 0x32a5705f, v58
	v_sub_f32_e32 v69, v69, v81
	v_add_f32_e32 v69, v69, v71
	v_exp_f32_e32 v69, v69
	v_cvt_i32_f32_e32 v71, v81
	v_cndmask_b32_e32 v62, v25, v50, vcc
	v_cmp_ngt_f32_e32 vcc, s12, v61
	v_cndmask_b32_e32 v63, 0, v63, vcc
	v_cmp_nlt_f32_e32 vcc, s13, v61
	v_cndmask_b32_e32 v63, v25, v63, vcc
	v_ldexp_f32 v61, v69, v71
	v_cmp_ngt_f32_e32 vcc, s12, v58
	v_cndmask_b32_e32 v61, 0, v61, vcc
	v_cmp_nlt_f32_e32 vcc, s13, v58
	v_cndmask_b32_e32 v69, v25, v61, vcc
	v_cvt_f16_f32_e32 v71, v69
	v_add_f32_e32 v61, v62, v63
	v_cvt_f16_f32_e32 v58, v63
	v_sub_f32_e32 v63, v86, v3
	v_fmac_f32_e32 v61, v57, v69
	v_mul_f32_e32 v57, 0x3fb8aa3b, v63
	v_cvt_f16_f32_e32 v50, v62
	v_mul_u32_u24_e32 v62, 0x10001, v71
	v_fma_f32 v69, v63, s11, -v57
	v_rndne_f32_e32 v71, v57
	v_fmac_f32_e32 v69, 0x32a5705f, v63
	v_sub_f32_e32 v57, v57, v71
	v_add_f32_e32 v57, v57, v69
	v_exp_f32_e32 v69, v57
	v_cvt_i32_f32_e32 v71, v71
	v_pk_mul_f16 v57, v47, v62
	v_pk_mul_f16 v47, v48, v62
	v_sub_f32_e32 v62, v67, v3
	v_mul_f32_e32 v67, 0x3fb8aa3b, v62
	v_ldexp_f32 v48, v69, v71
	v_fma_f32 v69, v62, s11, -v67
	v_rndne_f32_e32 v71, v67
	v_fmac_f32_e32 v69, 0x32a5705f, v62
	v_sub_f32_e32 v67, v67, v71
	v_add_f32_e32 v67, v67, v69
	v_exp_f32_e32 v67, v67
	v_cvt_i32_f32_e32 v69, v71
	v_sub_f32_e32 v55, v55, v3
	v_cmp_ngt_f32_e32 vcc, s12, v63
	v_cndmask_b32_e32 v48, 0, v48, vcc
	v_ldexp_f32 v67, v67, v69
	v_mul_f32_e32 v69, 0x3fb8aa3b, v55
	v_fma_f32 v71, v55, s11, -v69
	v_rndne_f32_e32 v81, v69
	v_fmac_f32_e32 v71, 0x32a5705f, v55
	v_sub_f32_e32 v69, v69, v81
	v_add_f32_e32 v69, v69, v71
	v_exp_f32_e32 v69, v69
	v_cvt_i32_f32_e32 v71, v81
	v_cmp_nlt_f32_e32 vcc, s13, v63
	v_cndmask_b32_e32 v63, v25, v48, vcc
	v_cmp_ngt_f32_e32 vcc, s12, v62
	v_cndmask_b32_e32 v67, 0, v67, vcc
	v_cmp_nlt_f32_e32 vcc, s13, v62
	v_cndmask_b32_e32 v67, v25, v67, vcc
	v_ldexp_f32 v62, v69, v71
	v_cmp_ngt_f32_e32 vcc, s12, v55
	v_cndmask_b32_e32 v62, 0, v62, vcc
	v_cmp_nlt_f32_e32 vcc, s13, v55
	v_cndmask_b32_e32 v69, v25, v62, vcc
	v_add_f32_e32 v62, v63, v67
	v_cvt_f16_f32_e32 v55, v67
	v_sub_f32_e32 v67, v70, v4
	v_fmac_f32_e32 v62, v54, v69
	v_mul_f32_e32 v54, 0x3fb8aa3b, v67
	v_cvt_f16_f32_e32 v71, v69
	v_fma_f32 v69, v67, s11, -v54
	v_rndne_f32_e32 v70, v54
	v_fmac_f32_e32 v69, 0x32a5705f, v67
	v_sub_f32_e32 v54, v54, v70
	v_add_f32_e32 v54, v54, v69
	v_exp_f32_e32 v69, v54
	v_cvt_i32_f32_e32 v70, v70
	v_cvt_f16_f32_e32 v48, v63
	v_mul_u32_u24_e32 v63, 0x10001, v71
	v_pk_mul_f16 v54, v45, v63
	v_pk_mul_f16 v45, v46, v63
	v_sub_f32_e32 v63, v65, v4
	v_mul_f32_e32 v65, 0x3fb8aa3b, v63
	v_ldexp_f32 v46, v69, v70
	v_fma_f32 v69, v63, s11, -v65
	v_rndne_f32_e32 v70, v65
	v_fmac_f32_e32 v69, 0x32a5705f, v63
	v_sub_f32_e32 v65, v65, v70
	v_add_f32_e32 v65, v65, v69
	v_exp_f32_e32 v65, v65
	v_cvt_i32_f32_e32 v69, v70
	v_sub_f32_e32 v53, v53, v4
	v_cmp_ngt_f32_e32 vcc, s12, v67
	v_cndmask_b32_e32 v46, 0, v46, vcc
	v_ldexp_f32 v65, v65, v69
	v_mul_f32_e32 v69, 0x3fb8aa3b, v53
	v_fma_f32 v70, v53, s11, -v69
	v_rndne_f32_e32 v71, v69
	v_fmac_f32_e32 v70, 0x32a5705f, v53
	v_sub_f32_e32 v69, v69, v71
	v_add_f32_e32 v69, v69, v70
	v_exp_f32_e32 v69, v69
	v_cvt_i32_f32_e32 v70, v71
	v_cmp_nlt_f32_e32 vcc, s13, v67
	v_cndmask_b32_e32 v67, v25, v46, vcc
	v_cmp_ngt_f32_e32 vcc, s12, v63
	v_cndmask_b32_e32 v65, 0, v65, vcc
	v_cmp_nlt_f32_e32 vcc, s13, v63
	v_cndmask_b32_e32 v65, v25, v65, vcc
	v_ldexp_f32 v63, v69, v70
	v_cmp_ngt_f32_e32 vcc, s12, v53
	v_cndmask_b32_e32 v63, 0, v63, vcc
	v_cmp_nlt_f32_e32 vcc, s13, v53
	v_cvt_f16_f32_e32 v46, v67
	v_cndmask_b32_e32 v69, v25, v63, vcc
	v_add_f32_e32 v63, v67, v65
	v_sub_f32_e32 v67, v68, v5
	v_fmac_f32_e32 v63, v52, v69
	v_mul_f32_e32 v52, 0x3fb8aa3b, v67
	v_cvt_f16_f32_e32 v70, v69
	v_fma_f32 v68, v67, s11, -v52
	v_rndne_f32_e32 v69, v52
	v_fmac_f32_e32 v68, 0x32a5705f, v67
	v_sub_f32_e32 v52, v52, v69
	v_add_f32_e32 v52, v52, v68
	v_exp_f32_e32 v68, v52
	v_cvt_i32_f32_e32 v69, v69
	v_cvt_f16_f32_e32 v53, v65
	v_mul_u32_u24_e32 v65, 0x10001, v70
	v_sub_f32_e32 v64, v64, v5
	v_pk_mul_f16 v52, v43, v65
	v_pk_mul_f16 v43, v44, v65
	v_mul_f32_e32 v65, 0x3fb8aa3b, v64
	v_ldexp_f32 v44, v68, v69
	v_fma_f32 v68, v64, s11, -v65
	v_rndne_f32_e32 v69, v65
	v_fmac_f32_e32 v68, 0x32a5705f, v64
	v_sub_f32_e32 v65, v65, v69
	v_add_f32_e32 v65, v65, v68
	v_exp_f32_e32 v65, v65
	v_cvt_i32_f32_e32 v68, v69
	v_sub_f32_e32 v51, v51, v5
	v_cmp_ngt_f32_e32 vcc, s12, v67
	v_cndmask_b32_e32 v44, 0, v44, vcc
	v_ldexp_f32 v65, v65, v68
	v_mul_f32_e32 v68, 0x3fb8aa3b, v51
	v_fma_f32 v69, v51, s11, -v68
	v_rndne_f32_e32 v70, v68
	v_fmac_f32_e32 v69, 0x32a5705f, v51
	v_sub_f32_e32 v68, v68, v70
	v_add_f32_e32 v68, v68, v69
	v_exp_f32_e32 v68, v68
	v_cvt_i32_f32_e32 v69, v70
	v_cmp_nlt_f32_e32 vcc, s13, v67
	v_cndmask_b32_e32 v67, v25, v44, vcc
	v_cmp_ngt_f32_e32 vcc, s12, v64
	v_cndmask_b32_e32 v65, 0, v65, vcc
	v_cmp_nlt_f32_e32 vcc, s13, v64
	v_cndmask_b32_e32 v65, v25, v65, vcc
	v_ldexp_f32 v64, v68, v69
	v_cmp_ngt_f32_e32 vcc, s12, v51
	v_cndmask_b32_e32 v64, 0, v64, vcc
	v_cmp_nlt_f32_e32 vcc, s13, v51
	v_cndmask_b32_e32 v68, v25, v64, vcc
	v_cvt_f16_f32_e32 v69, v68
	v_add_f32_e32 v64, v67, v65
	v_cvt_f16_f32_e32 v51, v65
	v_sub_f32_e32 v65, v89, v6
	v_cvt_f16_f32_e32 v44, v67
	v_mul_f32_e32 v67, 0x3fb8aa3b, v65
	v_fmac_f32_e32 v64, v32, v68
	v_mul_u32_u24_e32 v32, 0x10001, v69
	v_fma_f32 v68, v65, s11, -v67
	v_rndne_f32_e32 v69, v67
	v_fmac_f32_e32 v68, 0x32a5705f, v65
	v_sub_f32_e32 v67, v67, v69
	v_add_f32_e32 v67, v67, v68
	v_exp_f32_e32 v67, v67
	v_cvt_i32_f32_e32 v68, v69
	v_sub_f32_e32 v66, v66, v6
	v_pk_mul_f16 v41, v41, v32
	v_pk_mul_f16 v32, v42, v32
	v_ldexp_f32 v42, v67, v68
	v_mul_f32_e32 v67, 0x3fb8aa3b, v66
	v_fma_f32 v68, v66, s11, -v67
	v_rndne_f32_e32 v69, v67
	v_fmac_f32_e32 v68, 0x32a5705f, v66
	v_sub_f32_e32 v67, v67, v69
	v_add_f32_e32 v67, v67, v68
	v_exp_f32_e32 v67, v67
	v_cvt_i32_f32_e32 v68, v69
	v_sub_f32_e32 v31, v31, v6
	v_cmp_ngt_f32_e32 vcc, s12, v65
	v_cndmask_b32_e32 v42, 0, v42, vcc
	v_cmp_nlt_f32_e32 vcc, s13, v65
	v_ldexp_f32 v65, v67, v68
	v_mul_f32_e32 v67, 0x3fb8aa3b, v31
	v_fma_f32 v68, v31, s11, -v67
	v_rndne_f32_e32 v69, v67
	v_fmac_f32_e32 v68, 0x32a5705f, v31
	v_sub_f32_e32 v67, v67, v69
	v_add_f32_e32 v67, v67, v68
	v_exp_f32_e32 v67, v67
	v_cvt_i32_f32_e32 v68, v69
	v_cndmask_b32_e32 v42, v25, v42, vcc
	v_cmp_ngt_f32_e32 vcc, s12, v66
	v_cndmask_b32_e32 v65, 0, v65, vcc
	v_cmp_nlt_f32_e32 vcc, s13, v66
	v_cndmask_b32_e32 v66, v25, v65, vcc
	v_ldexp_f32 v65, v67, v68
	v_cmp_ngt_f32_e32 vcc, s12, v31
	v_cndmask_b32_e32 v65, 0, v65, vcc
	v_cmp_nlt_f32_e32 vcc, s13, v31
	v_cndmask_b32_e32 v31, v25, v65, vcc
	v_cvt_f16_f32_e32 v67, v31
	v_add_f32_e32 v65, v42, v66
	v_fmac_f32_e32 v65, v30, v31
	v_sub_f32_e32 v31, v93, v7
	v_cvt_f16_f32_e32 v81, v42
	v_cvt_f16_f32_e32 v42, v66
	v_mul_f32_e32 v66, 0x3fb8aa3b, v31
	v_mul_u32_u24_e32 v30, 0x10001, v67
	v_fma_f32 v67, v31, s11, -v66
	v_rndne_f32_e32 v68, v66
	v_fmac_f32_e32 v67, 0x32a5705f, v31
	v_sub_f32_e32 v66, v66, v68
	v_add_f32_e32 v66, v66, v67
	v_exp_f32_e32 v66, v66
	v_cvt_i32_f32_e32 v67, v68
	v_sub_f32_e32 v82, v29, v7
	v_pk_mul_f16 v39, v39, v30
	v_pk_mul_f16 v40, v40, v30
	v_ldexp_f32 v29, v66, v67
	v_sub_f32_e32 v66, v92, v7
	v_mul_f32_e32 v30, 0x3fb8aa3b, v66
	v_fma_f32 v67, v66, s11, -v30
	v_rndne_f32_e32 v68, v30
	v_fmac_f32_e32 v67, 0x32a5705f, v66
	v_sub_f32_e32 v30, v30, v68
	v_add_f32_e32 v30, v30, v67
	v_cmp_ngt_f32_e32 vcc, s12, v31
	v_exp_f32_e32 v30, v30
	v_cvt_i32_f32_e32 v67, v68
	v_cndmask_b32_e32 v29, 0, v29, vcc
	v_cmp_nlt_f32_e32 vcc, s13, v31
	v_cndmask_b32_e32 v31, v25, v29, vcc
	v_mul_f32_e32 v29, 0x3fb8aa3b, v82
	s_mul_hi_i32 s9, s6, s15
	s_mul_i32 s8, s6, s15
	v_rndne_f32_e32 v85, v29
	s_lshl_b64 s[8:9], s[8:9], 2
	v_ldexp_f32 v67, v30, v67
	v_fma_f32 v84, v82, s11, -v29
	v_sub_f32_e32 v86, v29, v85
	v_mov_b32_e32 v30, s9
	v_add_co_u32_e32 v29, vcc, s8, v18
	v_addc_co_u32_e32 v30, vcc, v19, v30, vcc
	s_barrier
	global_load_dwordx4 v[68:71], v[29:30], off
	v_fmac_f32_e32 v84, 0x32a5705f, v82
	v_add_f32_e32 v29, v86, v84
	v_exp_f32_e32 v29, v29
	v_cvt_i32_f32_e32 v30, v85
	v_cmp_ngt_f32_e32 vcc, s12, v66
	v_cndmask_b32_e32 v67, 0, v67, vcc
	v_cmp_nlt_f32_e32 vcc, s13, v66
	v_cndmask_b32_e32 v67, v25, v67, vcc
	v_ldexp_f32 v29, v29, v30
	v_cmp_ngt_f32_e32 vcc, s12, v82
	v_cndmask_b32_e32 v29, 0, v29, vcc
	v_cmp_nlt_f32_e32 vcc, s13, v82
	v_cndmask_b32_e32 v29, v25, v29, vcc
	v_cvt_f16_f32_e32 v30, v29
	v_add_f32_e32 v66, v31, v67
	v_fmac_f32_e32 v66, v28, v29
	v_sub_f32_e32 v29, v79, v8
	v_mul_u32_u24_e32 v28, 0x10001, v30
	v_mul_f32_e32 v30, 0x3fb8aa3b, v29
	v_cvt_f16_f32_e32 v83, v31
	v_cvt_f16_f32_e32 v31, v67
	v_fma_f32 v67, v29, s11, -v30
	v_rndne_f32_e32 v79, v30
	v_fmac_f32_e32 v67, 0x32a5705f, v29
	v_sub_f32_e32 v30, v30, v79
	v_add_f32_e32 v30, v30, v67
	v_exp_f32_e32 v30, v30
	v_cvt_i32_f32_e32 v67, v79
	v_pk_mul_f16 v86, v37, v28
	v_pk_mul_f16 v87, v38, v28
	v_sub_f32_e32 v27, v27, v8
	v_ldexp_f32 v28, v30, v67
	v_sub_f32_e32 v30, v78, v8
	v_mul_f32_e32 v37, 0x3fb8aa3b, v30
	v_fma_f32 v38, v30, s11, -v37
	v_rndne_f32_e32 v67, v37
	v_fmac_f32_e32 v38, 0x32a5705f, v30
	v_sub_f32_e32 v37, v37, v67
	v_add_f32_e32 v37, v37, v38
	v_exp_f32_e32 v37, v37
	v_cvt_i32_f32_e32 v38, v67
	v_cmp_ngt_f32_e32 vcc, s12, v29
	v_cndmask_b32_e32 v28, 0, v28, vcc
	v_cmp_nlt_f32_e32 vcc, s13, v29
	v_ldexp_f32 v37, v37, v38
	v_mul_f32_e32 v38, 0x3fb8aa3b, v27
	v_fma_f32 v67, v27, s11, -v38
	v_rndne_f32_e32 v78, v38
	v_fmac_f32_e32 v67, 0x32a5705f, v27
	v_sub_f32_e32 v38, v38, v78
	v_add_f32_e32 v38, v38, v67
	v_exp_f32_e32 v38, v38
	v_cvt_i32_f32_e32 v67, v78
	v_cndmask_b32_e32 v28, v25, v28, vcc
	v_cmp_ngt_f32_e32 vcc, s12, v30
	v_cndmask_b32_e32 v37, 0, v37, vcc
	v_cmp_nlt_f32_e32 vcc, s13, v30
	v_cndmask_b32_e32 v30, v25, v37, vcc
	v_ldexp_f32 v37, v38, v67
	v_cmp_ngt_f32_e32 vcc, s12, v27
	v_cndmask_b32_e32 v37, 0, v37, vcc
	v_cmp_nlt_f32_e32 vcc, s13, v27
	v_cndmask_b32_e32 v27, v25, v37, vcc
	v_cvt_f16_f32_e32 v37, v27
	v_cvt_f16_f32_e32 v29, v28
	v_add_f32_e32 v67, v28, v30
	v_cvt_f16_f32_e32 v30, v30
	v_fmac_f32_e32 v67, v26, v27
	v_mul_u32_u24_e32 v26, 0x10001, v37
	v_pk_mul_f16 v88, v35, v26
	v_pk_mul_f16 v89, v36, v26
	v_pack_b32_f16 v29, v83, v29
	v_pack_b32_f16 v28, v44, v81
	v_pack_b32_f16 v27, v48, v46
	v_pack_b32_f16 v26, v59, v50
	ds_write_b128 v24, v[26:29]
	v_pack_b32_f16 v29, v31, v30
	v_pack_b32_f16 v28, v51, v42
	;; [unrolled: 1-line block ×4, first 2 shown]
	ds_write_b128 v24, v[26:29] offset:512
	s_waitcnt vmcnt(0)
	ds_write_b128 v17, v[68:71]
	s_waitcnt lgkmcnt(0)
	s_barrier
	ds_read_b128 v[26:29], v16
	ds_read2_b64 v[35:38], v20 offset1:32
	ds_read_b128 v[68:71], v16 offset:16
	ds_read_b128 v[78:81], v16 offset:32
	ds_read_b128 v[82:85], v16 offset:48
	s_waitcnt lgkmcnt(4)
	v_mul_u32_u24_sdwa v30, v26, s24 dst_sel:DWORD dst_unused:UNUSED_PAD src0_sel:WORD_0 src1_sel:DWORD
	v_mul_u32_u24_sdwa v26, v26, s24 dst_sel:DWORD dst_unused:UNUSED_PAD src0_sel:WORD_1 src1_sel:DWORD
	v_mul_u32_u24_sdwa v31, v27, s24 dst_sel:DWORD dst_unused:UNUSED_PAD src0_sel:WORD_0 src1_sel:DWORD
	v_mul_u32_u24_sdwa v27, v27, s24 dst_sel:DWORD dst_unused:UNUSED_PAD src0_sel:WORD_1 src1_sel:DWORD
	;; [unrolled: 2-line block ×4, first 2 shown]
	s_waitcnt lgkmcnt(3)
	v_pk_fma_f16 v46, v35, v30, v56
	v_pk_fma_f16 v48, v35, v26, v57
	;; [unrolled: 1-line block ×16, first 2 shown]
	s_waitcnt lgkmcnt(2)
	v_mul_u32_u24_sdwa v36, v68, s24 dst_sel:DWORD dst_unused:UNUSED_PAD src0_sel:WORD_0 src1_sel:DWORD
	v_mul_u32_u24_sdwa v42, v68, s24 dst_sel:DWORD dst_unused:UNUSED_PAD src0_sel:WORD_1 src1_sel:DWORD
	v_mul_u32_u24_sdwa v43, v69, s24 dst_sel:DWORD dst_unused:UNUSED_PAD src0_sel:WORD_0 src1_sel:DWORD
	v_mul_u32_u24_sdwa v44, v69, s24 dst_sel:DWORD dst_unused:UNUSED_PAD src0_sel:WORD_1 src1_sel:DWORD
	;; [unrolled: 2-line block ×4, first 2 shown]
	v_pk_fma_f16 v46, v37, v36, v46
	v_pk_fma_f16 v48, v37, v42, v48
	;; [unrolled: 1-line block ×16, first 2 shown]
	ds_read2_b64 v[26:29], v20 offset0:64 offset1:96
	s_waitcnt lgkmcnt(2)
	v_mul_u32_u24_sdwa v43, v78, s24 dst_sel:DWORD dst_unused:UNUSED_PAD src0_sel:WORD_0 src1_sel:DWORD
	v_mul_u32_u24_sdwa v44, v78, s24 dst_sel:DWORD dst_unused:UNUSED_PAD src0_sel:WORD_1 src1_sel:DWORD
	v_mul_u32_u24_sdwa v45, v79, s24 dst_sel:DWORD dst_unused:UNUSED_PAD src0_sel:WORD_0 src1_sel:DWORD
	v_mul_u32_u24_sdwa v47, v79, s24 dst_sel:DWORD dst_unused:UNUSED_PAD src0_sel:WORD_1 src1_sel:DWORD
	;; [unrolled: 2-line block ×4, first 2 shown]
	s_waitcnt lgkmcnt(0)
	v_pk_fma_f16 v46, v26, v43, v46
	v_pk_fma_f16 v48, v26, v44, v48
	;; [unrolled: 1-line block ×16, first 2 shown]
	v_mul_u32_u24_sdwa v38, v82, s24 dst_sel:DWORD dst_unused:UNUSED_PAD src0_sel:WORD_0 src1_sel:DWORD
	v_mul_u32_u24_sdwa v42, v82, s24 dst_sel:DWORD dst_unused:UNUSED_PAD src0_sel:WORD_1 src1_sel:DWORD
	v_mul_u32_u24_sdwa v43, v83, s24 dst_sel:DWORD dst_unused:UNUSED_PAD src0_sel:WORD_0 src1_sel:DWORD
	v_mul_u32_u24_sdwa v44, v83, s24 dst_sel:DWORD dst_unused:UNUSED_PAD src0_sel:WORD_1 src1_sel:DWORD
	v_mul_u32_u24_sdwa v47, v84, s24 dst_sel:DWORD dst_unused:UNUSED_PAD src0_sel:WORD_1 src1_sel:DWORD
	v_mul_u32_u24_sdwa v45, v84, s24 dst_sel:DWORD dst_unused:UNUSED_PAD src0_sel:WORD_0 src1_sel:DWORD
	v_mul_u32_u24_sdwa v49, v85, s24 dst_sel:DWORD dst_unused:UNUSED_PAD src0_sel:WORD_0 src1_sel:DWORD
	v_mul_u32_u24_sdwa v53, v85, s24 dst_sel:DWORD dst_unused:UNUSED_PAD src0_sel:WORD_1 src1_sel:DWORD
	v_pk_fma_f16 v46, v28, v38, v46
	v_pk_fma_f16 v50, v28, v43, v50
	;; [unrolled: 1-line block ×8, first 2 shown]
	ds_read_b128 v[35:38], v16 offset:64
	v_pk_fma_f16 v48, v28, v42, v48
	v_pk_fma_f16 v54, v28, v45, v41
	;; [unrolled: 1-line block ×8, first 2 shown]
	ds_read2_b64 v[26:29], v20 offset0:128 offset1:160
	ds_read_b128 v[39:42], v16 offset:80
	s_waitcnt lgkmcnt(2)
	v_mul_u32_u24_sdwa v49, v35, s24 dst_sel:DWORD dst_unused:UNUSED_PAD src0_sel:WORD_0 src1_sel:DWORD
	v_mul_u32_u24_sdwa v35, v35, s24 dst_sel:DWORD dst_unused:UNUSED_PAD src0_sel:WORD_1 src1_sel:DWORD
	v_mul_u32_u24_sdwa v53, v36, s24 dst_sel:DWORD dst_unused:UNUSED_PAD src0_sel:WORD_0 src1_sel:DWORD
	v_mul_u32_u24_sdwa v36, v36, s24 dst_sel:DWORD dst_unused:UNUSED_PAD src0_sel:WORD_1 src1_sel:DWORD
	;; [unrolled: 2-line block ×4, first 2 shown]
	s_waitcnt lgkmcnt(1)
	v_pk_fma_f16 v46, v26, v49, v46
	v_pk_fma_f16 v48, v26, v35, v48
	;; [unrolled: 1-line block ×16, first 2 shown]
	s_waitcnt lgkmcnt(0)
	v_mul_u32_u24_sdwa v38, v39, s24 dst_sel:DWORD dst_unused:UNUSED_PAD src0_sel:WORD_0 src1_sel:DWORD
	v_mul_u32_u24_sdwa v39, v39, s24 dst_sel:DWORD dst_unused:UNUSED_PAD src0_sel:WORD_1 src1_sel:DWORD
	v_mul_u32_u24_sdwa v44, v40, s24 dst_sel:DWORD dst_unused:UNUSED_PAD src0_sel:WORD_0 src1_sel:DWORD
	v_mul_u32_u24_sdwa v40, v40, s24 dst_sel:DWORD dst_unused:UNUSED_PAD src0_sel:WORD_1 src1_sel:DWORD
	;; [unrolled: 2-line block ×4, first 2 shown]
	v_pk_fma_f16 v46, v28, v38, v46
	v_pk_fma_f16 v49, v28, v44, v50
	;; [unrolled: 1-line block ×11, first 2 shown]
	ds_read_b128 v[35:38], v16 offset:96
	v_pk_fma_f16 v48, v28, v39, v48
	v_pk_fma_f16 v52, v28, v47, v52
	;; [unrolled: 1-line block ×5, first 2 shown]
	ds_read2_b64 v[26:29], v20 offset0:192 offset1:224
	ds_read_b128 v[39:42], v16 offset:112
	s_waitcnt lgkmcnt(2)
	v_mul_u32_u24_sdwa v56, v35, s24 dst_sel:DWORD dst_unused:UNUSED_PAD src0_sel:WORD_0 src1_sel:DWORD
	v_mul_u32_u24_sdwa v35, v35, s24 dst_sel:DWORD dst_unused:UNUSED_PAD src0_sel:WORD_1 src1_sel:DWORD
	v_mul_u32_u24_sdwa v57, v36, s24 dst_sel:DWORD dst_unused:UNUSED_PAD src0_sel:WORD_0 src1_sel:DWORD
	v_mul_u32_u24_sdwa v36, v36, s24 dst_sel:DWORD dst_unused:UNUSED_PAD src0_sel:WORD_1 src1_sel:DWORD
	;; [unrolled: 2-line block ×4, first 2 shown]
	s_waitcnt lgkmcnt(1)
	v_pk_fma_f16 v46, v26, v56, v46
	v_pk_fma_f16 v48, v26, v35, v48
	;; [unrolled: 1-line block ×16, first 2 shown]
	s_waitcnt lgkmcnt(0)
	v_mul_u32_u24_sdwa v38, v39, s24 dst_sel:DWORD dst_unused:UNUSED_PAD src0_sel:WORD_0 src1_sel:DWORD
	v_mul_u32_u24_sdwa v39, v39, s24 dst_sel:DWORD dst_unused:UNUSED_PAD src0_sel:WORD_1 src1_sel:DWORD
	v_mul_u32_u24_sdwa v44, v40, s24 dst_sel:DWORD dst_unused:UNUSED_PAD src0_sel:WORD_0 src1_sel:DWORD
	v_mul_u32_u24_sdwa v40, v40, s24 dst_sel:DWORD dst_unused:UNUSED_PAD src0_sel:WORD_1 src1_sel:DWORD
	;; [unrolled: 2-line block ×4, first 2 shown]
	v_pk_fma_f16 v46, v28, v38, v46
	v_pk_fma_f16 v49, v28, v44, v49
	;; [unrolled: 1-line block ×10, first 2 shown]
	ds_read_b128 v[35:38], v16 offset:128
	v_add_u32_e32 v26, 0x800, v20
	v_pk_fma_f16 v48, v28, v39, v48
	v_pk_fma_f16 v50, v28, v40, v50
	;; [unrolled: 1-line block ×6, first 2 shown]
	ds_read2_b64 v[27:30], v26 offset1:32
	ds_read_b128 v[39:42], v16 offset:144
	s_waitcnt lgkmcnt(2)
	v_mul_u32_u24_sdwa v57, v35, s24 dst_sel:DWORD dst_unused:UNUSED_PAD src0_sel:WORD_0 src1_sel:DWORD
	v_mul_u32_u24_sdwa v35, v35, s24 dst_sel:DWORD dst_unused:UNUSED_PAD src0_sel:WORD_1 src1_sel:DWORD
	v_mul_u32_u24_sdwa v58, v36, s24 dst_sel:DWORD dst_unused:UNUSED_PAD src0_sel:WORD_0 src1_sel:DWORD
	v_mul_u32_u24_sdwa v36, v36, s24 dst_sel:DWORD dst_unused:UNUSED_PAD src0_sel:WORD_1 src1_sel:DWORD
	;; [unrolled: 2-line block ×4, first 2 shown]
	s_waitcnt lgkmcnt(1)
	v_pk_fma_f16 v46, v27, v57, v46
	v_pk_fma_f16 v48, v27, v35, v48
	;; [unrolled: 1-line block ×16, first 2 shown]
	s_waitcnt lgkmcnt(0)
	v_mul_u32_u24_sdwa v38, v39, s24 dst_sel:DWORD dst_unused:UNUSED_PAD src0_sel:WORD_0 src1_sel:DWORD
	v_mul_u32_u24_sdwa v39, v39, s24 dst_sel:DWORD dst_unused:UNUSED_PAD src0_sel:WORD_1 src1_sel:DWORD
	v_mul_u32_u24_sdwa v44, v40, s24 dst_sel:DWORD dst_unused:UNUSED_PAD src0_sel:WORD_0 src1_sel:DWORD
	v_mul_u32_u24_sdwa v40, v40, s24 dst_sel:DWORD dst_unused:UNUSED_PAD src0_sel:WORD_1 src1_sel:DWORD
	;; [unrolled: 2-line block ×4, first 2 shown]
	v_pk_fma_f16 v46, v29, v38, v46
	v_pk_fma_f16 v49, v29, v44, v49
	;; [unrolled: 1-line block ×9, first 2 shown]
	ds_read_b128 v[35:38], v16 offset:160
	v_pk_fma_f16 v48, v29, v39, v48
	v_pk_fma_f16 v50, v29, v40, v50
	;; [unrolled: 1-line block ×7, first 2 shown]
	ds_read2_b64 v[27:30], v26 offset0:64 offset1:96
	ds_read_b128 v[39:42], v16 offset:176
	s_waitcnt lgkmcnt(2)
	v_mul_u32_u24_sdwa v57, v35, s24 dst_sel:DWORD dst_unused:UNUSED_PAD src0_sel:WORD_0 src1_sel:DWORD
	v_mul_u32_u24_sdwa v35, v35, s24 dst_sel:DWORD dst_unused:UNUSED_PAD src0_sel:WORD_1 src1_sel:DWORD
	v_mul_u32_u24_sdwa v58, v36, s24 dst_sel:DWORD dst_unused:UNUSED_PAD src0_sel:WORD_0 src1_sel:DWORD
	v_mul_u32_u24_sdwa v36, v36, s24 dst_sel:DWORD dst_unused:UNUSED_PAD src0_sel:WORD_1 src1_sel:DWORD
	;; [unrolled: 2-line block ×4, first 2 shown]
	s_waitcnt lgkmcnt(1)
	v_pk_fma_f16 v46, v27, v57, v46
	v_pk_fma_f16 v48, v27, v35, v48
	;; [unrolled: 1-line block ×16, first 2 shown]
	s_waitcnt lgkmcnt(0)
	v_mul_u32_u24_sdwa v38, v39, s24 dst_sel:DWORD dst_unused:UNUSED_PAD src0_sel:WORD_0 src1_sel:DWORD
	v_mul_u32_u24_sdwa v39, v39, s24 dst_sel:DWORD dst_unused:UNUSED_PAD src0_sel:WORD_1 src1_sel:DWORD
	v_mul_u32_u24_sdwa v44, v40, s24 dst_sel:DWORD dst_unused:UNUSED_PAD src0_sel:WORD_0 src1_sel:DWORD
	v_mul_u32_u24_sdwa v40, v40, s24 dst_sel:DWORD dst_unused:UNUSED_PAD src0_sel:WORD_1 src1_sel:DWORD
	v_mul_u32_u24_sdwa v45, v41, s24 dst_sel:DWORD dst_unused:UNUSED_PAD src0_sel:WORD_0 src1_sel:DWORD
	v_mul_u32_u24_sdwa v41, v41, s24 dst_sel:DWORD dst_unused:UNUSED_PAD src0_sel:WORD_1 src1_sel:DWORD
	v_pk_fma_f16 v46, v29, v38, v46
	v_pk_fma_f16 v54, v30, v38, v54
	v_pk_fma_f16 v56, v30, v39, v35
	v_pk_fma_f16 v58, v30, v40, v36
	v_pk_fma_f16 v68, v30, v41, v37
	ds_read_b128 v[35:38], v16 offset:192
	v_mul_u32_u24_sdwa v47, v42, s24 dst_sel:DWORD dst_unused:UNUSED_PAD src0_sel:WORD_0 src1_sel:DWORD
	v_mul_u32_u24_sdwa v42, v42, s24 dst_sel:DWORD dst_unused:UNUSED_PAD src0_sel:WORD_1 src1_sel:DWORD
	v_pk_fma_f16 v48, v29, v39, v48
	v_pk_fma_f16 v49, v29, v44, v49
	;; [unrolled: 1-line block ×11, first 2 shown]
	ds_read2_b64 v[27:30], v26 offset0:128 offset1:160
	ds_read_b128 v[39:42], v16 offset:208
	s_or_b32 s8, s6, 16
	s_mul_hi_i32 s9, s8, s15
	s_mul_i32 s8, s8, s15
	s_waitcnt lgkmcnt(2)
	v_mul_u32_u24_sdwa v31, v35, s24 dst_sel:DWORD dst_unused:UNUSED_PAD src0_sel:WORD_0 src1_sel:DWORD
	v_mul_u32_u24_sdwa v71, v35, s24 dst_sel:DWORD dst_unused:UNUSED_PAD src0_sel:WORD_1 src1_sel:DWORD
	v_mul_u32_u24_sdwa v78, v36, s24 dst_sel:DWORD dst_unused:UNUSED_PAD src0_sel:WORD_0 src1_sel:DWORD
	v_mul_u32_u24_sdwa v79, v36, s24 dst_sel:DWORD dst_unused:UNUSED_PAD src0_sel:WORD_1 src1_sel:DWORD
	;; [unrolled: 2-line block ×4, first 2 shown]
	s_lshl_b64 s[8:9], s[8:9], 2
	s_waitcnt lgkmcnt(1)
	v_pk_fma_f16 v84, v27, v31, v46
	v_pk_fma_f16 v85, v27, v71, v48
	;; [unrolled: 1-line block ×9, first 2 shown]
	v_mov_b32_e32 v32, s9
	v_add_co_u32_e32 v31, vcc, s8, v18
	v_addc_co_u32_e32 v32, vcc, v19, v32, vcc
	ds_read2_b64 v[35:38], v26 offset0:192 offset1:224
	ds_read_b128 v[43:46], v16 offset:224
	ds_read_b128 v[47:50], v16 offset:240
	s_waitcnt lgkmcnt(0)
	s_barrier
	global_load_dwordx4 v[51:54], v[31:32], off
	v_pk_fma_f16 v31, v28, v71, v56
	v_pk_fma_f16 v32, v28, v78, v57
	v_pk_fma_f16 v56, v28, v79, v58
	v_pk_fma_f16 v57, v28, v80, v59
	v_pk_fma_f16 v58, v28, v81, v68
	v_pk_fma_f16 v59, v28, v82, v69
	v_pk_fma_f16 v28, v28, v83, v70
	v_mul_u32_u24_sdwa v68, v39, s24 dst_sel:DWORD dst_unused:UNUSED_PAD src0_sel:WORD_0 src1_sel:DWORD
	v_mul_u32_u24_sdwa v39, v39, s24 dst_sel:DWORD dst_unused:UNUSED_PAD src0_sel:WORD_1 src1_sel:DWORD
	v_mul_u32_u24_sdwa v69, v40, s24 dst_sel:DWORD dst_unused:UNUSED_PAD src0_sel:WORD_0 src1_sel:DWORD
	v_mul_u32_u24_sdwa v40, v40, s24 dst_sel:DWORD dst_unused:UNUSED_PAD src0_sel:WORD_1 src1_sel:DWORD
	v_mul_u32_u24_sdwa v70, v41, s24 dst_sel:DWORD dst_unused:UNUSED_PAD src0_sel:WORD_0 src1_sel:DWORD
	v_mul_u32_u24_sdwa v41, v41, s24 dst_sel:DWORD dst_unused:UNUSED_PAD src0_sel:WORD_1 src1_sel:DWORD
	v_mul_u32_u24_sdwa v71, v42, s24 dst_sel:DWORD dst_unused:UNUSED_PAD src0_sel:WORD_0 src1_sel:DWORD
	v_mul_u32_u24_sdwa v42, v42, s24 dst_sel:DWORD dst_unused:UNUSED_PAD src0_sel:WORD_1 src1_sel:DWORD
	v_pk_fma_f16 v78, v29, v68, v84
	v_pk_fma_f16 v79, v29, v39, v85
	v_pk_fma_f16 v80, v29, v69, v86
	v_pk_fma_f16 v81, v29, v40, v87
	v_pk_fma_f16 v82, v29, v70, v88
	v_pk_fma_f16 v83, v29, v41, v89
	v_pk_fma_f16 v84, v29, v71, v90
	v_pk_fma_f16 v27, v29, v42, v27
	v_pk_fma_f16 v29, v30, v68, v55
	v_pk_fma_f16 v31, v30, v39, v31
	v_pk_fma_f16 v32, v30, v69, v32
	v_pk_fma_f16 v39, v30, v40, v56
	v_pk_fma_f16 v40, v30, v70, v57
	v_pk_fma_f16 v41, v30, v41, v58
	v_pk_fma_f16 v55, v30, v71, v59
	v_pk_fma_f16 v28, v30, v42, v28
	v_mul_u32_u24_sdwa v30, v43, s24 dst_sel:DWORD dst_unused:UNUSED_PAD src0_sel:WORD_0 src1_sel:DWORD
	v_mul_u32_u24_sdwa v42, v43, s24 dst_sel:DWORD dst_unused:UNUSED_PAD src0_sel:WORD_1 src1_sel:DWORD
	v_mul_u32_u24_sdwa v43, v44, s24 dst_sel:DWORD dst_unused:UNUSED_PAD src0_sel:WORD_0 src1_sel:DWORD
	v_mul_u32_u24_sdwa v44, v44, s24 dst_sel:DWORD dst_unused:UNUSED_PAD src0_sel:WORD_1 src1_sel:DWORD
	v_mul_u32_u24_sdwa v56, v45, s24 dst_sel:DWORD dst_unused:UNUSED_PAD src0_sel:WORD_0 src1_sel:DWORD
	v_mul_u32_u24_sdwa v45, v45, s24 dst_sel:DWORD dst_unused:UNUSED_PAD src0_sel:WORD_1 src1_sel:DWORD
	v_mul_u32_u24_sdwa v57, v46, s24 dst_sel:DWORD dst_unused:UNUSED_PAD src0_sel:WORD_0 src1_sel:DWORD
	v_mul_u32_u24_sdwa v46, v46, s24 dst_sel:DWORD dst_unused:UNUSED_PAD src0_sel:WORD_1 src1_sel:DWORD
	v_pk_fma_f16 v58, v35, v30, v78
	v_pk_fma_f16 v59, v35, v42, v79
	v_pk_fma_f16 v68, v35, v43, v80
	v_pk_fma_f16 v69, v35, v44, v81
	v_pk_fma_f16 v70, v35, v56, v82
	v_pk_fma_f16 v71, v35, v45, v83
	v_pk_fma_f16 v78, v35, v57, v84
	v_pk_fma_f16 v27, v35, v46, v27
	v_pk_fma_f16 v29, v36, v30, v29
	v_pk_fma_f16 v30, v36, v42, v31
	v_pk_fma_f16 v31, v36, v43, v32
	v_pk_fma_f16 v32, v36, v44, v39
	v_pk_fma_f16 v35, v36, v56, v40
	v_pk_fma_f16 v39, v36, v45, v41
	v_pk_fma_f16 v40, v36, v57, v55
	v_pk_fma_f16 v28, v36, v46, v28
	v_mul_u32_u24_sdwa v36, v47, s24 dst_sel:DWORD dst_unused:UNUSED_PAD src0_sel:WORD_0 src1_sel:DWORD
	v_mul_u32_u24_sdwa v41, v47, s24 dst_sel:DWORD dst_unused:UNUSED_PAD src0_sel:WORD_1 src1_sel:DWORD
	v_mul_u32_u24_sdwa v42, v48, s24 dst_sel:DWORD dst_unused:UNUSED_PAD src0_sel:WORD_0 src1_sel:DWORD
	v_mul_u32_u24_sdwa v43, v48, s24 dst_sel:DWORD dst_unused:UNUSED_PAD src0_sel:WORD_1 src1_sel:DWORD
	v_mul_u32_u24_sdwa v44, v49, s24 dst_sel:DWORD dst_unused:UNUSED_PAD src0_sel:WORD_0 src1_sel:DWORD
	v_mul_u32_u24_sdwa v45, v49, s24 dst_sel:DWORD dst_unused:UNUSED_PAD src0_sel:WORD_1 src1_sel:DWORD
	v_mul_u32_u24_sdwa v46, v50, s24 dst_sel:DWORD dst_unused:UNUSED_PAD src0_sel:WORD_0 src1_sel:DWORD
	v_mul_u32_u24_sdwa v47, v50, s24 dst_sel:DWORD dst_unused:UNUSED_PAD src0_sel:WORD_1 src1_sel:DWORD
	v_pk_fma_f16 v55, v37, v36, v58
	v_pk_fma_f16 v56, v37, v41, v59
	v_pk_fma_f16 v57, v37, v42, v68
	v_pk_fma_f16 v58, v37, v43, v69
	v_pk_fma_f16 v59, v37, v44, v70
	v_pk_fma_f16 v68, v37, v45, v71
	v_pk_fma_f16 v69, v37, v46, v78
	v_pk_fma_f16 v70, v37, v47, v27
	v_pk_fma_f16 v71, v38, v36, v29
	v_pk_fma_f16 v78, v38, v41, v30
	v_pk_fma_f16 v31, v38, v42, v31
	;; [unrolled: 1-line block ×7, first 2 shown]
	s_waitcnt vmcnt(0)
	ds_write_b128 v17, v[51:54]
	s_waitcnt lgkmcnt(0)
	s_barrier
	ds_read_b128 v[27:30], v16 offset:256
	ds_read2_b64 v[35:38], v20 offset1:32
	ds_read_b128 v[39:42], v16 offset:272
	ds_read_b128 v[43:46], v16 offset:288
	ds_read_b128 v[47:50], v16 offset:304
	s_waitcnt lgkmcnt(4)
	v_mul_u32_u24_sdwa v51, v27, s24 dst_sel:DWORD dst_unused:UNUSED_PAD src0_sel:WORD_0 src1_sel:DWORD
	v_mul_u32_u24_sdwa v27, v27, s24 dst_sel:DWORD dst_unused:UNUSED_PAD src0_sel:WORD_1 src1_sel:DWORD
	v_mul_u32_u24_sdwa v52, v28, s24 dst_sel:DWORD dst_unused:UNUSED_PAD src0_sel:WORD_0 src1_sel:DWORD
	v_mul_u32_u24_sdwa v28, v28, s24 dst_sel:DWORD dst_unused:UNUSED_PAD src0_sel:WORD_1 src1_sel:DWORD
	;; [unrolled: 2-line block ×4, first 2 shown]
	s_waitcnt lgkmcnt(3)
	v_pk_fma_f16 v55, v35, v51, v55
	v_pk_fma_f16 v56, v35, v27, v56
	;; [unrolled: 1-line block ×16, first 2 shown]
	s_waitcnt lgkmcnt(2)
	v_mul_u32_u24_sdwa v36, v39, s24 dst_sel:DWORD dst_unused:UNUSED_PAD src0_sel:WORD_0 src1_sel:DWORD
	v_mul_u32_u24_sdwa v39, v39, s24 dst_sel:DWORD dst_unused:UNUSED_PAD src0_sel:WORD_1 src1_sel:DWORD
	v_mul_u32_u24_sdwa v53, v40, s24 dst_sel:DWORD dst_unused:UNUSED_PAD src0_sel:WORD_0 src1_sel:DWORD
	v_mul_u32_u24_sdwa v40, v40, s24 dst_sel:DWORD dst_unused:UNUSED_PAD src0_sel:WORD_1 src1_sel:DWORD
	;; [unrolled: 2-line block ×4, first 2 shown]
	v_pk_fma_f16 v55, v37, v36, v55
	v_pk_fma_f16 v56, v37, v39, v56
	v_pk_fma_f16 v57, v37, v53, v57
	v_pk_fma_f16 v58, v37, v40, v58
	v_pk_fma_f16 v59, v37, v54, v59
	v_pk_fma_f16 v68, v37, v41, v68
	v_pk_fma_f16 v69, v37, v70, v69
	v_pk_fma_f16 v35, v37, v42, v35
	v_pk_fma_f16 v36, v38, v36, v51
	v_pk_fma_f16 v37, v38, v39, v27
	v_pk_fma_f16 v31, v38, v53, v31
	v_pk_fma_f16 v39, v38, v40, v28
	v_pk_fma_f16 v32, v38, v54, v32
	v_pk_fma_f16 v40, v38, v41, v29
	v_pk_fma_f16 v41, v38, v70, v52
	v_pk_fma_f16 v38, v38, v42, v30
	ds_read2_b64 v[27:30], v20 offset0:64 offset1:96
	s_waitcnt lgkmcnt(2)
	v_mul_u32_u24_sdwa v42, v43, s24 dst_sel:DWORD dst_unused:UNUSED_PAD src0_sel:WORD_0 src1_sel:DWORD
	v_mul_u32_u24_sdwa v43, v43, s24 dst_sel:DWORD dst_unused:UNUSED_PAD src0_sel:WORD_1 src1_sel:DWORD
	v_mul_u32_u24_sdwa v51, v44, s24 dst_sel:DWORD dst_unused:UNUSED_PAD src0_sel:WORD_0 src1_sel:DWORD
	v_mul_u32_u24_sdwa v44, v44, s24 dst_sel:DWORD dst_unused:UNUSED_PAD src0_sel:WORD_1 src1_sel:DWORD
	;; [unrolled: 2-line block ×4, first 2 shown]
	s_waitcnt lgkmcnt(0)
	v_pk_fma_f16 v54, v27, v42, v55
	v_pk_fma_f16 v55, v27, v43, v56
	;; [unrolled: 1-line block ×16, first 2 shown]
	v_mul_u32_u24_sdwa v38, v47, s24 dst_sel:DWORD dst_unused:UNUSED_PAD src0_sel:WORD_0 src1_sel:DWORD
	v_mul_u32_u24_sdwa v41, v47, s24 dst_sel:DWORD dst_unused:UNUSED_PAD src0_sel:WORD_1 src1_sel:DWORD
	v_mul_u32_u24_sdwa v42, v48, s24 dst_sel:DWORD dst_unused:UNUSED_PAD src0_sel:WORD_0 src1_sel:DWORD
	v_mul_u32_u24_sdwa v43, v48, s24 dst_sel:DWORD dst_unused:UNUSED_PAD src0_sel:WORD_1 src1_sel:DWORD
	;; [unrolled: 2-line block ×4, first 2 shown]
	v_pk_fma_f16 v48, v29, v38, v54
	v_pk_fma_f16 v50, v29, v42, v56
	;; [unrolled: 1-line block ×6, first 2 shown]
	ds_read_b128 v[35:38], v16 offset:320
	v_pk_fma_f16 v49, v29, v41, v55
	v_pk_fma_f16 v52, v29, v44, v58
	;; [unrolled: 1-line block ×10, first 2 shown]
	ds_read2_b64 v[27:30], v20 offset0:128 offset1:160
	ds_read_b128 v[39:42], v16 offset:336
	s_waitcnt lgkmcnt(2)
	v_mul_u32_u24_sdwa v47, v35, s24 dst_sel:DWORD dst_unused:UNUSED_PAD src0_sel:WORD_0 src1_sel:DWORD
	v_mul_u32_u24_sdwa v35, v35, s24 dst_sel:DWORD dst_unused:UNUSED_PAD src0_sel:WORD_1 src1_sel:DWORD
	v_mul_u32_u24_sdwa v58, v36, s24 dst_sel:DWORD dst_unused:UNUSED_PAD src0_sel:WORD_0 src1_sel:DWORD
	v_mul_u32_u24_sdwa v36, v36, s24 dst_sel:DWORD dst_unused:UNUSED_PAD src0_sel:WORD_1 src1_sel:DWORD
	;; [unrolled: 2-line block ×4, first 2 shown]
	s_waitcnt lgkmcnt(1)
	v_pk_fma_f16 v48, v27, v47, v48
	v_pk_fma_f16 v49, v27, v35, v49
	;; [unrolled: 1-line block ×16, first 2 shown]
	s_waitcnt lgkmcnt(0)
	v_mul_u32_u24_sdwa v38, v39, s24 dst_sel:DWORD dst_unused:UNUSED_PAD src0_sel:WORD_0 src1_sel:DWORD
	v_mul_u32_u24_sdwa v39, v39, s24 dst_sel:DWORD dst_unused:UNUSED_PAD src0_sel:WORD_1 src1_sel:DWORD
	v_mul_u32_u24_sdwa v44, v40, s24 dst_sel:DWORD dst_unused:UNUSED_PAD src0_sel:WORD_0 src1_sel:DWORD
	v_mul_u32_u24_sdwa v40, v40, s24 dst_sel:DWORD dst_unused:UNUSED_PAD src0_sel:WORD_1 src1_sel:DWORD
	;; [unrolled: 2-line block ×4, first 2 shown]
	v_pk_fma_f16 v48, v29, v38, v48
	v_pk_fma_f16 v50, v29, v44, v50
	v_pk_fma_f16 v52, v29, v45, v52
	v_pk_fma_f16 v47, v30, v38, v47
	v_pk_fma_f16 v56, v30, v39, v35
	v_pk_fma_f16 v31, v30, v44, v31
	v_pk_fma_f16 v44, v30, v40, v36
	v_pk_fma_f16 v32, v30, v45, v32
	v_pk_fma_f16 v45, v30, v41, v37
	ds_read_b128 v[35:38], v16 offset:352
	v_pk_fma_f16 v49, v29, v39, v49
	v_pk_fma_f16 v51, v29, v40, v51
	;; [unrolled: 1-line block ×7, first 2 shown]
	ds_read2_b64 v[27:30], v20 offset0:192 offset1:224
	ds_read_b128 v[39:42], v16 offset:368
	s_waitcnt lgkmcnt(2)
	v_mul_u32_u24_sdwa v57, v35, s24 dst_sel:DWORD dst_unused:UNUSED_PAD src0_sel:WORD_0 src1_sel:DWORD
	v_mul_u32_u24_sdwa v35, v35, s24 dst_sel:DWORD dst_unused:UNUSED_PAD src0_sel:WORD_1 src1_sel:DWORD
	v_mul_u32_u24_sdwa v58, v36, s24 dst_sel:DWORD dst_unused:UNUSED_PAD src0_sel:WORD_0 src1_sel:DWORD
	v_mul_u32_u24_sdwa v36, v36, s24 dst_sel:DWORD dst_unused:UNUSED_PAD src0_sel:WORD_1 src1_sel:DWORD
	;; [unrolled: 2-line block ×4, first 2 shown]
	s_waitcnt lgkmcnt(1)
	v_pk_fma_f16 v48, v27, v57, v48
	v_pk_fma_f16 v49, v27, v35, v49
	v_pk_fma_f16 v50, v27, v58, v50
	v_pk_fma_f16 v51, v27, v36, v51
	v_pk_fma_f16 v52, v27, v59, v52
	v_pk_fma_f16 v53, v27, v37, v53
	v_pk_fma_f16 v54, v27, v68, v54
	v_pk_fma_f16 v27, v27, v38, v55
	v_pk_fma_f16 v47, v28, v57, v47
	v_pk_fma_f16 v35, v28, v35, v56
	v_pk_fma_f16 v31, v28, v58, v31
	v_pk_fma_f16 v36, v28, v36, v44
	v_pk_fma_f16 v32, v28, v59, v32
	v_pk_fma_f16 v37, v28, v37, v45
	v_pk_fma_f16 v43, v28, v68, v43
	v_pk_fma_f16 v28, v28, v38, v46
	s_waitcnt lgkmcnt(0)
	v_mul_u32_u24_sdwa v38, v39, s24 dst_sel:DWORD dst_unused:UNUSED_PAD src0_sel:WORD_0 src1_sel:DWORD
	v_mul_u32_u24_sdwa v39, v39, s24 dst_sel:DWORD dst_unused:UNUSED_PAD src0_sel:WORD_1 src1_sel:DWORD
	v_mul_u32_u24_sdwa v44, v40, s24 dst_sel:DWORD dst_unused:UNUSED_PAD src0_sel:WORD_0 src1_sel:DWORD
	v_mul_u32_u24_sdwa v40, v40, s24 dst_sel:DWORD dst_unused:UNUSED_PAD src0_sel:WORD_1 src1_sel:DWORD
	;; [unrolled: 2-line block ×4, first 2 shown]
	v_pk_fma_f16 v48, v29, v38, v48
	v_pk_fma_f16 v50, v29, v44, v50
	;; [unrolled: 1-line block ×9, first 2 shown]
	ds_read_b128 v[35:38], v16 offset:384
	v_pk_fma_f16 v49, v29, v39, v49
	v_pk_fma_f16 v51, v29, v40, v51
	;; [unrolled: 1-line block ×7, first 2 shown]
	ds_read2_b64 v[27:30], v26 offset1:32
	ds_read_b128 v[39:42], v16 offset:400
	s_waitcnt lgkmcnt(2)
	v_mul_u32_u24_sdwa v57, v35, s24 dst_sel:DWORD dst_unused:UNUSED_PAD src0_sel:WORD_0 src1_sel:DWORD
	v_mul_u32_u24_sdwa v35, v35, s24 dst_sel:DWORD dst_unused:UNUSED_PAD src0_sel:WORD_1 src1_sel:DWORD
	v_mul_u32_u24_sdwa v58, v36, s24 dst_sel:DWORD dst_unused:UNUSED_PAD src0_sel:WORD_0 src1_sel:DWORD
	v_mul_u32_u24_sdwa v36, v36, s24 dst_sel:DWORD dst_unused:UNUSED_PAD src0_sel:WORD_1 src1_sel:DWORD
	;; [unrolled: 2-line block ×4, first 2 shown]
	s_waitcnt lgkmcnt(1)
	v_pk_fma_f16 v48, v27, v57, v48
	v_pk_fma_f16 v49, v27, v35, v49
	;; [unrolled: 1-line block ×16, first 2 shown]
	s_waitcnt lgkmcnt(0)
	v_mul_u32_u24_sdwa v38, v39, s24 dst_sel:DWORD dst_unused:UNUSED_PAD src0_sel:WORD_0 src1_sel:DWORD
	v_mul_u32_u24_sdwa v39, v39, s24 dst_sel:DWORD dst_unused:UNUSED_PAD src0_sel:WORD_1 src1_sel:DWORD
	v_mul_u32_u24_sdwa v44, v40, s24 dst_sel:DWORD dst_unused:UNUSED_PAD src0_sel:WORD_0 src1_sel:DWORD
	v_mul_u32_u24_sdwa v40, v40, s24 dst_sel:DWORD dst_unused:UNUSED_PAD src0_sel:WORD_1 src1_sel:DWORD
	;; [unrolled: 2-line block ×4, first 2 shown]
	v_pk_fma_f16 v48, v29, v38, v48
	v_pk_fma_f16 v50, v29, v44, v50
	;; [unrolled: 1-line block ×9, first 2 shown]
	ds_read_b128 v[35:38], v16 offset:416
	v_pk_fma_f16 v49, v29, v39, v49
	v_pk_fma_f16 v51, v29, v40, v51
	v_pk_fma_f16 v53, v29, v41, v53
	v_pk_fma_f16 v54, v29, v46, v54
	v_pk_fma_f16 v55, v29, v42, v27
	v_pk_fma_f16 v43, v30, v46, v43
	v_pk_fma_f16 v46, v30, v42, v28
	ds_read2_b64 v[27:30], v26 offset0:64 offset1:96
	ds_read_b128 v[39:42], v16 offset:432
	s_waitcnt lgkmcnt(2)
	v_mul_u32_u24_sdwa v57, v35, s24 dst_sel:DWORD dst_unused:UNUSED_PAD src0_sel:WORD_0 src1_sel:DWORD
	v_mul_u32_u24_sdwa v35, v35, s24 dst_sel:DWORD dst_unused:UNUSED_PAD src0_sel:WORD_1 src1_sel:DWORD
	v_mul_u32_u24_sdwa v58, v36, s24 dst_sel:DWORD dst_unused:UNUSED_PAD src0_sel:WORD_0 src1_sel:DWORD
	v_mul_u32_u24_sdwa v36, v36, s24 dst_sel:DWORD dst_unused:UNUSED_PAD src0_sel:WORD_1 src1_sel:DWORD
	;; [unrolled: 2-line block ×4, first 2 shown]
	s_waitcnt lgkmcnt(1)
	v_pk_fma_f16 v48, v27, v57, v48
	v_pk_fma_f16 v49, v27, v35, v49
	;; [unrolled: 1-line block ×16, first 2 shown]
	s_waitcnt lgkmcnt(0)
	v_mul_u32_u24_sdwa v38, v39, s24 dst_sel:DWORD dst_unused:UNUSED_PAD src0_sel:WORD_0 src1_sel:DWORD
	v_mul_u32_u24_sdwa v39, v39, s24 dst_sel:DWORD dst_unused:UNUSED_PAD src0_sel:WORD_1 src1_sel:DWORD
	v_mul_u32_u24_sdwa v44, v40, s24 dst_sel:DWORD dst_unused:UNUSED_PAD src0_sel:WORD_0 src1_sel:DWORD
	v_mul_u32_u24_sdwa v40, v40, s24 dst_sel:DWORD dst_unused:UNUSED_PAD src0_sel:WORD_1 src1_sel:DWORD
	v_mul_u32_u24_sdwa v45, v41, s24 dst_sel:DWORD dst_unused:UNUSED_PAD src0_sel:WORD_0 src1_sel:DWORD
	v_mul_u32_u24_sdwa v41, v41, s24 dst_sel:DWORD dst_unused:UNUSED_PAD src0_sel:WORD_1 src1_sel:DWORD
	v_pk_fma_f16 v48, v29, v38, v48
	v_pk_fma_f16 v47, v30, v38, v47
	;; [unrolled: 1-line block ×5, first 2 shown]
	ds_read_b128 v[35:38], v16 offset:448
	v_mul_u32_u24_sdwa v46, v42, s24 dst_sel:DWORD dst_unused:UNUSED_PAD src0_sel:WORD_0 src1_sel:DWORD
	v_mul_u32_u24_sdwa v42, v42, s24 dst_sel:DWORD dst_unused:UNUSED_PAD src0_sel:WORD_1 src1_sel:DWORD
	v_pk_fma_f16 v49, v29, v39, v49
	v_pk_fma_f16 v50, v29, v44, v50
	;; [unrolled: 1-line block ×11, first 2 shown]
	ds_read2_b64 v[27:30], v26 offset0:128 offset1:160
	ds_read_b128 v[39:42], v16 offset:464
	s_or_b32 s8, s6, 32
	s_mul_hi_i32 s9, s8, s15
	s_mul_i32 s8, s8, s15
	s_waitcnt lgkmcnt(2)
	v_mul_u32_u24_sdwa v31, v35, s24 dst_sel:DWORD dst_unused:UNUSED_PAD src0_sel:WORD_0 src1_sel:DWORD
	v_mul_u32_u24_sdwa v71, v35, s24 dst_sel:DWORD dst_unused:UNUSED_PAD src0_sel:WORD_1 src1_sel:DWORD
	v_mul_u32_u24_sdwa v78, v36, s24 dst_sel:DWORD dst_unused:UNUSED_PAD src0_sel:WORD_0 src1_sel:DWORD
	v_mul_u32_u24_sdwa v79, v36, s24 dst_sel:DWORD dst_unused:UNUSED_PAD src0_sel:WORD_1 src1_sel:DWORD
	v_mul_u32_u24_sdwa v80, v37, s24 dst_sel:DWORD dst_unused:UNUSED_PAD src0_sel:WORD_0 src1_sel:DWORD
	v_mul_u32_u24_sdwa v81, v37, s24 dst_sel:DWORD dst_unused:UNUSED_PAD src0_sel:WORD_1 src1_sel:DWORD
	v_mul_u32_u24_sdwa v82, v38, s24 dst_sel:DWORD dst_unused:UNUSED_PAD src0_sel:WORD_0 src1_sel:DWORD
	v_mul_u32_u24_sdwa v83, v38, s24 dst_sel:DWORD dst_unused:UNUSED_PAD src0_sel:WORD_1 src1_sel:DWORD
	s_lshl_b64 s[8:9], s[8:9], 2
	s_waitcnt lgkmcnt(1)
	v_pk_fma_f16 v84, v27, v31, v48
	v_pk_fma_f16 v85, v27, v71, v49
	;; [unrolled: 1-line block ×9, first 2 shown]
	v_mov_b32_e32 v32, s9
	v_add_co_u32_e32 v31, vcc, s8, v18
	v_addc_co_u32_e32 v32, vcc, v19, v32, vcc
	ds_read2_b64 v[35:38], v26 offset0:192 offset1:224
	ds_read_b128 v[43:46], v16 offset:480
	ds_read_b128 v[47:50], v16 offset:496
	s_waitcnt lgkmcnt(0)
	s_barrier
	global_load_dwordx4 v[51:54], v[31:32], off
	v_pk_fma_f16 v31, v28, v71, v56
	v_pk_fma_f16 v32, v28, v78, v57
	v_pk_fma_f16 v56, v28, v79, v58
	v_pk_fma_f16 v57, v28, v80, v59
	v_pk_fma_f16 v58, v28, v81, v68
	v_pk_fma_f16 v59, v28, v82, v69
	v_pk_fma_f16 v28, v28, v83, v70
	v_mul_u32_u24_sdwa v68, v39, s24 dst_sel:DWORD dst_unused:UNUSED_PAD src0_sel:WORD_0 src1_sel:DWORD
	v_mul_u32_u24_sdwa v39, v39, s24 dst_sel:DWORD dst_unused:UNUSED_PAD src0_sel:WORD_1 src1_sel:DWORD
	v_mul_u32_u24_sdwa v69, v40, s24 dst_sel:DWORD dst_unused:UNUSED_PAD src0_sel:WORD_0 src1_sel:DWORD
	v_mul_u32_u24_sdwa v40, v40, s24 dst_sel:DWORD dst_unused:UNUSED_PAD src0_sel:WORD_1 src1_sel:DWORD
	v_mul_u32_u24_sdwa v70, v41, s24 dst_sel:DWORD dst_unused:UNUSED_PAD src0_sel:WORD_0 src1_sel:DWORD
	v_mul_u32_u24_sdwa v41, v41, s24 dst_sel:DWORD dst_unused:UNUSED_PAD src0_sel:WORD_1 src1_sel:DWORD
	v_mul_u32_u24_sdwa v71, v42, s24 dst_sel:DWORD dst_unused:UNUSED_PAD src0_sel:WORD_0 src1_sel:DWORD
	v_mul_u32_u24_sdwa v42, v42, s24 dst_sel:DWORD dst_unused:UNUSED_PAD src0_sel:WORD_1 src1_sel:DWORD
	v_pk_fma_f16 v78, v29, v68, v84
	v_pk_fma_f16 v79, v29, v39, v85
	v_pk_fma_f16 v80, v29, v69, v86
	v_pk_fma_f16 v81, v29, v40, v87
	v_pk_fma_f16 v82, v29, v70, v88
	v_pk_fma_f16 v83, v29, v41, v89
	v_pk_fma_f16 v84, v29, v71, v90
	v_pk_fma_f16 v27, v29, v42, v27
	v_pk_fma_f16 v29, v30, v68, v55
	v_pk_fma_f16 v31, v30, v39, v31
	v_pk_fma_f16 v32, v30, v69, v32
	v_pk_fma_f16 v39, v30, v40, v56
	v_pk_fma_f16 v40, v30, v70, v57
	v_pk_fma_f16 v41, v30, v41, v58
	v_pk_fma_f16 v55, v30, v71, v59
	v_pk_fma_f16 v28, v30, v42, v28
	v_mul_u32_u24_sdwa v30, v43, s24 dst_sel:DWORD dst_unused:UNUSED_PAD src0_sel:WORD_0 src1_sel:DWORD
	v_mul_u32_u24_sdwa v42, v43, s24 dst_sel:DWORD dst_unused:UNUSED_PAD src0_sel:WORD_1 src1_sel:DWORD
	v_mul_u32_u24_sdwa v43, v44, s24 dst_sel:DWORD dst_unused:UNUSED_PAD src0_sel:WORD_0 src1_sel:DWORD
	v_mul_u32_u24_sdwa v44, v44, s24 dst_sel:DWORD dst_unused:UNUSED_PAD src0_sel:WORD_1 src1_sel:DWORD
	v_mul_u32_u24_sdwa v56, v45, s24 dst_sel:DWORD dst_unused:UNUSED_PAD src0_sel:WORD_0 src1_sel:DWORD
	v_mul_u32_u24_sdwa v45, v45, s24 dst_sel:DWORD dst_unused:UNUSED_PAD src0_sel:WORD_1 src1_sel:DWORD
	v_mul_u32_u24_sdwa v57, v46, s24 dst_sel:DWORD dst_unused:UNUSED_PAD src0_sel:WORD_0 src1_sel:DWORD
	v_mul_u32_u24_sdwa v46, v46, s24 dst_sel:DWORD dst_unused:UNUSED_PAD src0_sel:WORD_1 src1_sel:DWORD
	v_pk_fma_f16 v58, v35, v30, v78
	v_pk_fma_f16 v59, v35, v42, v79
	v_pk_fma_f16 v68, v35, v43, v80
	v_pk_fma_f16 v69, v35, v44, v81
	v_pk_fma_f16 v70, v35, v56, v82
	v_pk_fma_f16 v71, v35, v45, v83
	v_pk_fma_f16 v78, v35, v57, v84
	v_pk_fma_f16 v27, v35, v46, v27
	v_pk_fma_f16 v29, v36, v30, v29
	;; [unrolled: 24-line block ×3, first 2 shown]
	v_pk_fma_f16 v78, v38, v41, v30
	v_pk_fma_f16 v31, v38, v42, v31
	;; [unrolled: 1-line block ×7, first 2 shown]
	s_waitcnt vmcnt(0)
	ds_write_b128 v17, v[51:54]
	s_waitcnt lgkmcnt(0)
	s_barrier
	ds_read_b128 v[27:30], v16 offset:512
	ds_read2_b64 v[35:38], v20 offset1:32
	ds_read_b128 v[39:42], v16 offset:528
	ds_read_b128 v[43:46], v16 offset:544
	;; [unrolled: 1-line block ×3, first 2 shown]
	s_waitcnt lgkmcnt(4)
	v_mul_u32_u24_sdwa v51, v27, s24 dst_sel:DWORD dst_unused:UNUSED_PAD src0_sel:WORD_0 src1_sel:DWORD
	v_mul_u32_u24_sdwa v27, v27, s24 dst_sel:DWORD dst_unused:UNUSED_PAD src0_sel:WORD_1 src1_sel:DWORD
	v_mul_u32_u24_sdwa v52, v28, s24 dst_sel:DWORD dst_unused:UNUSED_PAD src0_sel:WORD_0 src1_sel:DWORD
	v_mul_u32_u24_sdwa v28, v28, s24 dst_sel:DWORD dst_unused:UNUSED_PAD src0_sel:WORD_1 src1_sel:DWORD
	;; [unrolled: 2-line block ×4, first 2 shown]
	s_waitcnt lgkmcnt(3)
	v_pk_fma_f16 v55, v35, v51, v55
	v_pk_fma_f16 v56, v35, v27, v56
	;; [unrolled: 1-line block ×16, first 2 shown]
	s_waitcnt lgkmcnt(2)
	v_mul_u32_u24_sdwa v36, v39, s24 dst_sel:DWORD dst_unused:UNUSED_PAD src0_sel:WORD_0 src1_sel:DWORD
	v_mul_u32_u24_sdwa v39, v39, s24 dst_sel:DWORD dst_unused:UNUSED_PAD src0_sel:WORD_1 src1_sel:DWORD
	v_mul_u32_u24_sdwa v53, v40, s24 dst_sel:DWORD dst_unused:UNUSED_PAD src0_sel:WORD_0 src1_sel:DWORD
	v_mul_u32_u24_sdwa v40, v40, s24 dst_sel:DWORD dst_unused:UNUSED_PAD src0_sel:WORD_1 src1_sel:DWORD
	;; [unrolled: 2-line block ×4, first 2 shown]
	v_pk_fma_f16 v55, v37, v36, v55
	v_pk_fma_f16 v56, v37, v39, v56
	;; [unrolled: 1-line block ×16, first 2 shown]
	ds_read2_b64 v[27:30], v20 offset0:64 offset1:96
	s_waitcnt lgkmcnt(2)
	v_mul_u32_u24_sdwa v42, v43, s24 dst_sel:DWORD dst_unused:UNUSED_PAD src0_sel:WORD_0 src1_sel:DWORD
	v_mul_u32_u24_sdwa v43, v43, s24 dst_sel:DWORD dst_unused:UNUSED_PAD src0_sel:WORD_1 src1_sel:DWORD
	v_mul_u32_u24_sdwa v51, v44, s24 dst_sel:DWORD dst_unused:UNUSED_PAD src0_sel:WORD_0 src1_sel:DWORD
	v_mul_u32_u24_sdwa v44, v44, s24 dst_sel:DWORD dst_unused:UNUSED_PAD src0_sel:WORD_1 src1_sel:DWORD
	;; [unrolled: 2-line block ×4, first 2 shown]
	s_waitcnt lgkmcnt(0)
	v_pk_fma_f16 v54, v27, v42, v55
	v_pk_fma_f16 v55, v27, v43, v56
	;; [unrolled: 1-line block ×16, first 2 shown]
	v_mul_u32_u24_sdwa v38, v47, s24 dst_sel:DWORD dst_unused:UNUSED_PAD src0_sel:WORD_0 src1_sel:DWORD
	v_mul_u32_u24_sdwa v41, v47, s24 dst_sel:DWORD dst_unused:UNUSED_PAD src0_sel:WORD_1 src1_sel:DWORD
	v_mul_u32_u24_sdwa v42, v48, s24 dst_sel:DWORD dst_unused:UNUSED_PAD src0_sel:WORD_0 src1_sel:DWORD
	v_mul_u32_u24_sdwa v43, v48, s24 dst_sel:DWORD dst_unused:UNUSED_PAD src0_sel:WORD_1 src1_sel:DWORD
	;; [unrolled: 2-line block ×4, first 2 shown]
	v_pk_fma_f16 v48, v29, v38, v54
	v_pk_fma_f16 v50, v29, v42, v56
	;; [unrolled: 1-line block ×6, first 2 shown]
	ds_read_b128 v[35:38], v16 offset:576
	v_pk_fma_f16 v49, v29, v41, v55
	v_pk_fma_f16 v52, v29, v44, v58
	;; [unrolled: 1-line block ×10, first 2 shown]
	ds_read2_b64 v[27:30], v20 offset0:128 offset1:160
	ds_read_b128 v[39:42], v16 offset:592
	s_waitcnt lgkmcnt(2)
	v_mul_u32_u24_sdwa v47, v35, s24 dst_sel:DWORD dst_unused:UNUSED_PAD src0_sel:WORD_0 src1_sel:DWORD
	v_mul_u32_u24_sdwa v35, v35, s24 dst_sel:DWORD dst_unused:UNUSED_PAD src0_sel:WORD_1 src1_sel:DWORD
	v_mul_u32_u24_sdwa v58, v36, s24 dst_sel:DWORD dst_unused:UNUSED_PAD src0_sel:WORD_0 src1_sel:DWORD
	v_mul_u32_u24_sdwa v36, v36, s24 dst_sel:DWORD dst_unused:UNUSED_PAD src0_sel:WORD_1 src1_sel:DWORD
	;; [unrolled: 2-line block ×4, first 2 shown]
	s_waitcnt lgkmcnt(1)
	v_pk_fma_f16 v48, v27, v47, v48
	v_pk_fma_f16 v49, v27, v35, v49
	;; [unrolled: 1-line block ×16, first 2 shown]
	s_waitcnt lgkmcnt(0)
	v_mul_u32_u24_sdwa v38, v39, s24 dst_sel:DWORD dst_unused:UNUSED_PAD src0_sel:WORD_0 src1_sel:DWORD
	v_mul_u32_u24_sdwa v39, v39, s24 dst_sel:DWORD dst_unused:UNUSED_PAD src0_sel:WORD_1 src1_sel:DWORD
	v_mul_u32_u24_sdwa v44, v40, s24 dst_sel:DWORD dst_unused:UNUSED_PAD src0_sel:WORD_0 src1_sel:DWORD
	v_mul_u32_u24_sdwa v40, v40, s24 dst_sel:DWORD dst_unused:UNUSED_PAD src0_sel:WORD_1 src1_sel:DWORD
	;; [unrolled: 2-line block ×4, first 2 shown]
	v_pk_fma_f16 v48, v29, v38, v48
	v_pk_fma_f16 v50, v29, v44, v50
	;; [unrolled: 1-line block ×9, first 2 shown]
	ds_read_b128 v[35:38], v16 offset:608
	v_pk_fma_f16 v49, v29, v39, v49
	v_pk_fma_f16 v51, v29, v40, v51
	;; [unrolled: 1-line block ×7, first 2 shown]
	ds_read2_b64 v[27:30], v20 offset0:192 offset1:224
	ds_read_b128 v[39:42], v16 offset:624
	s_waitcnt lgkmcnt(2)
	v_mul_u32_u24_sdwa v57, v35, s24 dst_sel:DWORD dst_unused:UNUSED_PAD src0_sel:WORD_0 src1_sel:DWORD
	v_mul_u32_u24_sdwa v35, v35, s24 dst_sel:DWORD dst_unused:UNUSED_PAD src0_sel:WORD_1 src1_sel:DWORD
	v_mul_u32_u24_sdwa v58, v36, s24 dst_sel:DWORD dst_unused:UNUSED_PAD src0_sel:WORD_0 src1_sel:DWORD
	v_mul_u32_u24_sdwa v36, v36, s24 dst_sel:DWORD dst_unused:UNUSED_PAD src0_sel:WORD_1 src1_sel:DWORD
	;; [unrolled: 2-line block ×4, first 2 shown]
	s_waitcnt lgkmcnt(1)
	v_pk_fma_f16 v48, v27, v57, v48
	v_pk_fma_f16 v49, v27, v35, v49
	;; [unrolled: 1-line block ×16, first 2 shown]
	s_waitcnt lgkmcnt(0)
	v_mul_u32_u24_sdwa v38, v39, s24 dst_sel:DWORD dst_unused:UNUSED_PAD src0_sel:WORD_0 src1_sel:DWORD
	v_mul_u32_u24_sdwa v39, v39, s24 dst_sel:DWORD dst_unused:UNUSED_PAD src0_sel:WORD_1 src1_sel:DWORD
	v_mul_u32_u24_sdwa v44, v40, s24 dst_sel:DWORD dst_unused:UNUSED_PAD src0_sel:WORD_0 src1_sel:DWORD
	v_mul_u32_u24_sdwa v40, v40, s24 dst_sel:DWORD dst_unused:UNUSED_PAD src0_sel:WORD_1 src1_sel:DWORD
	;; [unrolled: 2-line block ×4, first 2 shown]
	v_pk_fma_f16 v48, v29, v38, v48
	v_pk_fma_f16 v50, v29, v44, v50
	;; [unrolled: 1-line block ×9, first 2 shown]
	ds_read_b128 v[35:38], v16 offset:640
	v_pk_fma_f16 v49, v29, v39, v49
	v_pk_fma_f16 v51, v29, v40, v51
	;; [unrolled: 1-line block ×7, first 2 shown]
	ds_read2_b64 v[27:30], v26 offset1:32
	ds_read_b128 v[39:42], v16 offset:656
	s_waitcnt lgkmcnt(2)
	v_mul_u32_u24_sdwa v57, v35, s24 dst_sel:DWORD dst_unused:UNUSED_PAD src0_sel:WORD_0 src1_sel:DWORD
	v_mul_u32_u24_sdwa v35, v35, s24 dst_sel:DWORD dst_unused:UNUSED_PAD src0_sel:WORD_1 src1_sel:DWORD
	v_mul_u32_u24_sdwa v58, v36, s24 dst_sel:DWORD dst_unused:UNUSED_PAD src0_sel:WORD_0 src1_sel:DWORD
	v_mul_u32_u24_sdwa v36, v36, s24 dst_sel:DWORD dst_unused:UNUSED_PAD src0_sel:WORD_1 src1_sel:DWORD
	;; [unrolled: 2-line block ×4, first 2 shown]
	s_waitcnt lgkmcnt(1)
	v_pk_fma_f16 v48, v27, v57, v48
	v_pk_fma_f16 v49, v27, v35, v49
	;; [unrolled: 1-line block ×16, first 2 shown]
	s_waitcnt lgkmcnt(0)
	v_mul_u32_u24_sdwa v38, v39, s24 dst_sel:DWORD dst_unused:UNUSED_PAD src0_sel:WORD_0 src1_sel:DWORD
	v_mul_u32_u24_sdwa v39, v39, s24 dst_sel:DWORD dst_unused:UNUSED_PAD src0_sel:WORD_1 src1_sel:DWORD
	v_mul_u32_u24_sdwa v44, v40, s24 dst_sel:DWORD dst_unused:UNUSED_PAD src0_sel:WORD_0 src1_sel:DWORD
	v_mul_u32_u24_sdwa v40, v40, s24 dst_sel:DWORD dst_unused:UNUSED_PAD src0_sel:WORD_1 src1_sel:DWORD
	;; [unrolled: 2-line block ×4, first 2 shown]
	v_pk_fma_f16 v48, v29, v38, v48
	v_pk_fma_f16 v50, v29, v44, v50
	;; [unrolled: 1-line block ×9, first 2 shown]
	ds_read_b128 v[35:38], v16 offset:672
	v_pk_fma_f16 v49, v29, v39, v49
	v_pk_fma_f16 v51, v29, v40, v51
	;; [unrolled: 1-line block ×7, first 2 shown]
	ds_read2_b64 v[27:30], v26 offset0:64 offset1:96
	ds_read_b128 v[39:42], v16 offset:688
	s_waitcnt lgkmcnt(2)
	v_mul_u32_u24_sdwa v57, v35, s24 dst_sel:DWORD dst_unused:UNUSED_PAD src0_sel:WORD_0 src1_sel:DWORD
	v_mul_u32_u24_sdwa v35, v35, s24 dst_sel:DWORD dst_unused:UNUSED_PAD src0_sel:WORD_1 src1_sel:DWORD
	v_mul_u32_u24_sdwa v58, v36, s24 dst_sel:DWORD dst_unused:UNUSED_PAD src0_sel:WORD_0 src1_sel:DWORD
	v_mul_u32_u24_sdwa v36, v36, s24 dst_sel:DWORD dst_unused:UNUSED_PAD src0_sel:WORD_1 src1_sel:DWORD
	;; [unrolled: 2-line block ×4, first 2 shown]
	s_waitcnt lgkmcnt(1)
	v_pk_fma_f16 v48, v27, v57, v48
	v_pk_fma_f16 v49, v27, v35, v49
	;; [unrolled: 1-line block ×16, first 2 shown]
	s_waitcnt lgkmcnt(0)
	v_mul_u32_u24_sdwa v38, v39, s24 dst_sel:DWORD dst_unused:UNUSED_PAD src0_sel:WORD_0 src1_sel:DWORD
	v_mul_u32_u24_sdwa v39, v39, s24 dst_sel:DWORD dst_unused:UNUSED_PAD src0_sel:WORD_1 src1_sel:DWORD
	v_mul_u32_u24_sdwa v44, v40, s24 dst_sel:DWORD dst_unused:UNUSED_PAD src0_sel:WORD_0 src1_sel:DWORD
	v_mul_u32_u24_sdwa v40, v40, s24 dst_sel:DWORD dst_unused:UNUSED_PAD src0_sel:WORD_1 src1_sel:DWORD
	;; [unrolled: 2-line block ×3, first 2 shown]
	v_pk_fma_f16 v48, v29, v38, v48
	v_pk_fma_f16 v47, v30, v38, v47
	;; [unrolled: 1-line block ×5, first 2 shown]
	ds_read_b128 v[35:38], v16 offset:704
	v_mul_u32_u24_sdwa v46, v42, s24 dst_sel:DWORD dst_unused:UNUSED_PAD src0_sel:WORD_0 src1_sel:DWORD
	v_mul_u32_u24_sdwa v42, v42, s24 dst_sel:DWORD dst_unused:UNUSED_PAD src0_sel:WORD_1 src1_sel:DWORD
	v_pk_fma_f16 v49, v29, v39, v49
	v_pk_fma_f16 v50, v29, v44, v50
	;; [unrolled: 1-line block ×11, first 2 shown]
	ds_read2_b64 v[27:30], v26 offset0:128 offset1:160
	ds_read_b128 v[39:42], v16 offset:720
	s_or_b32 s8, s6, 48
	s_mul_hi_i32 s9, s8, s15
	s_mul_i32 s8, s8, s15
	s_waitcnt lgkmcnt(2)
	v_mul_u32_u24_sdwa v31, v35, s24 dst_sel:DWORD dst_unused:UNUSED_PAD src0_sel:WORD_0 src1_sel:DWORD
	v_mul_u32_u24_sdwa v71, v35, s24 dst_sel:DWORD dst_unused:UNUSED_PAD src0_sel:WORD_1 src1_sel:DWORD
	v_mul_u32_u24_sdwa v78, v36, s24 dst_sel:DWORD dst_unused:UNUSED_PAD src0_sel:WORD_0 src1_sel:DWORD
	v_mul_u32_u24_sdwa v79, v36, s24 dst_sel:DWORD dst_unused:UNUSED_PAD src0_sel:WORD_1 src1_sel:DWORD
	v_mul_u32_u24_sdwa v80, v37, s24 dst_sel:DWORD dst_unused:UNUSED_PAD src0_sel:WORD_0 src1_sel:DWORD
	v_mul_u32_u24_sdwa v81, v37, s24 dst_sel:DWORD dst_unused:UNUSED_PAD src0_sel:WORD_1 src1_sel:DWORD
	v_mul_u32_u24_sdwa v82, v38, s24 dst_sel:DWORD dst_unused:UNUSED_PAD src0_sel:WORD_0 src1_sel:DWORD
	v_mul_u32_u24_sdwa v83, v38, s24 dst_sel:DWORD dst_unused:UNUSED_PAD src0_sel:WORD_1 src1_sel:DWORD
	s_lshl_b64 s[8:9], s[8:9], 2
	s_waitcnt lgkmcnt(1)
	v_pk_fma_f16 v84, v27, v31, v48
	v_pk_fma_f16 v85, v27, v71, v49
	;; [unrolled: 1-line block ×9, first 2 shown]
	v_mov_b32_e32 v32, s9
	v_add_co_u32_e32 v31, vcc, s8, v18
	v_addc_co_u32_e32 v32, vcc, v19, v32, vcc
	ds_read2_b64 v[35:38], v26 offset0:192 offset1:224
	ds_read_b128 v[43:46], v16 offset:736
	ds_read_b128 v[47:50], v16 offset:752
	s_waitcnt lgkmcnt(0)
	s_barrier
	global_load_dwordx4 v[51:54], v[31:32], off
	v_pk_fma_f16 v31, v28, v71, v56
	v_pk_fma_f16 v32, v28, v78, v57
	v_pk_fma_f16 v56, v28, v79, v58
	v_pk_fma_f16 v57, v28, v80, v59
	v_pk_fma_f16 v58, v28, v81, v68
	v_pk_fma_f16 v59, v28, v82, v69
	v_pk_fma_f16 v28, v28, v83, v70
	v_mul_u32_u24_sdwa v68, v39, s24 dst_sel:DWORD dst_unused:UNUSED_PAD src0_sel:WORD_0 src1_sel:DWORD
	v_mul_u32_u24_sdwa v39, v39, s24 dst_sel:DWORD dst_unused:UNUSED_PAD src0_sel:WORD_1 src1_sel:DWORD
	v_mul_u32_u24_sdwa v69, v40, s24 dst_sel:DWORD dst_unused:UNUSED_PAD src0_sel:WORD_0 src1_sel:DWORD
	v_mul_u32_u24_sdwa v40, v40, s24 dst_sel:DWORD dst_unused:UNUSED_PAD src0_sel:WORD_1 src1_sel:DWORD
	v_mul_u32_u24_sdwa v70, v41, s24 dst_sel:DWORD dst_unused:UNUSED_PAD src0_sel:WORD_0 src1_sel:DWORD
	v_mul_u32_u24_sdwa v41, v41, s24 dst_sel:DWORD dst_unused:UNUSED_PAD src0_sel:WORD_1 src1_sel:DWORD
	v_mul_u32_u24_sdwa v71, v42, s24 dst_sel:DWORD dst_unused:UNUSED_PAD src0_sel:WORD_0 src1_sel:DWORD
	v_mul_u32_u24_sdwa v42, v42, s24 dst_sel:DWORD dst_unused:UNUSED_PAD src0_sel:WORD_1 src1_sel:DWORD
	v_pk_fma_f16 v78, v29, v68, v84
	v_pk_fma_f16 v79, v29, v39, v85
	v_pk_fma_f16 v80, v29, v69, v86
	v_pk_fma_f16 v81, v29, v40, v87
	v_pk_fma_f16 v82, v29, v70, v88
	v_pk_fma_f16 v83, v29, v41, v89
	v_pk_fma_f16 v84, v29, v71, v90
	v_pk_fma_f16 v27, v29, v42, v27
	v_pk_fma_f16 v29, v30, v68, v55
	v_pk_fma_f16 v31, v30, v39, v31
	v_pk_fma_f16 v32, v30, v69, v32
	v_pk_fma_f16 v39, v30, v40, v56
	v_pk_fma_f16 v40, v30, v70, v57
	v_pk_fma_f16 v41, v30, v41, v58
	v_pk_fma_f16 v55, v30, v71, v59
	v_pk_fma_f16 v28, v30, v42, v28
	v_mul_u32_u24_sdwa v30, v43, s24 dst_sel:DWORD dst_unused:UNUSED_PAD src0_sel:WORD_0 src1_sel:DWORD
	v_mul_u32_u24_sdwa v42, v43, s24 dst_sel:DWORD dst_unused:UNUSED_PAD src0_sel:WORD_1 src1_sel:DWORD
	v_mul_u32_u24_sdwa v43, v44, s24 dst_sel:DWORD dst_unused:UNUSED_PAD src0_sel:WORD_0 src1_sel:DWORD
	v_mul_u32_u24_sdwa v44, v44, s24 dst_sel:DWORD dst_unused:UNUSED_PAD src0_sel:WORD_1 src1_sel:DWORD
	v_mul_u32_u24_sdwa v56, v45, s24 dst_sel:DWORD dst_unused:UNUSED_PAD src0_sel:WORD_0 src1_sel:DWORD
	v_mul_u32_u24_sdwa v45, v45, s24 dst_sel:DWORD dst_unused:UNUSED_PAD src0_sel:WORD_1 src1_sel:DWORD
	v_mul_u32_u24_sdwa v57, v46, s24 dst_sel:DWORD dst_unused:UNUSED_PAD src0_sel:WORD_0 src1_sel:DWORD
	v_mul_u32_u24_sdwa v46, v46, s24 dst_sel:DWORD dst_unused:UNUSED_PAD src0_sel:WORD_1 src1_sel:DWORD
	v_pk_fma_f16 v58, v35, v30, v78
	v_pk_fma_f16 v59, v35, v42, v79
	v_pk_fma_f16 v68, v35, v43, v80
	v_pk_fma_f16 v69, v35, v44, v81
	v_pk_fma_f16 v70, v35, v56, v82
	v_pk_fma_f16 v71, v35, v45, v83
	v_pk_fma_f16 v78, v35, v57, v84
	v_pk_fma_f16 v27, v35, v46, v27
	v_pk_fma_f16 v29, v36, v30, v29
	;; [unrolled: 24-line block ×3, first 2 shown]
	v_pk_fma_f16 v78, v38, v41, v30
	v_pk_fma_f16 v31, v38, v42, v31
	;; [unrolled: 1-line block ×7, first 2 shown]
	s_waitcnt vmcnt(0)
	ds_write_b128 v17, v[51:54]
	s_waitcnt lgkmcnt(0)
	s_barrier
	ds_read_b128 v[27:30], v16 offset:768
	ds_read2_b64 v[35:38], v20 offset1:32
	ds_read_b128 v[39:42], v16 offset:784
	ds_read_b128 v[43:46], v16 offset:800
	;; [unrolled: 1-line block ×3, first 2 shown]
	s_waitcnt lgkmcnt(4)
	v_mul_u32_u24_sdwa v51, v27, s24 dst_sel:DWORD dst_unused:UNUSED_PAD src0_sel:WORD_0 src1_sel:DWORD
	v_mul_u32_u24_sdwa v27, v27, s24 dst_sel:DWORD dst_unused:UNUSED_PAD src0_sel:WORD_1 src1_sel:DWORD
	v_mul_u32_u24_sdwa v52, v28, s24 dst_sel:DWORD dst_unused:UNUSED_PAD src0_sel:WORD_0 src1_sel:DWORD
	v_mul_u32_u24_sdwa v28, v28, s24 dst_sel:DWORD dst_unused:UNUSED_PAD src0_sel:WORD_1 src1_sel:DWORD
	;; [unrolled: 2-line block ×4, first 2 shown]
	s_waitcnt lgkmcnt(3)
	v_pk_fma_f16 v55, v35, v51, v55
	v_pk_fma_f16 v56, v35, v27, v56
	;; [unrolled: 1-line block ×16, first 2 shown]
	s_waitcnt lgkmcnt(2)
	v_mul_u32_u24_sdwa v36, v39, s24 dst_sel:DWORD dst_unused:UNUSED_PAD src0_sel:WORD_0 src1_sel:DWORD
	v_mul_u32_u24_sdwa v39, v39, s24 dst_sel:DWORD dst_unused:UNUSED_PAD src0_sel:WORD_1 src1_sel:DWORD
	v_mul_u32_u24_sdwa v53, v40, s24 dst_sel:DWORD dst_unused:UNUSED_PAD src0_sel:WORD_0 src1_sel:DWORD
	v_mul_u32_u24_sdwa v40, v40, s24 dst_sel:DWORD dst_unused:UNUSED_PAD src0_sel:WORD_1 src1_sel:DWORD
	;; [unrolled: 2-line block ×4, first 2 shown]
	v_pk_fma_f16 v55, v37, v36, v55
	v_pk_fma_f16 v56, v37, v39, v56
	;; [unrolled: 1-line block ×16, first 2 shown]
	ds_read2_b64 v[27:30], v20 offset0:64 offset1:96
	s_waitcnt lgkmcnt(2)
	v_mul_u32_u24_sdwa v42, v43, s24 dst_sel:DWORD dst_unused:UNUSED_PAD src0_sel:WORD_0 src1_sel:DWORD
	v_mul_u32_u24_sdwa v43, v43, s24 dst_sel:DWORD dst_unused:UNUSED_PAD src0_sel:WORD_1 src1_sel:DWORD
	v_mul_u32_u24_sdwa v51, v44, s24 dst_sel:DWORD dst_unused:UNUSED_PAD src0_sel:WORD_0 src1_sel:DWORD
	v_mul_u32_u24_sdwa v44, v44, s24 dst_sel:DWORD dst_unused:UNUSED_PAD src0_sel:WORD_1 src1_sel:DWORD
	;; [unrolled: 2-line block ×4, first 2 shown]
	s_waitcnt lgkmcnt(0)
	v_pk_fma_f16 v54, v27, v42, v55
	v_pk_fma_f16 v55, v27, v43, v56
	;; [unrolled: 1-line block ×16, first 2 shown]
	v_mul_u32_u24_sdwa v38, v47, s24 dst_sel:DWORD dst_unused:UNUSED_PAD src0_sel:WORD_0 src1_sel:DWORD
	v_mul_u32_u24_sdwa v41, v47, s24 dst_sel:DWORD dst_unused:UNUSED_PAD src0_sel:WORD_1 src1_sel:DWORD
	v_mul_u32_u24_sdwa v42, v48, s24 dst_sel:DWORD dst_unused:UNUSED_PAD src0_sel:WORD_0 src1_sel:DWORD
	v_mul_u32_u24_sdwa v43, v48, s24 dst_sel:DWORD dst_unused:UNUSED_PAD src0_sel:WORD_1 src1_sel:DWORD
	;; [unrolled: 2-line block ×4, first 2 shown]
	v_pk_fma_f16 v48, v29, v38, v54
	v_pk_fma_f16 v50, v29, v42, v56
	;; [unrolled: 1-line block ×6, first 2 shown]
	ds_read_b128 v[35:38], v16 offset:832
	v_pk_fma_f16 v49, v29, v41, v55
	v_pk_fma_f16 v52, v29, v44, v58
	v_pk_fma_f16 v53, v29, v45, v59
	v_pk_fma_f16 v54, v29, v46, v68
	v_pk_fma_f16 v55, v29, v47, v27
	v_pk_fma_f16 v31, v30, v42, v31
	v_pk_fma_f16 v32, v30, v44, v32
	v_pk_fma_f16 v44, v30, v45, v39
	v_pk_fma_f16 v45, v30, v46, v40
	v_pk_fma_f16 v46, v30, v47, v28
	ds_read2_b64 v[27:30], v20 offset0:128 offset1:160
	ds_read_b128 v[39:42], v16 offset:848
	s_waitcnt lgkmcnt(2)
	v_mul_u32_u24_sdwa v47, v35, s24 dst_sel:DWORD dst_unused:UNUSED_PAD src0_sel:WORD_0 src1_sel:DWORD
	v_mul_u32_u24_sdwa v35, v35, s24 dst_sel:DWORD dst_unused:UNUSED_PAD src0_sel:WORD_1 src1_sel:DWORD
	v_mul_u32_u24_sdwa v58, v36, s24 dst_sel:DWORD dst_unused:UNUSED_PAD src0_sel:WORD_0 src1_sel:DWORD
	v_mul_u32_u24_sdwa v36, v36, s24 dst_sel:DWORD dst_unused:UNUSED_PAD src0_sel:WORD_1 src1_sel:DWORD
	v_mul_u32_u24_sdwa v59, v37, s24 dst_sel:DWORD dst_unused:UNUSED_PAD src0_sel:WORD_0 src1_sel:DWORD
	v_mul_u32_u24_sdwa v37, v37, s24 dst_sel:DWORD dst_unused:UNUSED_PAD src0_sel:WORD_1 src1_sel:DWORD
	v_mul_u32_u24_sdwa v68, v38, s24 dst_sel:DWORD dst_unused:UNUSED_PAD src0_sel:WORD_0 src1_sel:DWORD
	v_mul_u32_u24_sdwa v38, v38, s24 dst_sel:DWORD dst_unused:UNUSED_PAD src0_sel:WORD_1 src1_sel:DWORD
	s_waitcnt lgkmcnt(1)
	v_pk_fma_f16 v48, v27, v47, v48
	v_pk_fma_f16 v49, v27, v35, v49
	;; [unrolled: 1-line block ×16, first 2 shown]
	s_waitcnt lgkmcnt(0)
	v_mul_u32_u24_sdwa v38, v39, s24 dst_sel:DWORD dst_unused:UNUSED_PAD src0_sel:WORD_0 src1_sel:DWORD
	v_mul_u32_u24_sdwa v39, v39, s24 dst_sel:DWORD dst_unused:UNUSED_PAD src0_sel:WORD_1 src1_sel:DWORD
	v_mul_u32_u24_sdwa v44, v40, s24 dst_sel:DWORD dst_unused:UNUSED_PAD src0_sel:WORD_0 src1_sel:DWORD
	v_mul_u32_u24_sdwa v40, v40, s24 dst_sel:DWORD dst_unused:UNUSED_PAD src0_sel:WORD_1 src1_sel:DWORD
	;; [unrolled: 2-line block ×4, first 2 shown]
	v_pk_fma_f16 v48, v29, v38, v48
	v_pk_fma_f16 v50, v29, v44, v50
	v_pk_fma_f16 v52, v29, v45, v52
	v_pk_fma_f16 v47, v30, v38, v47
	v_pk_fma_f16 v56, v30, v39, v35
	v_pk_fma_f16 v31, v30, v44, v31
	v_pk_fma_f16 v44, v30, v40, v36
	v_pk_fma_f16 v32, v30, v45, v32
	v_pk_fma_f16 v45, v30, v41, v37
	ds_read_b128 v[35:38], v16 offset:864
	v_pk_fma_f16 v49, v29, v39, v49
	v_pk_fma_f16 v51, v29, v40, v51
	;; [unrolled: 1-line block ×7, first 2 shown]
	ds_read2_b64 v[27:30], v20 offset0:192 offset1:224
	ds_read_b128 v[39:42], v16 offset:880
	s_waitcnt lgkmcnt(2)
	v_mul_u32_u24_sdwa v57, v35, s24 dst_sel:DWORD dst_unused:UNUSED_PAD src0_sel:WORD_0 src1_sel:DWORD
	v_mul_u32_u24_sdwa v35, v35, s24 dst_sel:DWORD dst_unused:UNUSED_PAD src0_sel:WORD_1 src1_sel:DWORD
	v_mul_u32_u24_sdwa v58, v36, s24 dst_sel:DWORD dst_unused:UNUSED_PAD src0_sel:WORD_0 src1_sel:DWORD
	v_mul_u32_u24_sdwa v36, v36, s24 dst_sel:DWORD dst_unused:UNUSED_PAD src0_sel:WORD_1 src1_sel:DWORD
	;; [unrolled: 2-line block ×4, first 2 shown]
	s_waitcnt lgkmcnt(1)
	v_pk_fma_f16 v48, v27, v57, v48
	v_pk_fma_f16 v49, v27, v35, v49
	;; [unrolled: 1-line block ×16, first 2 shown]
	s_waitcnt lgkmcnt(0)
	v_mul_u32_u24_sdwa v38, v39, s24 dst_sel:DWORD dst_unused:UNUSED_PAD src0_sel:WORD_0 src1_sel:DWORD
	v_mul_u32_u24_sdwa v39, v39, s24 dst_sel:DWORD dst_unused:UNUSED_PAD src0_sel:WORD_1 src1_sel:DWORD
	v_mul_u32_u24_sdwa v44, v40, s24 dst_sel:DWORD dst_unused:UNUSED_PAD src0_sel:WORD_0 src1_sel:DWORD
	v_mul_u32_u24_sdwa v40, v40, s24 dst_sel:DWORD dst_unused:UNUSED_PAD src0_sel:WORD_1 src1_sel:DWORD
	;; [unrolled: 2-line block ×4, first 2 shown]
	v_pk_fma_f16 v48, v29, v38, v48
	v_pk_fma_f16 v50, v29, v44, v50
	;; [unrolled: 1-line block ×9, first 2 shown]
	ds_read_b128 v[35:38], v16 offset:896
	v_pk_fma_f16 v49, v29, v39, v49
	v_pk_fma_f16 v51, v29, v40, v51
	;; [unrolled: 1-line block ×7, first 2 shown]
	ds_read2_b64 v[27:30], v26 offset1:32
	ds_read_b128 v[39:42], v16 offset:912
	s_waitcnt lgkmcnt(2)
	v_mul_u32_u24_sdwa v57, v35, s24 dst_sel:DWORD dst_unused:UNUSED_PAD src0_sel:WORD_0 src1_sel:DWORD
	v_mul_u32_u24_sdwa v35, v35, s24 dst_sel:DWORD dst_unused:UNUSED_PAD src0_sel:WORD_1 src1_sel:DWORD
	v_mul_u32_u24_sdwa v58, v36, s24 dst_sel:DWORD dst_unused:UNUSED_PAD src0_sel:WORD_0 src1_sel:DWORD
	v_mul_u32_u24_sdwa v36, v36, s24 dst_sel:DWORD dst_unused:UNUSED_PAD src0_sel:WORD_1 src1_sel:DWORD
	;; [unrolled: 2-line block ×4, first 2 shown]
	s_waitcnt lgkmcnt(1)
	v_pk_fma_f16 v48, v27, v57, v48
	v_pk_fma_f16 v49, v27, v35, v49
	;; [unrolled: 1-line block ×16, first 2 shown]
	s_waitcnt lgkmcnt(0)
	v_mul_u32_u24_sdwa v38, v39, s24 dst_sel:DWORD dst_unused:UNUSED_PAD src0_sel:WORD_0 src1_sel:DWORD
	v_mul_u32_u24_sdwa v39, v39, s24 dst_sel:DWORD dst_unused:UNUSED_PAD src0_sel:WORD_1 src1_sel:DWORD
	v_mul_u32_u24_sdwa v44, v40, s24 dst_sel:DWORD dst_unused:UNUSED_PAD src0_sel:WORD_0 src1_sel:DWORD
	v_mul_u32_u24_sdwa v40, v40, s24 dst_sel:DWORD dst_unused:UNUSED_PAD src0_sel:WORD_1 src1_sel:DWORD
	;; [unrolled: 2-line block ×4, first 2 shown]
	v_pk_fma_f16 v48, v29, v38, v48
	v_pk_fma_f16 v50, v29, v44, v50
	;; [unrolled: 1-line block ×9, first 2 shown]
	ds_read_b128 v[35:38], v16 offset:928
	v_pk_fma_f16 v49, v29, v39, v49
	v_pk_fma_f16 v51, v29, v40, v51
	;; [unrolled: 1-line block ×7, first 2 shown]
	ds_read2_b64 v[27:30], v26 offset0:64 offset1:96
	ds_read_b128 v[39:42], v16 offset:944
	s_waitcnt lgkmcnt(2)
	v_mul_u32_u24_sdwa v57, v35, s24 dst_sel:DWORD dst_unused:UNUSED_PAD src0_sel:WORD_0 src1_sel:DWORD
	v_mul_u32_u24_sdwa v35, v35, s24 dst_sel:DWORD dst_unused:UNUSED_PAD src0_sel:WORD_1 src1_sel:DWORD
	v_mul_u32_u24_sdwa v58, v36, s24 dst_sel:DWORD dst_unused:UNUSED_PAD src0_sel:WORD_0 src1_sel:DWORD
	v_mul_u32_u24_sdwa v36, v36, s24 dst_sel:DWORD dst_unused:UNUSED_PAD src0_sel:WORD_1 src1_sel:DWORD
	;; [unrolled: 2-line block ×4, first 2 shown]
	s_waitcnt lgkmcnt(1)
	v_pk_fma_f16 v48, v27, v57, v48
	v_pk_fma_f16 v49, v27, v35, v49
	;; [unrolled: 1-line block ×16, first 2 shown]
	s_waitcnt lgkmcnt(0)
	v_mul_u32_u24_sdwa v38, v39, s24 dst_sel:DWORD dst_unused:UNUSED_PAD src0_sel:WORD_0 src1_sel:DWORD
	v_mul_u32_u24_sdwa v39, v39, s24 dst_sel:DWORD dst_unused:UNUSED_PAD src0_sel:WORD_1 src1_sel:DWORD
	v_mul_u32_u24_sdwa v44, v40, s24 dst_sel:DWORD dst_unused:UNUSED_PAD src0_sel:WORD_0 src1_sel:DWORD
	v_mul_u32_u24_sdwa v40, v40, s24 dst_sel:DWORD dst_unused:UNUSED_PAD src0_sel:WORD_1 src1_sel:DWORD
	;; [unrolled: 2-line block ×4, first 2 shown]
	v_pk_fma_f16 v48, v29, v38, v48
	v_pk_fma_f16 v50, v29, v44, v50
	;; [unrolled: 1-line block ×9, first 2 shown]
	ds_read_b128 v[35:38], v16 offset:960
	v_pk_fma_f16 v49, v29, v39, v49
	v_pk_fma_f16 v51, v29, v40, v51
	;; [unrolled: 1-line block ×7, first 2 shown]
	ds_read2_b64 v[27:30], v26 offset0:128 offset1:160
	ds_read_b128 v[39:42], v16 offset:976
	s_waitcnt lgkmcnt(2)
	v_mul_u32_u24_sdwa v57, v35, s24 dst_sel:DWORD dst_unused:UNUSED_PAD src0_sel:WORD_0 src1_sel:DWORD
	v_mul_u32_u24_sdwa v35, v35, s24 dst_sel:DWORD dst_unused:UNUSED_PAD src0_sel:WORD_1 src1_sel:DWORD
	v_mul_u32_u24_sdwa v58, v36, s24 dst_sel:DWORD dst_unused:UNUSED_PAD src0_sel:WORD_0 src1_sel:DWORD
	v_mul_u32_u24_sdwa v36, v36, s24 dst_sel:DWORD dst_unused:UNUSED_PAD src0_sel:WORD_1 src1_sel:DWORD
	;; [unrolled: 2-line block ×4, first 2 shown]
	s_waitcnt lgkmcnt(1)
	v_pk_fma_f16 v48, v27, v57, v48
	v_pk_fma_f16 v49, v27, v35, v49
	;; [unrolled: 1-line block ×16, first 2 shown]
	s_waitcnt lgkmcnt(0)
	v_mul_u32_u24_sdwa v38, v39, s24 dst_sel:DWORD dst_unused:UNUSED_PAD src0_sel:WORD_0 src1_sel:DWORD
	v_mul_u32_u24_sdwa v39, v39, s24 dst_sel:DWORD dst_unused:UNUSED_PAD src0_sel:WORD_1 src1_sel:DWORD
	v_mul_u32_u24_sdwa v44, v40, s24 dst_sel:DWORD dst_unused:UNUSED_PAD src0_sel:WORD_0 src1_sel:DWORD
	v_mul_u32_u24_sdwa v40, v40, s24 dst_sel:DWORD dst_unused:UNUSED_PAD src0_sel:WORD_1 src1_sel:DWORD
	;; [unrolled: 2-line block ×4, first 2 shown]
	v_pk_fma_f16 v48, v29, v38, v48
	v_pk_fma_f16 v49, v29, v39, v49
	;; [unrolled: 1-line block ×14, first 2 shown]
	ds_read_b128 v[35:38], v16 offset:992
	v_pk_fma_f16 v43, v30, v46, v43
	v_pk_fma_f16 v30, v30, v42, v28
	ds_read2_b64 v[26:29], v26 offset0:192 offset1:224
	ds_read_b128 v[39:42], v16 offset:1008
	s_waitcnt lgkmcnt(0)
	s_barrier
	s_load_dword s8, s[0:1], 0x4
	v_mul_u32_u24_sdwa v46, v35, s24 dst_sel:DWORD dst_unused:UNUSED_PAD src0_sel:WORD_0 src1_sel:DWORD
	v_mul_u32_u24_sdwa v35, v35, s24 dst_sel:DWORD dst_unused:UNUSED_PAD src0_sel:WORD_1 src1_sel:DWORD
	v_mul_u32_u24_sdwa v57, v36, s24 dst_sel:DWORD dst_unused:UNUSED_PAD src0_sel:WORD_0 src1_sel:DWORD
	v_mul_u32_u24_sdwa v36, v36, s24 dst_sel:DWORD dst_unused:UNUSED_PAD src0_sel:WORD_1 src1_sel:DWORD
	;; [unrolled: 2-line block ×4, first 2 shown]
	s_waitcnt lgkmcnt(0)
	s_lshl_b32 s8, s8, 6
	v_pk_fma_f16 v48, v26, v46, v48
	v_pk_fma_f16 v68, v26, v35, v49
	;; [unrolled: 1-line block ×16, first 2 shown]
	v_mul_u32_u24_sdwa v30, v39, s24 dst_sel:DWORD dst_unused:UNUSED_PAD src0_sel:WORD_0 src1_sel:DWORD
	v_mul_u32_u24_sdwa v38, v39, s24 dst_sel:DWORD dst_unused:UNUSED_PAD src0_sel:WORD_1 src1_sel:DWORD
	v_mul_u32_u24_sdwa v44, v40, s24 dst_sel:DWORD dst_unused:UNUSED_PAD src0_sel:WORD_0 src1_sel:DWORD
	v_mul_u32_u24_sdwa v40, v40, s24 dst_sel:DWORD dst_unused:UNUSED_PAD src0_sel:WORD_1 src1_sel:DWORD
	;; [unrolled: 2-line block ×4, first 2 shown]
	s_add_i32 s6, s8, s6
	v_pk_fma_f16 v49, v28, v30, v48
	v_pk_fma_f16 v47, v28, v38, v68
	;; [unrolled: 1-line block ×15, first 2 shown]
	s_cmp_ge_i32 s6, s30
	v_pk_fma_f16 v36, v29, v70, v27
	s_cbranch_scc1 .LBB71_7
; %bb.77:                               ;   in Loop: Header=BB71_12 Depth=1
	v_mov_b32_e32 v59, v1
	v_mov_b32_e32 v58, v2
	;; [unrolled: 1-line block ×16, first 2 shown]
	s_branch .LBB71_12
.LBB71_78:
	v_mov_b32_e32 v24, v16
	v_mov_b32_e32 v23, v15
	;; [unrolled: 1-line block ×8, first 2 shown]
	v_cmp_gt_i32_e32 vcc, s2, v34
	s_and_saveexec_b64 s[0:1], vcc
	s_cbranch_execz .LBB71_9
.LBB71_79:
	s_load_dword s6, s[4:5], 0xd4
	v_mov_b32_e32 v26, 1.0
	s_waitcnt lgkmcnt(0)
	s_cmp_lg_u32 s6, 1
	s_cselect_b64 s[0:1], -1, 0
	s_cmp_eq_u32 s6, 1
	s_cselect_b64 s[4:5], -1, 0
	s_and_b64 vcc, exec, s[0:1]
	s_cbranch_vccnz .LBB71_81
; %bb.80:
	v_div_scale_f32 v25, s[8:9], v9, v9, 1.0
	v_div_scale_f32 v26, vcc, 1.0, v9, 1.0
	v_rcp_f32_e32 v27, v25
	v_fma_f32 v28, -v25, v27, 1.0
	v_fmac_f32_e32 v27, v28, v27
	v_mul_f32_e32 v28, v26, v27
	v_fma_f32 v29, -v25, v28, v26
	v_fmac_f32_e32 v28, v29, v27
	v_fma_f32 v25, -v25, v28, v26
	v_div_fmas_f32 v25, v25, v27, v28
	v_div_fixup_f32 v26, v25, v9, 1.0
.LBB71_81:
	s_mul_i32 s33, s33, s2
	v_add_u32_e32 v9, s33, v34
	v_mul_lo_u32 v9, v9, s3
	v_cmp_eq_u32_e32 vcc, 0, v0
	v_cvt_f32_f16_e32 v0, v49
	v_mov_b32_e32 v32, 0
	v_add_u32_e32 v9, s28, v9
	v_mul_lo_u32 v9, s6, v9
	v_cvt_f32_f16_sdwa v28, v49 dst_sel:DWORD dst_unused:UNUSED_PAD src0_sel:WORD_1
	v_cvt_f32_f16_e32 v29, v50
	s_and_b64 s[2:3], vcc, s[0:1]
	v_add_u32_e32 v25, s7, v9
	v_lshl_add_u32 v31, v25, 7, v33
	v_cvt_f32_f16_sdwa v9, v50 dst_sel:DWORD dst_unused:UNUSED_PAD src0_sel:WORD_1
	v_lshlrev_b64 v[31:32], 2, v[31:32]
	v_mul_f32_e32 v27, v26, v0
	v_mov_b32_e32 v0, s21
	v_add_co_u32_e32 v31, vcc, s20, v31
	v_mul_f32_e32 v28, v26, v28
	v_mul_f32_e32 v29, v26, v29
	;; [unrolled: 1-line block ×3, first 2 shown]
	v_addc_co_u32_e32 v32, vcc, v0, v32, vcc
	global_store_dwordx4 v[31:32], v[27:30], off
	s_and_saveexec_b64 s[0:1], s[2:3]
	s_cbranch_execz .LBB71_83
; %bb.82:
	v_ashrrev_i32_e32 v26, 31, v25
	v_lshlrev_b64 v[26:27], 3, v[25:26]
	v_mov_b32_e32 v0, s23
	v_add_co_u32_e32 v26, vcc, s22, v26
	v_addc_co_u32_e32 v27, vcc, v0, v27, vcc
	v_mov_b32_e32 v0, v1
	v_mov_b32_e32 v1, v17
	global_store_dwordx2 v[26:27], v[0:1], off
.LBB71_83:
	s_or_b64 exec, exec, s[0:1]
	v_cndmask_b32_e64 v0, 0, 1, s[4:5]
	v_cmp_ne_u32_e64 s[0:1], 1, v0
	s_andn2_b64 vcc, exec, s[4:5]
	v_mov_b32_e32 v1, 1.0
	s_cbranch_vccnz .LBB71_85
; %bb.84:
	v_div_scale_f32 v0, s[4:5], v10, v10, 1.0
	v_div_scale_f32 v1, vcc, 1.0, v10, 1.0
	v_rcp_f32_e32 v9, v0
	v_fma_f32 v17, -v0, v9, 1.0
	v_fmac_f32_e32 v9, v17, v9
	v_mul_f32_e32 v17, v1, v9
	v_fma_f32 v26, -v0, v17, v1
	v_fmac_f32_e32 v17, v26, v9
	v_fma_f32 v0, -v0, v17, v1
	v_div_fmas_f32 v0, v0, v9, v17
	v_div_fixup_f32 v1, v0, v10, 1.0
.LBB71_85:
	v_add_u32_e32 v0, s6, v25
	v_cvt_f32_f16_e32 v17, v47
	v_cvt_f32_f16_sdwa v26, v47 dst_sel:DWORD dst_unused:UNUSED_PAD src0_sel:WORD_1
	v_cvt_f32_f16_e32 v27, v48
	v_cvt_f32_f16_sdwa v28, v48 dst_sel:DWORD dst_unused:UNUSED_PAD src0_sel:WORD_1
	v_lshl_add_u32 v9, v0, 7, v33
	v_mov_b32_e32 v10, 0
	v_lshlrev_b64 v[9:10], 2, v[9:10]
	v_mul_f32_e32 v25, v1, v17
	v_mul_f32_e32 v26, v1, v26
	;; [unrolled: 1-line block ×4, first 2 shown]
	v_mov_b32_e32 v1, s21
	v_add_co_u32_e32 v9, vcc, s20, v9
	v_addc_co_u32_e32 v10, vcc, v1, v10, vcc
	global_store_dwordx4 v[9:10], v[25:28], off
	s_and_saveexec_b64 s[4:5], s[2:3]
	s_cbranch_execz .LBB71_87
; %bb.86:
	v_ashrrev_i32_e32 v1, 31, v0
	v_lshlrev_b64 v[9:10], 3, v[0:1]
	v_mov_b32_e32 v1, s23
	v_add_co_u32_e32 v9, vcc, s22, v9
	v_addc_co_u32_e32 v10, vcc, v1, v10, vcc
	v_mov_b32_e32 v17, v2
	global_store_dwordx2 v[9:10], v[17:18], off
.LBB71_87:
	s_or_b64 exec, exec, s[4:5]
	s_and_b64 vcc, exec, s[0:1]
	v_mov_b32_e32 v1, 1.0
	s_cbranch_vccnz .LBB71_89
; %bb.88:
	v_div_scale_f32 v1, s[4:5], v11, v11, 1.0
	v_div_scale_f32 v2, vcc, 1.0, v11, 1.0
	v_rcp_f32_e32 v9, v1
	v_fma_f32 v10, -v1, v9, 1.0
	v_fmac_f32_e32 v9, v10, v9
	v_mul_f32_e32 v10, v2, v9
	v_fma_f32 v17, -v1, v10, v2
	v_fmac_f32_e32 v10, v17, v9
	v_fma_f32 v1, -v1, v10, v2
	v_div_fmas_f32 v1, v1, v9, v10
	v_div_fixup_f32 v1, v1, v11, 1.0
.LBB71_89:
	v_cvt_f32_f16_e32 v2, v45
	v_cvt_f32_f16_sdwa v11, v45 dst_sel:DWORD dst_unused:UNUSED_PAD src0_sel:WORD_1
	v_cvt_f32_f16_e32 v17, v46
	v_cvt_f32_f16_sdwa v18, v46 dst_sel:DWORD dst_unused:UNUSED_PAD src0_sel:WORD_1
	v_add_u32_e32 v0, s6, v0
	v_lshl_add_u32 v9, v0, 7, v33
	v_mov_b32_e32 v10, 0
	v_mul_f32_e32 v25, v1, v2
	v_mul_f32_e32 v26, v1, v11
	v_mul_f32_e32 v27, v1, v17
	v_mul_f32_e32 v28, v1, v18
	v_lshlrev_b64 v[1:2], 2, v[9:10]
	v_mov_b32_e32 v9, s21
	v_add_co_u32_e32 v1, vcc, s20, v1
	v_addc_co_u32_e32 v2, vcc, v9, v2, vcc
	global_store_dwordx4 v[1:2], v[25:28], off
	s_and_saveexec_b64 s[4:5], s[2:3]
	s_cbranch_execz .LBB71_91
; %bb.90:
	v_ashrrev_i32_e32 v1, 31, v0
	v_lshlrev_b64 v[1:2], 3, v[0:1]
	v_mov_b32_e32 v9, s23
	v_add_co_u32_e32 v1, vcc, s22, v1
	v_addc_co_u32_e32 v2, vcc, v9, v2, vcc
	v_mov_b32_e32 v18, v3
	global_store_dwordx2 v[1:2], v[18:19], off
.LBB71_91:
	s_or_b64 exec, exec, s[4:5]
	s_and_b64 vcc, exec, s[0:1]
	v_mov_b32_e32 v1, 1.0
	s_cbranch_vccnz .LBB71_93
; %bb.92:
	v_div_scale_f32 v1, s[4:5], v12, v12, 1.0
	v_div_scale_f32 v2, vcc, 1.0, v12, 1.0
	v_rcp_f32_e32 v3, v1
	v_fma_f32 v9, -v1, v3, 1.0
	v_fmac_f32_e32 v3, v9, v3
	v_mul_f32_e32 v9, v2, v3
	v_fma_f32 v10, -v1, v9, v2
	v_fmac_f32_e32 v9, v10, v3
	v_fma_f32 v1, -v1, v9, v2
	v_div_fmas_f32 v1, v1, v3, v9
	v_div_fixup_f32 v1, v1, v12, 1.0
.LBB71_93:
	v_cvt_f32_f16_e32 v9, v43
	v_cvt_f32_f16_sdwa v10, v43 dst_sel:DWORD dst_unused:UNUSED_PAD src0_sel:WORD_1
	v_cvt_f32_f16_e32 v11, v44
	v_cvt_f32_f16_sdwa v12, v44 dst_sel:DWORD dst_unused:UNUSED_PAD src0_sel:WORD_1
	v_add_u32_e32 v0, s6, v0
	v_lshl_add_u32 v2, v0, 7, v33
	v_mov_b32_e32 v3, 0
	v_mul_f32_e32 v9, v1, v9
	v_mul_f32_e32 v10, v1, v10
	v_mul_f32_e32 v11, v1, v11
	v_mul_f32_e32 v12, v1, v12
	v_lshlrev_b64 v[1:2], 2, v[2:3]
	v_mov_b32_e32 v3, s21
	v_add_co_u32_e32 v1, vcc, s20, v1
	v_addc_co_u32_e32 v2, vcc, v3, v2, vcc
	global_store_dwordx4 v[1:2], v[9:12], off
	s_and_saveexec_b64 s[4:5], s[2:3]
	s_cbranch_execz .LBB71_95
; %bb.94:
	v_ashrrev_i32_e32 v1, 31, v0
	v_lshlrev_b64 v[1:2], 3, v[0:1]
	v_mov_b32_e32 v3, s23
	v_add_co_u32_e32 v1, vcc, s22, v1
	v_addc_co_u32_e32 v2, vcc, v3, v2, vcc
	v_mov_b32_e32 v19, v4
	global_store_dwordx2 v[1:2], v[19:20], off
.LBB71_95:
	s_or_b64 exec, exec, s[4:5]
	s_and_b64 vcc, exec, s[0:1]
	v_mov_b32_e32 v1, 1.0
	s_cbranch_vccnz .LBB71_97
; %bb.96:
	v_div_scale_f32 v1, s[4:5], v13, v13, 1.0
	v_div_scale_f32 v2, vcc, 1.0, v13, 1.0
	v_rcp_f32_e32 v3, v1
	v_fma_f32 v4, -v1, v3, 1.0
	v_fmac_f32_e32 v3, v4, v3
	v_mul_f32_e32 v4, v2, v3
	v_fma_f32 v9, -v1, v4, v2
	v_fmac_f32_e32 v4, v9, v3
	v_fma_f32 v1, -v1, v4, v2
	v_div_fmas_f32 v1, v1, v3, v4
	v_div_fixup_f32 v1, v1, v13, 1.0
.LBB71_97:
	v_cvt_f32_f16_e32 v4, v41
	v_cvt_f32_f16_sdwa v10, v41 dst_sel:DWORD dst_unused:UNUSED_PAD src0_sel:WORD_1
	v_cvt_f32_f16_e32 v11, v42
	v_cvt_f32_f16_sdwa v12, v42 dst_sel:DWORD dst_unused:UNUSED_PAD src0_sel:WORD_1
	v_add_u32_e32 v0, s6, v0
	v_lshl_add_u32 v2, v0, 7, v33
	v_mov_b32_e32 v3, 0
	v_mul_f32_e32 v9, v1, v4
	v_mul_f32_e32 v10, v1, v10
	v_mul_f32_e32 v11, v1, v11
	v_mul_f32_e32 v12, v1, v12
	v_lshlrev_b64 v[1:2], 2, v[2:3]
	v_mov_b32_e32 v3, s21
	v_add_co_u32_e32 v1, vcc, s20, v1
	v_addc_co_u32_e32 v2, vcc, v3, v2, vcc
	global_store_dwordx4 v[1:2], v[9:12], off
	s_and_saveexec_b64 s[4:5], s[2:3]
	s_cbranch_execz .LBB71_99
; %bb.98:
	v_ashrrev_i32_e32 v1, 31, v0
	v_lshlrev_b64 v[1:2], 3, v[0:1]
	v_mov_b32_e32 v3, s23
	v_add_co_u32_e32 v1, vcc, s22, v1
	v_addc_co_u32_e32 v2, vcc, v3, v2, vcc
	v_mov_b32_e32 v20, v5
	global_store_dwordx2 v[1:2], v[20:21], off
.LBB71_99:
	s_or_b64 exec, exec, s[4:5]
	s_and_b64 vcc, exec, s[0:1]
	v_mov_b32_e32 v1, 1.0
	s_cbranch_vccnz .LBB71_101
; %bb.100:
	v_div_scale_f32 v1, s[4:5], v14, v14, 1.0
	v_div_scale_f32 v2, vcc, 1.0, v14, 1.0
	v_rcp_f32_e32 v3, v1
	v_fma_f32 v4, -v1, v3, 1.0
	v_fmac_f32_e32 v3, v4, v3
	v_mul_f32_e32 v4, v2, v3
	v_fma_f32 v5, -v1, v4, v2
	v_fmac_f32_e32 v4, v5, v3
	v_fma_f32 v1, -v1, v4, v2
	v_div_fmas_f32 v1, v1, v3, v4
	v_div_fixup_f32 v1, v1, v14, 1.0
.LBB71_101:
	v_add_u32_e32 v0, s6, v0
	v_cvt_f32_f16_e32 v2, v39
	v_cvt_f32_f16_sdwa v3, v39 dst_sel:DWORD dst_unused:UNUSED_PAD src0_sel:WORD_1
	v_cvt_f32_f16_e32 v4, v40
	v_cvt_f32_f16_sdwa v5, v40 dst_sel:DWORD dst_unused:UNUSED_PAD src0_sel:WORD_1
	v_lshl_add_u32 v9, v0, 7, v33
	v_mov_b32_e32 v10, 0
	v_lshlrev_b64 v[9:10], 2, v[9:10]
	v_mul_f32_e32 v2, v1, v2
	v_mul_f32_e32 v3, v1, v3
	v_mul_f32_e32 v4, v1, v4
	v_mul_f32_e32 v5, v1, v5
	v_mov_b32_e32 v1, s21
	v_add_co_u32_e32 v9, vcc, s20, v9
	v_addc_co_u32_e32 v10, vcc, v1, v10, vcc
	global_store_dwordx4 v[9:10], v[2:5], off
	s_and_saveexec_b64 s[4:5], s[2:3]
	s_cbranch_execz .LBB71_103
; %bb.102:
	v_ashrrev_i32_e32 v1, 31, v0
	v_lshlrev_b64 v[1:2], 3, v[0:1]
	v_mov_b32_e32 v3, s23
	v_add_co_u32_e32 v1, vcc, s22, v1
	v_addc_co_u32_e32 v2, vcc, v3, v2, vcc
	v_mov_b32_e32 v21, v6
	global_store_dwordx2 v[1:2], v[21:22], off
.LBB71_103:
	s_or_b64 exec, exec, s[4:5]
	s_and_b64 vcc, exec, s[0:1]
	v_mov_b32_e32 v1, 1.0
	s_cbranch_vccnz .LBB71_105
; %bb.104:
	v_div_scale_f32 v1, s[4:5], v15, v15, 1.0
	v_div_scale_f32 v2, vcc, 1.0, v15, 1.0
	v_rcp_f32_e32 v3, v1
	v_fma_f32 v4, -v1, v3, 1.0
	v_fmac_f32_e32 v3, v4, v3
	v_mul_f32_e32 v4, v2, v3
	v_fma_f32 v5, -v1, v4, v2
	v_fmac_f32_e32 v4, v5, v3
	v_fma_f32 v1, -v1, v4, v2
	v_div_fmas_f32 v1, v1, v3, v4
	v_div_fixup_f32 v1, v1, v15, 1.0
.LBB71_105:
	v_add_u32_e32 v0, s6, v0
	v_cvt_f32_f16_e32 v2, v37
	v_cvt_f32_f16_sdwa v3, v37 dst_sel:DWORD dst_unused:UNUSED_PAD src0_sel:WORD_1
	v_cvt_f32_f16_e32 v4, v38
	v_cvt_f32_f16_sdwa v5, v38 dst_sel:DWORD dst_unused:UNUSED_PAD src0_sel:WORD_1
	v_lshl_add_u32 v9, v0, 7, v33
	v_mov_b32_e32 v10, 0
	v_lshlrev_b64 v[9:10], 2, v[9:10]
	v_mul_f32_e32 v2, v1, v2
	v_mul_f32_e32 v3, v1, v3
	v_mul_f32_e32 v4, v1, v4
	v_mul_f32_e32 v5, v1, v5
	;; [unrolled: 44-line block ×3, first 2 shown]
	v_mov_b32_e32 v1, s21
	v_add_co_u32_e32 v6, vcc, s20, v6
	v_addc_co_u32_e32 v7, vcc, v1, v7, vcc
	global_store_dwordx4 v[6:7], v[2:5], off
	s_and_b64 exec, exec, s[2:3]
	s_cbranch_execz .LBB71_9
; %bb.110:
	v_ashrrev_i32_e32 v1, 31, v0
	v_lshlrev_b64 v[0:1], 3, v[0:1]
	v_mov_b32_e32 v2, s23
	v_add_co_u32_e32 v0, vcc, s22, v0
	v_addc_co_u32_e32 v1, vcc, v2, v1, vcc
	v_mov_b32_e32 v23, v8
	global_store_dwordx2 v[0:1], v[23:24], off
	s_endpgm
	.section	.rodata,"a",@progbits
	.p2align	6, 0x0
	.amdhsa_kernel _ZL15flash_attn_tileILi128ELi128ELi8ELi8ELb1EEvPKcS1_S1_S1_S1_PKiPfP15HIP_vector_typeIfLj2EEffffjfiS5_IjLj3EEiiiiiiiiiiiliiliiiiil
		.amdhsa_group_segment_fixed_size 29696
		.amdhsa_private_segment_fixed_size 0
		.amdhsa_kernarg_size 464
		.amdhsa_user_sgpr_count 6
		.amdhsa_user_sgpr_private_segment_buffer 1
		.amdhsa_user_sgpr_dispatch_ptr 0
		.amdhsa_user_sgpr_queue_ptr 0
		.amdhsa_user_sgpr_kernarg_segment_ptr 1
		.amdhsa_user_sgpr_dispatch_id 0
		.amdhsa_user_sgpr_flat_scratch_init 0
		.amdhsa_user_sgpr_private_segment_size 0
		.amdhsa_uses_dynamic_stack 0
		.amdhsa_system_sgpr_private_segment_wavefront_offset 0
		.amdhsa_system_sgpr_workgroup_id_x 1
		.amdhsa_system_sgpr_workgroup_id_y 1
		.amdhsa_system_sgpr_workgroup_id_z 1
		.amdhsa_system_sgpr_workgroup_info 0
		.amdhsa_system_vgpr_workitem_id 1
		.amdhsa_next_free_vgpr 110
		.amdhsa_next_free_sgpr 98
		.amdhsa_reserve_vcc 1
		.amdhsa_reserve_flat_scratch 0
		.amdhsa_float_round_mode_32 0
		.amdhsa_float_round_mode_16_64 0
		.amdhsa_float_denorm_mode_32 3
		.amdhsa_float_denorm_mode_16_64 3
		.amdhsa_dx10_clamp 1
		.amdhsa_ieee_mode 1
		.amdhsa_fp16_overflow 0
		.amdhsa_exception_fp_ieee_invalid_op 0
		.amdhsa_exception_fp_denorm_src 0
		.amdhsa_exception_fp_ieee_div_zero 0
		.amdhsa_exception_fp_ieee_overflow 0
		.amdhsa_exception_fp_ieee_underflow 0
		.amdhsa_exception_fp_ieee_inexact 0
		.amdhsa_exception_int_div_zero 0
	.end_amdhsa_kernel
	.section	.text._ZL15flash_attn_tileILi128ELi128ELi8ELi8ELb1EEvPKcS1_S1_S1_S1_PKiPfP15HIP_vector_typeIfLj2EEffffjfiS5_IjLj3EEiiiiiiiiiiiliiliiiiil,"axG",@progbits,_ZL15flash_attn_tileILi128ELi128ELi8ELi8ELb1EEvPKcS1_S1_S1_S1_PKiPfP15HIP_vector_typeIfLj2EEffffjfiS5_IjLj3EEiiiiiiiiiiiliiliiiiil,comdat
.Lfunc_end71:
	.size	_ZL15flash_attn_tileILi128ELi128ELi8ELi8ELb1EEvPKcS1_S1_S1_S1_PKiPfP15HIP_vector_typeIfLj2EEffffjfiS5_IjLj3EEiiiiiiiiiiiliiliiiiil, .Lfunc_end71-_ZL15flash_attn_tileILi128ELi128ELi8ELi8ELb1EEvPKcS1_S1_S1_S1_PKiPfP15HIP_vector_typeIfLj2EEffffjfiS5_IjLj3EEiiiiiiiiiiiliiliiiiil
                                        ; -- End function
	.set _ZL15flash_attn_tileILi128ELi128ELi8ELi8ELb1EEvPKcS1_S1_S1_S1_PKiPfP15HIP_vector_typeIfLj2EEffffjfiS5_IjLj3EEiiiiiiiiiiiliiliiiiil.num_vgpr, 110
	.set _ZL15flash_attn_tileILi128ELi128ELi8ELi8ELb1EEvPKcS1_S1_S1_S1_PKiPfP15HIP_vector_typeIfLj2EEffffjfiS5_IjLj3EEiiiiiiiiiiiliiliiiiil.num_agpr, 0
	.set _ZL15flash_attn_tileILi128ELi128ELi8ELi8ELb1EEvPKcS1_S1_S1_S1_PKiPfP15HIP_vector_typeIfLj2EEffffjfiS5_IjLj3EEiiiiiiiiiiiliiliiiiil.numbered_sgpr, 40
	.set _ZL15flash_attn_tileILi128ELi128ELi8ELi8ELb1EEvPKcS1_S1_S1_S1_PKiPfP15HIP_vector_typeIfLj2EEffffjfiS5_IjLj3EEiiiiiiiiiiiliiliiiiil.num_named_barrier, 0
	.set _ZL15flash_attn_tileILi128ELi128ELi8ELi8ELb1EEvPKcS1_S1_S1_S1_PKiPfP15HIP_vector_typeIfLj2EEffffjfiS5_IjLj3EEiiiiiiiiiiiliiliiiiil.private_seg_size, 0
	.set _ZL15flash_attn_tileILi128ELi128ELi8ELi8ELb1EEvPKcS1_S1_S1_S1_PKiPfP15HIP_vector_typeIfLj2EEffffjfiS5_IjLj3EEiiiiiiiiiiiliiliiiiil.uses_vcc, 1
	.set _ZL15flash_attn_tileILi128ELi128ELi8ELi8ELb1EEvPKcS1_S1_S1_S1_PKiPfP15HIP_vector_typeIfLj2EEffffjfiS5_IjLj3EEiiiiiiiiiiiliiliiiiil.uses_flat_scratch, 0
	.set _ZL15flash_attn_tileILi128ELi128ELi8ELi8ELb1EEvPKcS1_S1_S1_S1_PKiPfP15HIP_vector_typeIfLj2EEffffjfiS5_IjLj3EEiiiiiiiiiiiliiliiiiil.has_dyn_sized_stack, 0
	.set _ZL15flash_attn_tileILi128ELi128ELi8ELi8ELb1EEvPKcS1_S1_S1_S1_PKiPfP15HIP_vector_typeIfLj2EEffffjfiS5_IjLj3EEiiiiiiiiiiiliiliiiiil.has_recursion, 0
	.set _ZL15flash_attn_tileILi128ELi128ELi8ELi8ELb1EEvPKcS1_S1_S1_S1_PKiPfP15HIP_vector_typeIfLj2EEffffjfiS5_IjLj3EEiiiiiiiiiiiliiliiiiil.has_indirect_call, 0
	.section	.AMDGPU.csdata,"",@progbits
; Kernel info:
; codeLenInByte = 37104
; TotalNumSgprs: 44
; NumVgprs: 110
; ScratchSize: 0
; MemoryBound: 0
; FloatMode: 240
; IeeeMode: 1
; LDSByteSize: 29696 bytes/workgroup (compile time only)
; SGPRBlocks: 12
; VGPRBlocks: 27
; NumSGPRsForWavesPerEU: 102
; NumVGPRsForWavesPerEU: 110
; Occupancy: 2
; WaveLimiterHint : 1
; COMPUTE_PGM_RSRC2:SCRATCH_EN: 0
; COMPUTE_PGM_RSRC2:USER_SGPR: 6
; COMPUTE_PGM_RSRC2:TRAP_HANDLER: 0
; COMPUTE_PGM_RSRC2:TGID_X_EN: 1
; COMPUTE_PGM_RSRC2:TGID_Y_EN: 1
; COMPUTE_PGM_RSRC2:TGID_Z_EN: 1
; COMPUTE_PGM_RSRC2:TIDIG_COMP_CNT: 1
	.section	.text._ZL15flash_attn_tileILi128ELi128ELi4ELi8ELb1EEvPKcS1_S1_S1_S1_PKiPfP15HIP_vector_typeIfLj2EEffffjfiS5_IjLj3EEiiiiiiiiiiiliiliiiiil,"axG",@progbits,_ZL15flash_attn_tileILi128ELi128ELi4ELi8ELb1EEvPKcS1_S1_S1_S1_PKiPfP15HIP_vector_typeIfLj2EEffffjfiS5_IjLj3EEiiiiiiiiiiiliiliiiiil,comdat
	.globl	_ZL15flash_attn_tileILi128ELi128ELi4ELi8ELb1EEvPKcS1_S1_S1_S1_PKiPfP15HIP_vector_typeIfLj2EEffffjfiS5_IjLj3EEiiiiiiiiiiiliiliiiiil ; -- Begin function _ZL15flash_attn_tileILi128ELi128ELi4ELi8ELb1EEvPKcS1_S1_S1_S1_PKiPfP15HIP_vector_typeIfLj2EEffffjfiS5_IjLj3EEiiiiiiiiiiiliiliiiiil
	.p2align	8
	.type	_ZL15flash_attn_tileILi128ELi128ELi4ELi8ELb1EEvPKcS1_S1_S1_S1_PKiPfP15HIP_vector_typeIfLj2EEffffjfiS5_IjLj3EEiiiiiiiiiiiliiliiiiil,@function
_ZL15flash_attn_tileILi128ELi128ELi4ELi8ELb1EEvPKcS1_S1_S1_S1_PKiPfP15HIP_vector_typeIfLj2EEffffjfiS5_IjLj3EEiiiiiiiiiiiliiliiiiil: ; @_ZL15flash_attn_tileILi128ELi128ELi4ELi8ELb1EEvPKcS1_S1_S1_S1_PKiPfP15HIP_vector_typeIfLj2EEffffjfiS5_IjLj3EEiiiiiiiiiiiliiliiiiil
; %bb.0:
	s_load_dwordx4 s[0:3], s[4:5], 0x5c
	s_load_dwordx2 s[28:29], s[4:5], 0x80
	s_load_dwordx2 s[34:35], s[4:5], 0xb8
	s_mov_b64 s[30:31], 0
	s_waitcnt lgkmcnt(0)
	s_ashr_i32 s9, s3, 31
	s_lshr_b32 s9, s9, 29
	s_add_i32 s9, s3, s9
	s_ashr_i32 s9, s9, 3
	v_cvt_f32_u32_e32 v2, s9
	s_sub_i32 s10, 0, s9
	v_rcp_iflag_f32_e32 v2, v2
	v_mul_f32_e32 v2, 0x4f7ffffe, v2
	v_cvt_u32_f32_e32 v2, v2
	v_readfirstlane_b32 s11, v2
	s_mul_i32 s10, s10, s11
	s_mul_hi_u32 s10, s11, s10
	s_add_i32 s11, s11, s10
	s_mul_hi_u32 s10, s8, s11
	s_mul_i32 s11, s10, s9
	s_sub_i32 s11, s8, s11
	s_add_i32 s12, s10, 1
	s_sub_i32 s13, s11, s9
	s_cmp_ge_u32 s11, s9
	s_cselect_b32 s10, s12, s10
	s_cselect_b32 s11, s13, s11
	s_add_i32 s12, s10, 1
	s_cmp_ge_u32 s11, s9
	s_cselect_b32 s33, s12, s10
	s_abs_i32 s9, s29
	v_cvt_f32_u32_e32 v2, s9
	s_lshl_b32 s8, s8, 3
	s_mul_i32 s12, s33, s3
	s_xor_b32 s10, s3, s29
	v_rcp_iflag_f32_e32 v2, v2
	s_sub_i32 s13, 0, s9
	s_sub_i32 s29, s8, s12
	s_abs_i32 s11, s3
	v_mul_f32_e32 v2, 0x4f7ffffe, v2
	v_cvt_u32_f32_e32 v2, v2
	s_ashr_i32 s10, s10, 31
	v_readfirstlane_b32 s8, v2
	s_mul_i32 s13, s13, s8
	s_mul_hi_u32 s12, s8, s13
	s_add_i32 s8, s8, s12
	s_mul_hi_u32 s8, s11, s8
	s_mul_i32 s12, s8, s9
	s_sub_i32 s11, s11, s12
	s_add_i32 s13, s8, 1
	s_sub_i32 s12, s11, s9
	s_cmp_ge_u32 s11, s9
	s_cselect_b32 s8, s13, s8
	s_cselect_b32 s11, s12, s11
	s_add_i32 s12, s8, 1
	s_cmp_ge_u32 s11, s9
	s_cselect_b32 s8, s12, s8
	s_xor_b32 s8, s8, s10
	s_sub_i32 s37, s8, s10
	s_abs_i32 s36, s37
	v_cvt_f32_u32_e32 v2, s36
	s_load_dwordx16 s[8:23], s[4:5], 0x0
	v_rcp_iflag_f32_e32 v2, v2
	s_waitcnt lgkmcnt(0)
	s_cmp_eq_u64 s[14:15], 0
	v_mul_f32_e32 v2, 0x4f7ffffe, v2
	v_cvt_u32_f32_e32 v2, v2
	v_readfirstlane_b32 s24, v2
	s_cbranch_scc1 .LBB72_2
; %bb.1:
	s_abs_i32 s25, s34
	v_cvt_f32_u32_e32 v2, s25
	s_sub_i32 s34, 0, s25
	s_abs_i32 s31, s33
	s_ashr_i32 s30, s33, 31
	v_rcp_iflag_f32_e32 v2, v2
	s_load_dwordx2 s[26:27], s[4:5], 0xc8
	v_mul_f32_e32 v2, 0x4f7ffffe, v2
	v_cvt_u32_f32_e32 v2, v2
	v_readfirstlane_b32 s38, v2
	s_mul_i32 s34, s34, s38
	s_mul_hi_u32 s34, s38, s34
	s_add_i32 s38, s38, s34
	s_mul_hi_u32 s34, s31, s38
	s_mul_i32 s34, s34, s25
	s_sub_i32 s31, s31, s34
	s_sub_i32 s34, s31, s25
	s_cmp_ge_u32 s31, s25
	s_cselect_b32 s31, s34, s31
	s_sub_i32 s34, s31, s25
	s_cmp_ge_u32 s31, s25
	s_cselect_b32 s25, s34, s31
	s_xor_b32 s25, s25, s30
	s_sub_i32 s25, s25, s30
	s_ashr_i32 s30, s25, 31
	s_waitcnt lgkmcnt(0)
	s_mul_hi_u32 s31, s26, s25
	s_mul_i32 s30, s26, s30
	s_mul_i32 s27, s27, s25
	s_add_i32 s30, s31, s30
	s_add_i32 s27, s30, s27
	s_mul_i32 s25, s26, s25
	s_add_u32 s30, s14, s25
	s_addc_u32 s31, s15, s27
.LBB72_2:
	v_lshrrev_b32_e32 v2, 1, v1
	s_load_dwordx4 s[40:43], s[4:5], 0x70
	v_lshl_add_u32 v14, s6, 2, v2
	v_mul_hi_u32 v2, s0, v14
	v_lshlrev_b32_e32 v10, 4, v0
	s_waitcnt lgkmcnt(0)
	s_mul_i32 s0, s33, s42
	v_add_u32_e32 v2, v14, v2
	s_ashr_i32 s15, s0, 31
	v_lshrrev_b32_e32 v2, s1, v2
	s_mul_i32 s14, s29, s41
	s_add_u32 s0, s8, s0
	v_mul_lo_u32 v2, v2, s2
	s_addc_u32 s8, s9, s15
	s_ashr_i32 s9, s14, 31
	s_add_u32 s14, s0, s14
	s_addc_u32 s15, s8, s9
	s_ashr_i32 s9, s41, 31
	s_mov_b32 s8, s41
	s_ashr_i32 s41, s40, 31
	v_sub_u32_e32 v2, v14, v2
	s_lshr_b64 s[0:1], s[40:41], 2
	v_mad_u64_u32 v[4:5], s[0:1], s0, v2, 0
	s_lshr_b32 s0, s41, 2
	v_mov_b32_e32 v3, v5
	v_mad_u64_u32 v[5:6], s[0:1], s0, v2, v[3:4]
	v_lshlrev_b32_e32 v3, 2, v1
	v_or_b32_e32 v13, 1, v3
	v_lshlrev_b64 v[4:5], 2, v[4:5]
	s_lshr_b64 s[0:1], s[8:9], 2
	v_mov_b32_e32 v6, s15
	v_add_co_u32_e32 v8, vcc, s14, v4
	v_and_b32_e32 v15, 4, v3
	s_lshr_b32 s14, s9, 2
	v_and_b32_e32 v12, 5, v13
	v_addc_co_u32_e32 v9, vcc, v6, v5, vcc
	v_mul_lo_u32 v11, s14, v15
	v_mad_u64_u32 v[4:5], s[8:9], s0, v15, 0
	v_mad_u64_u32 v[6:7], s[8:9], s0, v12, 0
	v_add_co_u32_e32 v24, vcc, v8, v10
	v_or_b32_e32 v5, v5, v11
	v_mad_u64_u32 v[7:8], s[8:9], s14, v12, v[7:8]
	v_lshlrev_b64 v[4:5], 2, v[4:5]
	v_addc_co_u32_e32 v25, vcc, 0, v9, vcc
	v_add_co_u32_e32 v16, vcc, v24, v4
	v_addc_co_u32_e32 v17, vcc, v25, v5, vcc
	v_lshlrev_b64 v[4:5], 2, v[6:7]
	v_or_b32_e32 v26, 2, v3
	v_add_co_u32_e32 v18, vcc, v24, v4
	v_addc_co_u32_e32 v19, vcc, v25, v5, vcc
	global_load_dwordx4 v[5:8], v[16:17], off
	global_load_dwordx4 v[9:12], v[18:19], off
	v_and_b32_e32 v18, 6, v26
	v_mad_u64_u32 v[16:17], s[8:9], s0, v18, 0
	v_or_b32_e32 v27, 3, v3
	v_and_b32_e32 v28, 7, v27
	v_mov_b32_e32 v4, v17
	v_mad_u64_u32 v[22:23], s[0:1], s0, v28, 0
	s_cmp_eq_u64 s[18:19], 0
	s_waitcnt vmcnt(1)
	v_mad_u64_u32 v[17:18], s[8:9], s14, v18, v[4:5]
	v_mov_b32_e32 v4, v23
	v_lshlrev_b64 v[16:17], 2, v[16:17]
	v_add_co_u32_e32 v16, vcc, v24, v16
	v_addc_co_u32_e32 v17, vcc, v25, v17, vcc
	global_load_dwordx4 v[18:21], v[16:17], off
	v_mad_u64_u32 v[16:17], s[0:1], s14, v28, v[4:5]
	s_load_dword s0, s[4:5], 0x40
	v_lshlrev_b32_e32 v4, 10, v1
	v_mov_b32_e32 v23, v16
	v_lshlrev_b64 v[16:17], 2, v[22:23]
	v_add_co_u32_e32 v16, vcc, v24, v16
	v_addc_co_u32_e32 v17, vcc, v25, v17, vcc
	global_load_dwordx4 v[22:25], v[16:17], off
	s_waitcnt lgkmcnt(0)
	v_fma_mixlo_f16 v5, s0, v5, 0
	v_fma_mixlo_f16 v6, s0, v6, 0
	v_lshlrev_b32_e32 v17, 3, v0
	v_fma_mixlo_f16 v7, s0, v7, 0
	v_fma_mixlo_f16 v8, s0, v8, 0
	v_lshlrev_b32_e32 v6, 16, v6
	v_and_b32_e32 v5, 0xffff, v5
	v_add_u32_e32 v16, 0x2400, v17
	v_lshlrev_b32_e32 v8, 16, v8
	v_and_b32_e32 v7, 0xffff, v7
	v_or_b32_e32 v5, v6, v5
	v_add_u32_e32 v28, v16, v4
	s_waitcnt vmcnt(2)
	v_fma_mixlo_f16 v9, s0, v9, 0
	v_fma_mixlo_f16 v10, s0, v10, 0
	v_or3_b32 v6, v8, v7, 0
	v_or3_b32 v5, 0, 0, v5
	ds_write_b64 v28, v[5:6]
	v_lshlrev_b32_e32 v5, 16, v10
	v_and_b32_e32 v6, 0xffff, v9
	v_or_b32_e32 v5, v5, v6
	v_fma_mixlo_f16 v6, s0, v11, 0
	v_fma_mixlo_f16 v7, s0, v12, 0
	v_lshlrev_b32_e32 v7, 16, v7
	v_and_b32_e32 v6, 0xffff, v6
	v_lshl_add_u32 v8, v13, 8, v16
	v_or3_b32 v6, v7, v6, 0
	v_or3_b32 v5, 0, 0, v5
	ds_write_b64 v8, v[5:6]
	v_lshl_add_u32 v8, v26, 8, v16
	s_waitcnt vmcnt(1)
	v_fma_mixlo_f16 v5, s0, v18, 0
	v_fma_mixlo_f16 v6, s0, v19, 0
	v_lshlrev_b32_e32 v6, 16, v6
	v_and_b32_e32 v5, 0xffff, v5
	v_or_b32_e32 v5, v6, v5
	v_fma_mixlo_f16 v6, s0, v20, 0
	v_fma_mixlo_f16 v7, s0, v21, 0
	v_lshlrev_b32_e32 v7, 16, v7
	v_and_b32_e32 v6, 0xffff, v6
	v_or3_b32 v6, v7, v6, 0
	v_or3_b32 v5, 0, 0, v5
	ds_write_b64 v8, v[5:6]
	s_waitcnt vmcnt(0)
	v_fma_mixlo_f16 v5, s0, v22, 0
	v_fma_mixlo_f16 v6, s0, v23, 0
	v_lshlrev_b32_e32 v6, 16, v6
	v_and_b32_e32 v5, 0xffff, v5
	v_or_b32_e32 v5, v6, v5
	v_fma_mixlo_f16 v6, s0, v24, 0
	v_fma_mixlo_f16 v7, s0, v25, 0
	v_lshlrev_b32_e32 v7, 16, v7
	v_and_b32_e32 v6, 0xffff, v6
	v_lshl_add_u32 v8, v27, 8, v16
	v_or3_b32 v6, v7, v6, 0
	v_or3_b32 v5, 0, 0, v5
	ds_write_b64 v8, v[5:6]
	s_waitcnt lgkmcnt(0)
	s_barrier
	s_cbranch_scc1 .LBB72_4
; %bb.3:
	s_load_dword s0, s[4:5], 0xd0
	s_mov_b32 s1, 0
	s_waitcnt lgkmcnt(0)
	s_mul_i32 s0, s0, s33
	s_add_i32 s0, s0, s6
	s_lshl_b64 s[0:1], s[0:1], 2
	s_add_u32 s0, s18, s0
	s_addc_u32 s1, s19, s1
	s_load_dword s28, s[0:1], 0x0
.LBB72_4:
	s_lshl_b32 s6, s7, 6
	s_waitcnt lgkmcnt(0)
	s_cmp_lt_i32 s6, s28
	v_mbcnt_lo_u32_b32 v32, -1, 0
	s_cbranch_scc1 .LBB72_10
; %bb.5:
	v_mbcnt_hi_u32_b32 v18, -1, v32
	v_and_b32_e32 v5, 0x60, v18
	v_add_u32_e32 v48, 32, v5
	v_xor_b32_e32 v51, 16, v18
	v_xor_b32_e32 v49, 8, v18
	;; [unrolled: 1-line block ×5, first 2 shown]
	v_lshlrev_b32_e32 v16, 2, v0
	s_cbranch_execz .LBB72_11
; %bb.6:
	v_mov_b32_e32 v35, 0
	v_mov_b32_e32 v57, 0
	;; [unrolled: 1-line block ×16, first 2 shown]
.LBB72_7:
	v_cmp_lt_i32_e32 vcc, v51, v48
	v_cndmask_b32_e32 v5, v18, v51, vcc
	v_lshlrev_b32_e32 v5, 2, v5
	ds_bpermute_b32 v6, v5, v54
	ds_bpermute_b32 v12, v5, v55
	;; [unrolled: 1-line block ×4, first 2 shown]
	v_cmp_lt_i32_e32 vcc, v49, v48
	v_cndmask_b32_e32 v7, v18, v49, vcc
	v_cmp_lt_i32_e32 vcc, v50, v48
	v_cndmask_b32_e32 v9, v18, v50, vcc
	v_cmp_lt_i32_e32 vcc, v52, v48
	v_lshlrev_b32_e32 v7, 2, v7
	s_waitcnt lgkmcnt(3)
	v_add_f32_e32 v6, v54, v6
	v_cndmask_b32_e32 v10, v18, v52, vcc
	v_cmp_lt_i32_e32 vcc, v53, v48
	s_waitcnt lgkmcnt(2)
	v_add_f32_e32 v12, v55, v12
	s_waitcnt lgkmcnt(1)
	v_add_f32_e32 v13, v56, v13
	;; [unrolled: 2-line block ×3, first 2 shown]
	ds_bpermute_b32 v8, v7, v6
	v_cndmask_b32_e32 v11, v18, v53, vcc
	ds_bpermute_b32 v17, v7, v12
	ds_bpermute_b32 v18, v7, v13
	ds_bpermute_b32 v7, v7, v5
	v_lshlrev_b32_e32 v9, 2, v9
	s_waitcnt lgkmcnt(3)
	v_add_f32_e32 v6, v6, v8
	s_waitcnt lgkmcnt(2)
	v_add_f32_e32 v12, v12, v17
	s_waitcnt lgkmcnt(1)
	v_add_f32_e32 v13, v13, v18
	s_waitcnt lgkmcnt(0)
	v_add_f32_e32 v5, v5, v7
	ds_bpermute_b32 v8, v9, v6
	ds_bpermute_b32 v17, v9, v12
	ds_bpermute_b32 v18, v9, v13
	ds_bpermute_b32 v7, v9, v5
	v_lshlrev_b32_e32 v10, 2, v10
	s_waitcnt lgkmcnt(3)
	v_add_f32_e32 v6, v6, v8
	s_waitcnt lgkmcnt(2)
	v_add_f32_e32 v9, v12, v17
	s_waitcnt lgkmcnt(1)
	v_add_f32_e32 v13, v13, v18
	s_waitcnt lgkmcnt(0)
	v_add_f32_e32 v5, v5, v7
	ds_bpermute_b32 v8, v10, v6
	;; [unrolled: 13-line block ×3, first 2 shown]
	ds_bpermute_b32 v10, v11, v9
	ds_bpermute_b32 v13, v11, v12
	;; [unrolled: 1-line block ×3, first 2 shown]
	s_cmp_lg_u64 s[16:17], 0
	s_cselect_b64 s[0:1], -1, 0
	s_cmp_eq_u32 s7, 0
	s_cselect_b64 s[8:9], -1, 0
	s_and_b64 s[0:1], s[8:9], s[0:1]
	s_waitcnt lgkmcnt(3)
	v_add_f32_e32 v5, v6, v8
	s_waitcnt lgkmcnt(2)
	v_add_f32_e32 v6, v9, v10
	;; [unrolled: 2-line block ×4, first 2 shown]
	s_and_b64 vcc, exec, s[0:1]
	s_cbranch_vccz .LBB72_46
; %bb.8:
	v_add_u32_e32 v9, s29, v15
	v_ashrrev_i32_e32 v10, 31, v9
	v_lshlrev_b64 v[9:10], 2, v[9:10]
	v_mov_b32_e32 v11, s17
	v_add_co_u32_e32 v9, vcc, s16, v9
	v_addc_co_u32_e32 v10, vcc, v11, v10, vcc
	global_load_dwordx4 v[9:12], v[9:10], off
	v_max_f32_e32 v13, v1, v1
	v_max_f32_e32 v18, v2, v2
	s_mov_b32 s6, 0x3fb8aa3b
	v_max_f32_e32 v19, v3, v3
	s_mov_b32 s1, 0xc2ce8ed0
	s_mov_b32 s0, 0x42b17218
	v_mov_b32_e32 v21, 0x7f800000
	s_waitcnt vmcnt(0)
	v_max_f32_e32 v17, v9, v9
	v_max_f32_e32 v17, v13, v17
	;; [unrolled: 1-line block ×3, first 2 shown]
	v_sub_f32_e32 v1, v1, v17
	v_max_f32_e32 v18, v18, v20
	v_sub_f32_e32 v9, v9, v17
	v_mul_f32_e32 v13, 0x3fb8aa3b, v1
	v_max_f32_e32 v22, v11, v11
	v_sub_f32_e32 v2, v2, v18
	v_mul_f32_e32 v20, 0x3fb8aa3b, v9
	v_fma_f32 v26, v1, s6, -v13
	v_rndne_f32_e32 v27, v13
	v_max_f32_e32 v19, v19, v22
	v_sub_f32_e32 v10, v10, v18
	v_mul_f32_e32 v22, 0x3fb8aa3b, v2
	v_fma_f32 v28, v9, s6, -v20
	v_rndne_f32_e32 v29, v20
	v_fmac_f32_e32 v26, 0x32a5705f, v1
	v_sub_f32_e32 v13, v13, v27
	v_mul_f32_e32 v23, 0x3fb8aa3b, v10
	v_fma_f32 v30, v2, s6, -v22
	v_rndne_f32_e32 v31, v22
	v_fmac_f32_e32 v28, 0x32a5705f, v9
	v_sub_f32_e32 v20, v20, v29
	v_add_f32_e32 v13, v13, v26
	v_fma_f32 v40, v10, s6, -v23
	v_rndne_f32_e32 v41, v23
	v_cvt_i32_f32_e32 v27, v27
	v_fmac_f32_e32 v30, 0x32a5705f, v2
	v_sub_f32_e32 v22, v22, v31
	v_add_f32_e32 v20, v20, v28
	v_exp_f32_e32 v13, v13
	v_cvt_i32_f32_e32 v29, v29
	v_fmac_f32_e32 v40, 0x32a5705f, v10
	v_sub_f32_e32 v23, v23, v41
	v_add_f32_e32 v22, v22, v30
	v_exp_f32_e32 v20, v20
	v_cvt_i32_f32_e32 v31, v31
	v_add_f32_e32 v23, v23, v40
	v_exp_f32_e32 v22, v22
	v_cvt_i32_f32_e32 v41, v41
	v_exp_f32_e32 v23, v23
	v_ldexp_f32 v13, v13, v27
	v_cmp_ngt_f32_e32 vcc, s1, v1
	v_ldexp_f32 v20, v20, v29
	v_cndmask_b32_e32 v13, 0, v13, vcc
	v_cmp_ngt_f32_e32 vcc, s1, v9
	v_ldexp_f32 v22, v22, v31
	v_cndmask_b32_e32 v20, 0, v20, vcc
	;; [unrolled: 3-line block ×3, first 2 shown]
	v_cmp_ngt_f32_e32 vcc, s1, v10
	v_cndmask_b32_e32 v23, 0, v23, vcc
	v_cmp_nlt_f32_e32 vcc, s0, v1
	v_cndmask_b32_e32 v1, v21, v13, vcc
	v_cmp_nlt_f32_e32 vcc, s0, v9
	v_sub_f32_e32 v3, v3, v19
	v_cndmask_b32_e32 v9, v21, v20, vcc
	v_cmp_nlt_f32_e32 vcc, s0, v2
	v_mul_f32_e32 v24, 0x3fb8aa3b, v3
	v_cndmask_b32_e32 v2, v21, v22, vcc
	v_sub_f32_e32 v11, v11, v19
	v_fma_f32 v42, v3, s6, -v24
	v_rndne_f32_e32 v43, v24
	v_cvt_f16_f32_e32 v13, v1
	v_cvt_f16_f32_e32 v20, v2
	v_mul_f32_e32 v25, 0x3fb8aa3b, v11
	v_fmac_f32_e32 v42, 0x32a5705f, v3
	v_sub_f32_e32 v24, v24, v43
	v_fma_f32 v44, v11, s6, -v25
	v_rndne_f32_e32 v45, v25
	v_add_f32_e32 v24, v24, v42
	v_cmp_nlt_f32_e32 vcc, s0, v10
	v_cvt_i32_f32_e32 v43, v43
	v_fmac_f32_e32 v44, 0x32a5705f, v11
	v_sub_f32_e32 v25, v25, v45
	v_exp_f32_e32 v24, v24
	v_cndmask_b32_e32 v10, v21, v23, vcc
	v_add_f32_e32 v25, v25, v44
	v_fmac_f32_e32 v9, v5, v1
	v_fmac_f32_e32 v10, v6, v2
	v_mul_u32_u24_e32 v1, 0x10001, v13
	v_mul_u32_u24_e32 v2, 0x10001, v20
	v_pk_mul_f16 v35, v35, v1
	v_pk_mul_f16 v39, v39, v1
	v_pk_mul_f16 v33, v33, v2
	v_pk_mul_f16 v38, v38, v2
	v_exp_f32_e32 v1, v25
	v_cvt_i32_f32_e32 v2, v45
	v_ldexp_f32 v24, v24, v43
	v_cmp_ngt_f32_e32 vcc, s1, v3
	v_cndmask_b32_e32 v5, 0, v24, vcc
	v_cmp_nlt_f32_e32 vcc, s0, v3
	v_cndmask_b32_e32 v3, v21, v5, vcc
	v_ldexp_f32 v1, v1, v2
	v_cmp_ngt_f32_e32 vcc, s1, v11
	v_cndmask_b32_e32 v1, 0, v1, vcc
	v_cmp_nlt_f32_e32 vcc, s0, v11
	v_cndmask_b32_e32 v11, v21, v1, vcc
	v_fmac_f32_e32 v11, v7, v3
	v_cvt_f16_f32_e32 v1, v3
	v_max_f32_e32 v2, v12, v12
	v_max_f32_e32 v3, v4, v4
	;; [unrolled: 1-line block ×3, first 2 shown]
	v_sub_f32_e32 v2, v4, v20
	v_mul_f32_e32 v3, 0x3fb8aa3b, v2
	v_fma_f32 v4, v2, s6, -v3
	v_rndne_f32_e32 v5, v3
	v_fmac_f32_e32 v4, 0x32a5705f, v2
	v_sub_f32_e32 v3, v3, v5
	v_add_f32_e32 v3, v3, v4
	v_exp_f32_e32 v3, v3
	v_cvt_i32_f32_e32 v4, v5
	v_mul_u32_u24_e32 v1, 0x10001, v1
	v_pk_mul_f16 v32, v32, v1
	v_pk_mul_f16 v37, v37, v1
	v_ldexp_f32 v1, v3, v4
	v_sub_f32_e32 v3, v12, v20
	v_mul_f32_e32 v4, 0x3fb8aa3b, v3
	v_fma_f32 v5, v3, s6, -v4
	v_rndne_f32_e32 v6, v4
	v_fmac_f32_e32 v5, 0x32a5705f, v3
	v_sub_f32_e32 v4, v4, v6
	v_add_f32_e32 v4, v4, v5
	v_exp_f32_e32 v4, v4
	v_cvt_i32_f32_e32 v5, v6
	v_cmp_ngt_f32_e32 vcc, s1, v2
	v_cndmask_b32_e32 v1, 0, v1, vcc
	v_cmp_nlt_f32_e32 vcc, s0, v2
	v_cndmask_b32_e32 v1, v21, v1, vcc
	v_ldexp_f32 v2, v4, v5
	v_cvt_f16_f32_e32 v4, v1
	v_cmp_ngt_f32_e32 vcc, s1, v3
	v_cndmask_b32_e32 v2, 0, v2, vcc
	v_cmp_nlt_f32_e32 vcc, s0, v3
	v_cndmask_b32_e32 v12, v21, v2, vcc
	v_fmac_f32_e32 v12, v8, v1
	v_mul_u32_u24_e32 v1, 0x10001, v4
	v_pk_mul_f16 v36, v36, v1
	v_pk_mul_f16 v34, v34, v1
	v_mov_b32_e32 v1, v17
	v_mov_b32_e32 v2, v18
	;; [unrolled: 1-line block ×8, first 2 shown]
	v_cmp_gt_i32_e32 vcc, s2, v14
	s_and_saveexec_b64 s[0:1], vcc
	s_cbranch_execnz .LBB72_47
.LBB72_9:
	s_endpgm
.LBB72_10:
                                        ; implicit-def: $vgpr18
                                        ; implicit-def: $vgpr48
                                        ; implicit-def: $vgpr51
                                        ; implicit-def: $vgpr49
                                        ; implicit-def: $vgpr50
                                        ; implicit-def: $vgpr52
                                        ; implicit-def: $vgpr53
	v_lshlrev_b32_e32 v16, 2, v0
.LBB72_11:
	s_sub_i32 s0, 0, s36
	s_mul_i32 s0, s0, s24
	s_mul_hi_u32 s0, s24, s0
	s_abs_i32 s19, s29
	s_add_i32 s24, s24, s0
	s_mul_hi_u32 s34, s19, s24
	s_load_dwordx4 s[24:27], s[4:5], 0x98
	s_load_dword s14, s[4:5], 0x54
	s_load_dwordx2 s[0:1], s[4:5], 0x8c
	s_ashr_i32 s38, s29, 31
	s_ashr_i32 s37, s37, 31
	s_waitcnt lgkmcnt(0)
	s_ashr_i32 s15, s26, 2
	s_ashr_i32 s26, s35, 1
	;; [unrolled: 1-line block ×4, first 2 shown]
	s_mul_hi_u32 s35, s24, s33
	s_mul_i32 s39, s24, s0
	s_add_i32 s35, s35, s39
	s_mul_i32 s25, s25, s33
	s_add_i32 s35, s35, s25
	s_mul_i32 s24, s24, s33
	s_add_u32 s10, s10, s24
	s_mul_i32 s25, s34, s36
	s_addc_u32 s11, s11, s35
	s_sub_i32 s19, s19, s25
	s_xor_b32 s24, s38, s37
	s_add_i32 s25, s34, 1
	s_sub_i32 s35, s19, s36
	s_cmp_ge_u32 s19, s36
	s_cselect_b32 s25, s25, s34
	s_cselect_b32 s19, s35, s19
	s_add_i32 s34, s25, 1
	s_cmp_ge_u32 s19, s36
	s_load_dwordx2 s[8:9], s[4:5], 0xa8
	s_cselect_b32 s19, s34, s25
	s_xor_b32 s19, s19, s24
	s_sub_i32 s19, s19, s24
	s_mul_i32 s1, s19, s1
	s_ashr_i32 s24, s1, 31
	s_add_u32 s10, s10, s1
	s_waitcnt lgkmcnt(0)
	s_mul_hi_u32 s1, s8, s33
	s_mul_i32 s0, s8, s0
	s_addc_u32 s11, s11, s24
	s_add_i32 s0, s1, s0
	s_mul_i32 s1, s9, s33
	s_add_i32 s0, s0, s1
	s_mul_i32 s1, s8, s33
	s_add_u32 s1, s12, s1
	s_mul_i32 s19, s19, s27
	s_addc_u32 s0, s13, s0
	s_ashr_i32 s8, s19, 31
	s_add_u32 s12, s1, s19
	v_lshrrev_b32_e32 v5, 3, v0
	v_and_b32_e32 v11, 28, v16
	s_addc_u32 s13, s0, s8
	v_add_u32_e32 v3, v5, v3
	v_lshlrev_b32_e32 v5, 2, v11
	s_movk_i32 s0, 0x90
	v_mad_u32_u24 v19, v3, s0, v5
	v_mad_u64_u32 v[5:6], s[0:1], v2, s26, v[0:1]
	v_mov_b32_e32 v2, 0x4400
	v_lshl_add_u32 v23, v1, 9, v2
	v_lshrrev_b32_e32 v2, 4, v0
	v_lshl_add_u32 v2, v1, 1, v2
	v_mul_lo_u32 v7, s18, v3
	v_mul_lo_u32 v1, s15, v2
	v_and_b32_e32 v12, 60, v16
	v_lshlrev_b32_e32 v3, 2, v12
	v_lshl_add_u32 v9, s18, 5, v7
	v_lshl_or_b32 v24, v2, 8, v3
	v_lshl_add_u32 v3, s15, 4, v1
	v_ashrrev_i32_e32 v8, 31, v7
	v_ashrrev_i32_e32 v10, 31, v9
	v_add_u32_e32 v21, 0x2400, v4
	v_ashrrev_i32_e32 v2, 31, v1
	v_ashrrev_i32_e32 v4, 31, v3
	s_add_u32 s0, s4, 0xd0
	v_lshlrev_b64 v[6:7], 2, v[7:8]
	v_lshlrev_b32_e32 v26, 2, v11
	v_lshlrev_b64 v[8:9], 2, v[9:10]
	v_lshlrev_b64 v[10:11], 2, v[1:2]
	v_lshlrev_b32_e32 v30, 2, v12
	v_lshlrev_b64 v[12:13], 2, v[3:4]
	v_mov_b32_e32 v34, 0
	v_add_u32_e32 v20, 0x1200, v19
	v_mul_u32_u24_e32 v22, 0x90, v0
	v_add_u32_e32 v25, 0x1000, v24
	s_addc_u32 s1, s5, 0
	v_mov_b32_e32 v47, 0xfeffffff
	s_mov_b32 s19, 0x3f200000
	s_mov_b32 s24, 0x3fb8aa3b
	;; [unrolled: 1-line block ×4, first 2 shown]
	v_mov_b32_e32 v27, 0xbd5c1c4e
	v_mov_b32_e32 v28, 0x3e088382
	;; [unrolled: 1-line block ×3, first 2 shown]
	s_brev_b32 s27, -2
	s_mov_b32 s34, 0x10001
	v_mov_b32_e32 v31, 0x7f800000
	v_mbcnt_hi_u32_b32 v18, -1, v32
	v_mov_b32_e32 v36, 0
	v_mov_b32_e32 v37, 0
	;; [unrolled: 1-line block ×14, first 2 shown]
.LBB72_12:                              ; =>This Inner Loop Header: Depth=1
	s_mul_hi_i32 s9, s6, s18
	s_mul_i32 s8, s6, s18
	s_lshl_b64 s[8:9], s[8:9], 2
	s_add_u32 s8, s10, s8
	s_addc_u32 s9, s11, s9
	v_mov_b32_e32 v1, s9
	v_add_co_u32_e32 v2, vcc, s8, v6
	v_addc_co_u32_e32 v3, vcc, v1, v7, vcc
	v_add_co_u32_e32 v1, vcc, v2, v26
	v_addc_co_u32_e32 v2, vcc, 0, v3, vcc
	v_mov_b32_e32 v3, s9
	v_add_co_u32_e32 v4, vcc, s8, v8
	v_addc_co_u32_e32 v48, vcc, v3, v9, vcc
	v_add_co_u32_e32 v3, vcc, v4, v26
	v_addc_co_u32_e32 v4, vcc, 0, v48, vcc
	global_load_dwordx4 v[50:53], v[1:2], off
	global_load_dwordx4 v[60:63], v[3:4], off
	v_mov_b32_e32 v48, 0
	v_mov_b32_e32 v58, 0
	;; [unrolled: 1-line block ×8, first 2 shown]
	s_waitcnt vmcnt(1)
	ds_write_b128 v19, v[50:53]
	s_waitcnt vmcnt(0)
	ds_write_b128 v20, v[60:63]
	s_waitcnt lgkmcnt(0)
	s_barrier
	ds_read_b128 v[50:53], v21
	ds_read_b128 v[60:63], v22
	ds_read_b128 v[64:67], v22 offset:4608
	ds_read_b128 v[68:71], v21 offset:256
	;; [unrolled: 1-line block ×4, first 2 shown]
	s_waitcnt lgkmcnt(4)
	;;#ASMSTART
	v_dot2_f32_f16 v48, v60, v50, v48
	;;#ASMEND
	;;#ASMSTART
	v_dot2_f32_f16 v48, v61, v51, v48
	;;#ASMEND
	;;#ASMSTART
	v_dot2_f32_f16 v48, v62, v52, v48
	;;#ASMEND
	;;#ASMSTART
	v_dot2_f32_f16 v48, v63, v53, v48
	;;#ASMEND
	s_waitcnt lgkmcnt(2)
	;;#ASMSTART
	v_dot2_f32_f16 v58, v60, v68, v58
	;;#ASMEND
	;;#ASMSTART
	v_dot2_f32_f16 v58, v61, v69, v58
	;;#ASMEND
	;;#ASMSTART
	v_dot2_f32_f16 v58, v62, v70, v58
	;;#ASMEND
	;;#ASMSTART
	v_dot2_f32_f16 v58, v63, v71, v58
	;;#ASMEND
	;; [unrolled: 13-line block ×4, first 2 shown]
	;;#ASMSTART
	v_dot2_f32_f16 v49, v64, v50, v49
	;;#ASMEND
	;;#ASMSTART
	v_dot2_f32_f16 v49, v65, v51, v49
	;;#ASMEND
	;; [unrolled: 3-line block ×16, first 2 shown]
	ds_read_b128 v[50:53], v21 offset:16
	ds_read_b128 v[60:63], v22 offset:16
	;; [unrolled: 1-line block ×6, first 2 shown]
	s_waitcnt lgkmcnt(4)
	;;#ASMSTART
	v_dot2_f32_f16 v48, v60, v50, v48
	;;#ASMEND
	;;#ASMSTART
	v_dot2_f32_f16 v48, v61, v51, v48
	;;#ASMEND
	;;#ASMSTART
	v_dot2_f32_f16 v48, v62, v52, v48
	;;#ASMEND
	;;#ASMSTART
	v_dot2_f32_f16 v48, v63, v53, v48
	;;#ASMEND
	s_waitcnt lgkmcnt(2)
	;;#ASMSTART
	v_dot2_f32_f16 v58, v60, v68, v58
	;;#ASMEND
	;;#ASMSTART
	v_dot2_f32_f16 v58, v61, v69, v58
	;;#ASMEND
	;;#ASMSTART
	v_dot2_f32_f16 v58, v62, v70, v58
	;;#ASMEND
	;;#ASMSTART
	v_dot2_f32_f16 v58, v63, v71, v58
	;;#ASMEND
	;; [unrolled: 13-line block ×4, first 2 shown]
	;;#ASMSTART
	v_dot2_f32_f16 v49, v64, v50, v49
	;;#ASMEND
	;;#ASMSTART
	v_dot2_f32_f16 v49, v65, v51, v49
	;;#ASMEND
	;; [unrolled: 3-line block ×16, first 2 shown]
	ds_read_b128 v[50:53], v21 offset:32
	ds_read_b128 v[60:63], v22 offset:32
	;; [unrolled: 1-line block ×6, first 2 shown]
	s_waitcnt lgkmcnt(4)
	;;#ASMSTART
	v_dot2_f32_f16 v48, v60, v50, v48
	;;#ASMEND
	;;#ASMSTART
	v_dot2_f32_f16 v48, v61, v51, v48
	;;#ASMEND
	;;#ASMSTART
	v_dot2_f32_f16 v48, v62, v52, v48
	;;#ASMEND
	;;#ASMSTART
	v_dot2_f32_f16 v48, v63, v53, v48
	;;#ASMEND
	s_waitcnt lgkmcnt(2)
	;;#ASMSTART
	v_dot2_f32_f16 v58, v60, v68, v58
	;;#ASMEND
	;;#ASMSTART
	v_dot2_f32_f16 v58, v61, v69, v58
	;;#ASMEND
	;;#ASMSTART
	v_dot2_f32_f16 v58, v62, v70, v58
	;;#ASMEND
	;;#ASMSTART
	v_dot2_f32_f16 v58, v63, v71, v58
	;;#ASMEND
	;; [unrolled: 13-line block ×4, first 2 shown]
	;;#ASMSTART
	v_dot2_f32_f16 v49, v64, v50, v49
	;;#ASMEND
	;;#ASMSTART
	v_dot2_f32_f16 v49, v65, v51, v49
	;;#ASMEND
	;; [unrolled: 3-line block ×16, first 2 shown]
	ds_read_b128 v[50:53], v21 offset:48
	ds_read_b128 v[60:63], v22 offset:48
	;; [unrolled: 1-line block ×6, first 2 shown]
	s_waitcnt lgkmcnt(4)
	;;#ASMSTART
	v_dot2_f32_f16 v48, v60, v50, v48
	;;#ASMEND
	;;#ASMSTART
	v_dot2_f32_f16 v48, v61, v51, v48
	;;#ASMEND
	;;#ASMSTART
	v_dot2_f32_f16 v48, v62, v52, v48
	;;#ASMEND
	;;#ASMSTART
	v_dot2_f32_f16 v48, v63, v53, v48
	;;#ASMEND
	s_waitcnt lgkmcnt(2)
	;;#ASMSTART
	v_dot2_f32_f16 v58, v60, v68, v58
	;;#ASMEND
	;;#ASMSTART
	v_dot2_f32_f16 v58, v61, v69, v58
	;;#ASMEND
	;;#ASMSTART
	v_dot2_f32_f16 v58, v62, v70, v58
	;;#ASMEND
	;;#ASMSTART
	v_dot2_f32_f16 v58, v63, v71, v58
	;;#ASMEND
	;; [unrolled: 13-line block ×4, first 2 shown]
	;;#ASMSTART
	v_dot2_f32_f16 v49, v64, v50, v49
	;;#ASMEND
	;;#ASMSTART
	v_dot2_f32_f16 v49, v65, v51, v49
	;;#ASMEND
	;; [unrolled: 3-line block ×16, first 2 shown]
	ds_read_b128 v[50:53], v21 offset:64
	ds_read_b128 v[60:63], v22 offset:64
	;; [unrolled: 1-line block ×6, first 2 shown]
	s_waitcnt lgkmcnt(4)
	;;#ASMSTART
	v_dot2_f32_f16 v48, v60, v50, v48
	;;#ASMEND
	;;#ASMSTART
	v_dot2_f32_f16 v48, v61, v51, v48
	;;#ASMEND
	;;#ASMSTART
	v_dot2_f32_f16 v48, v62, v52, v48
	;;#ASMEND
	;;#ASMSTART
	v_dot2_f32_f16 v48, v63, v53, v48
	;;#ASMEND
	s_waitcnt lgkmcnt(2)
	;;#ASMSTART
	v_dot2_f32_f16 v58, v60, v68, v58
	;;#ASMEND
	;;#ASMSTART
	v_dot2_f32_f16 v58, v61, v69, v58
	;;#ASMEND
	;;#ASMSTART
	v_dot2_f32_f16 v58, v62, v70, v58
	;;#ASMEND
	;;#ASMSTART
	v_dot2_f32_f16 v58, v63, v71, v58
	;;#ASMEND
	s_waitcnt lgkmcnt(1)
	;;#ASMSTART
	v_dot2_f32_f16 v56, v60, v72, v56
	;;#ASMEND
	;;#ASMSTART
	v_dot2_f32_f16 v56, v61, v73, v56
	;;#ASMEND
	;;#ASMSTART
	v_dot2_f32_f16 v56, v62, v74, v56
	;;#ASMEND
	;;#ASMSTART
	v_dot2_f32_f16 v56, v63, v75, v56
	;;#ASMEND
	s_waitcnt lgkmcnt(0)
	;;#ASMSTART
	v_dot2_f32_f16 v54, v60, v76, v54
	;;#ASMEND
	;;#ASMSTART
	v_dot2_f32_f16 v54, v61, v77, v54
	;;#ASMEND
	;;#ASMSTART
	v_dot2_f32_f16 v54, v62, v78, v54
	;;#ASMEND
	;;#ASMSTART
	v_dot2_f32_f16 v54, v63, v79, v54
	;;#ASMEND
	;;#ASMSTART
	v_dot2_f32_f16 v49, v64, v50, v49
	;;#ASMEND
	;;#ASMSTART
	v_dot2_f32_f16 v49, v65, v51, v49
	;;#ASMEND
	;; [unrolled: 3-line block ×16, first 2 shown]
	ds_read_b128 v[50:53], v21 offset:80
	ds_read_b128 v[60:63], v22 offset:80
	;; [unrolled: 1-line block ×6, first 2 shown]
	s_waitcnt lgkmcnt(4)
	;;#ASMSTART
	v_dot2_f32_f16 v48, v60, v50, v48
	;;#ASMEND
	;;#ASMSTART
	v_dot2_f32_f16 v48, v61, v51, v48
	;;#ASMEND
	;;#ASMSTART
	v_dot2_f32_f16 v48, v62, v52, v48
	;;#ASMEND
	;;#ASMSTART
	v_dot2_f32_f16 v48, v63, v53, v48
	;;#ASMEND
	s_waitcnt lgkmcnt(2)
	;;#ASMSTART
	v_dot2_f32_f16 v58, v60, v68, v58
	;;#ASMEND
	;;#ASMSTART
	v_dot2_f32_f16 v58, v61, v69, v58
	;;#ASMEND
	;;#ASMSTART
	v_dot2_f32_f16 v58, v62, v70, v58
	;;#ASMEND
	;;#ASMSTART
	v_dot2_f32_f16 v58, v63, v71, v58
	;;#ASMEND
	;; [unrolled: 13-line block ×4, first 2 shown]
	;;#ASMSTART
	v_dot2_f32_f16 v49, v64, v50, v49
	;;#ASMEND
	;;#ASMSTART
	v_dot2_f32_f16 v49, v65, v51, v49
	;;#ASMEND
	;; [unrolled: 3-line block ×16, first 2 shown]
	ds_read_b128 v[50:53], v21 offset:96
	ds_read_b128 v[60:63], v22 offset:96
	;; [unrolled: 1-line block ×6, first 2 shown]
	s_waitcnt lgkmcnt(4)
	;;#ASMSTART
	v_dot2_f32_f16 v48, v60, v50, v48
	;;#ASMEND
	;;#ASMSTART
	v_dot2_f32_f16 v48, v61, v51, v48
	;;#ASMEND
	;;#ASMSTART
	v_dot2_f32_f16 v48, v62, v52, v48
	;;#ASMEND
	;;#ASMSTART
	v_dot2_f32_f16 v48, v63, v53, v48
	;;#ASMEND
	s_waitcnt lgkmcnt(2)
	;;#ASMSTART
	v_dot2_f32_f16 v58, v60, v68, v58
	;;#ASMEND
	;;#ASMSTART
	v_dot2_f32_f16 v58, v61, v69, v58
	;;#ASMEND
	;;#ASMSTART
	v_dot2_f32_f16 v58, v62, v70, v58
	;;#ASMEND
	;;#ASMSTART
	v_dot2_f32_f16 v58, v63, v71, v58
	;;#ASMEND
	;; [unrolled: 13-line block ×4, first 2 shown]
	;;#ASMSTART
	v_dot2_f32_f16 v49, v64, v50, v49
	;;#ASMEND
	;;#ASMSTART
	v_dot2_f32_f16 v49, v65, v51, v49
	;;#ASMEND
	;; [unrolled: 3-line block ×16, first 2 shown]
	ds_read_b128 v[50:53], v21 offset:112
	ds_read_b128 v[60:63], v22 offset:112
	;; [unrolled: 1-line block ×6, first 2 shown]
	s_waitcnt lgkmcnt(4)
	;;#ASMSTART
	v_dot2_f32_f16 v48, v60, v50, v48
	;;#ASMEND
	;;#ASMSTART
	v_dot2_f32_f16 v48, v61, v51, v48
	;;#ASMEND
	;;#ASMSTART
	v_dot2_f32_f16 v48, v62, v52, v48
	;;#ASMEND
	;;#ASMSTART
	v_dot2_f32_f16 v48, v63, v53, v48
	;;#ASMEND
	s_waitcnt lgkmcnt(2)
	;;#ASMSTART
	v_dot2_f32_f16 v58, v60, v68, v58
	;;#ASMEND
	;;#ASMSTART
	v_dot2_f32_f16 v58, v61, v69, v58
	;;#ASMEND
	;;#ASMSTART
	v_dot2_f32_f16 v58, v62, v70, v58
	;;#ASMEND
	;;#ASMSTART
	v_dot2_f32_f16 v58, v63, v71, v58
	;;#ASMEND
	;; [unrolled: 13-line block ×4, first 2 shown]
	;;#ASMSTART
	v_dot2_f32_f16 v49, v64, v50, v49
	;;#ASMEND
	;;#ASMSTART
	v_dot2_f32_f16 v49, v65, v51, v49
	;;#ASMEND
	;; [unrolled: 3-line block ×16, first 2 shown]
	s_barrier
	global_load_dwordx4 v[50:53], v[1:2], off offset:128
	s_nop 0
	global_load_dwordx4 v[1:4], v[3:4], off offset:128
	s_waitcnt vmcnt(1)
	ds_write_b128 v19, v[50:53]
	s_waitcnt vmcnt(0)
	ds_write_b128 v20, v[1:4]
	s_waitcnt lgkmcnt(0)
	s_barrier
	ds_read_b128 v[1:4], v21 offset:128
	ds_read_b128 v[50:53], v22
	ds_read_b128 v[60:63], v22 offset:4608
	ds_read_b128 v[64:67], v21 offset:384
	;; [unrolled: 1-line block ×4, first 2 shown]
	s_waitcnt lgkmcnt(4)
	;;#ASMSTART
	v_dot2_f32_f16 v48, v50, v1, v48
	;;#ASMEND
	;;#ASMSTART
	v_dot2_f32_f16 v48, v51, v2, v48
	;;#ASMEND
	;;#ASMSTART
	v_dot2_f32_f16 v48, v52, v3, v48
	;;#ASMEND
	;;#ASMSTART
	v_dot2_f32_f16 v48, v53, v4, v48
	;;#ASMEND
	s_waitcnt lgkmcnt(2)
	;;#ASMSTART
	v_dot2_f32_f16 v58, v50, v64, v58
	;;#ASMEND
	;;#ASMSTART
	v_dot2_f32_f16 v58, v51, v65, v58
	;;#ASMEND
	;;#ASMSTART
	v_dot2_f32_f16 v58, v52, v66, v58
	;;#ASMEND
	;;#ASMSTART
	v_dot2_f32_f16 v58, v53, v67, v58
	;;#ASMEND
	;; [unrolled: 13-line block ×4, first 2 shown]
	;;#ASMSTART
	v_dot2_f32_f16 v49, v60, v1, v49
	;;#ASMEND
	;;#ASMSTART
	v_dot2_f32_f16 v49, v61, v2, v49
	;;#ASMEND
	;; [unrolled: 3-line block ×16, first 2 shown]
	ds_read_b128 v[1:4], v21 offset:144
	ds_read_b128 v[50:53], v22 offset:16
	;; [unrolled: 1-line block ×6, first 2 shown]
	s_waitcnt lgkmcnt(4)
	;;#ASMSTART
	v_dot2_f32_f16 v48, v50, v1, v48
	;;#ASMEND
	;;#ASMSTART
	v_dot2_f32_f16 v48, v51, v2, v48
	;;#ASMEND
	;;#ASMSTART
	v_dot2_f32_f16 v48, v52, v3, v48
	;;#ASMEND
	;;#ASMSTART
	v_dot2_f32_f16 v48, v53, v4, v48
	;;#ASMEND
	s_waitcnt lgkmcnt(2)
	;;#ASMSTART
	v_dot2_f32_f16 v58, v50, v64, v58
	;;#ASMEND
	;;#ASMSTART
	v_dot2_f32_f16 v58, v51, v65, v58
	;;#ASMEND
	;;#ASMSTART
	v_dot2_f32_f16 v58, v52, v66, v58
	;;#ASMEND
	;;#ASMSTART
	v_dot2_f32_f16 v58, v53, v67, v58
	;;#ASMEND
	;; [unrolled: 13-line block ×4, first 2 shown]
	;;#ASMSTART
	v_dot2_f32_f16 v49, v60, v1, v49
	;;#ASMEND
	;;#ASMSTART
	v_dot2_f32_f16 v49, v61, v2, v49
	;;#ASMEND
	;; [unrolled: 3-line block ×16, first 2 shown]
	ds_read_b128 v[1:4], v21 offset:160
	ds_read_b128 v[50:53], v22 offset:32
	;; [unrolled: 1-line block ×6, first 2 shown]
	s_waitcnt lgkmcnt(4)
	;;#ASMSTART
	v_dot2_f32_f16 v48, v50, v1, v48
	;;#ASMEND
	;;#ASMSTART
	v_dot2_f32_f16 v48, v51, v2, v48
	;;#ASMEND
	;;#ASMSTART
	v_dot2_f32_f16 v48, v52, v3, v48
	;;#ASMEND
	;;#ASMSTART
	v_dot2_f32_f16 v48, v53, v4, v48
	;;#ASMEND
	s_waitcnt lgkmcnt(2)
	;;#ASMSTART
	v_dot2_f32_f16 v58, v50, v64, v58
	;;#ASMEND
	;;#ASMSTART
	v_dot2_f32_f16 v58, v51, v65, v58
	;;#ASMEND
	;;#ASMSTART
	v_dot2_f32_f16 v58, v52, v66, v58
	;;#ASMEND
	;;#ASMSTART
	v_dot2_f32_f16 v58, v53, v67, v58
	;;#ASMEND
	;; [unrolled: 13-line block ×4, first 2 shown]
	;;#ASMSTART
	v_dot2_f32_f16 v49, v60, v1, v49
	;;#ASMEND
	;;#ASMSTART
	v_dot2_f32_f16 v49, v61, v2, v49
	;;#ASMEND
	;; [unrolled: 3-line block ×16, first 2 shown]
	ds_read_b128 v[1:4], v21 offset:176
	ds_read_b128 v[50:53], v22 offset:48
	;; [unrolled: 1-line block ×6, first 2 shown]
	s_waitcnt lgkmcnt(4)
	;;#ASMSTART
	v_dot2_f32_f16 v48, v50, v1, v48
	;;#ASMEND
	;;#ASMSTART
	v_dot2_f32_f16 v48, v51, v2, v48
	;;#ASMEND
	;;#ASMSTART
	v_dot2_f32_f16 v48, v52, v3, v48
	;;#ASMEND
	;;#ASMSTART
	v_dot2_f32_f16 v48, v53, v4, v48
	;;#ASMEND
	s_waitcnt lgkmcnt(2)
	;;#ASMSTART
	v_dot2_f32_f16 v58, v50, v64, v58
	;;#ASMEND
	;;#ASMSTART
	v_dot2_f32_f16 v58, v51, v65, v58
	;;#ASMEND
	;;#ASMSTART
	v_dot2_f32_f16 v58, v52, v66, v58
	;;#ASMEND
	;;#ASMSTART
	v_dot2_f32_f16 v58, v53, v67, v58
	;;#ASMEND
	;; [unrolled: 13-line block ×4, first 2 shown]
	;;#ASMSTART
	v_dot2_f32_f16 v49, v60, v1, v49
	;;#ASMEND
	;;#ASMSTART
	v_dot2_f32_f16 v49, v61, v2, v49
	;;#ASMEND
	;;#ASMSTART
	v_dot2_f32_f16 v49, v62, v3, v49
	;;#ASMEND
	;;#ASMSTART
	v_dot2_f32_f16 v49, v63, v4, v49
	;;#ASMEND
	;;#ASMSTART
	v_dot2_f32_f16 v59, v60, v64, v59
	;;#ASMEND
	;;#ASMSTART
	v_dot2_f32_f16 v59, v61, v65, v59
	;;#ASMEND
	;;#ASMSTART
	v_dot2_f32_f16 v59, v62, v66, v59
	;;#ASMEND
	;;#ASMSTART
	v_dot2_f32_f16 v59, v63, v67, v59
	;;#ASMEND
	;;#ASMSTART
	v_dot2_f32_f16 v57, v60, v68, v57
	;;#ASMEND
	;;#ASMSTART
	v_dot2_f32_f16 v57, v61, v69, v57
	;;#ASMEND
	;;#ASMSTART
	v_dot2_f32_f16 v57, v62, v70, v57
	;;#ASMEND
	;;#ASMSTART
	v_dot2_f32_f16 v57, v63, v71, v57
	;;#ASMEND
	;;#ASMSTART
	v_dot2_f32_f16 v55, v60, v72, v55
	;;#ASMEND
	;;#ASMSTART
	v_dot2_f32_f16 v55, v61, v73, v55
	;;#ASMEND
	;;#ASMSTART
	v_dot2_f32_f16 v55, v62, v74, v55
	;;#ASMEND
	;;#ASMSTART
	v_dot2_f32_f16 v55, v63, v75, v55
	;;#ASMEND
	ds_read_b128 v[1:4], v21 offset:192
	ds_read_b128 v[50:53], v22 offset:64
	;; [unrolled: 1-line block ×6, first 2 shown]
	s_waitcnt lgkmcnt(4)
	;;#ASMSTART
	v_dot2_f32_f16 v48, v50, v1, v48
	;;#ASMEND
	;;#ASMSTART
	v_dot2_f32_f16 v48, v51, v2, v48
	;;#ASMEND
	;;#ASMSTART
	v_dot2_f32_f16 v48, v52, v3, v48
	;;#ASMEND
	;;#ASMSTART
	v_dot2_f32_f16 v48, v53, v4, v48
	;;#ASMEND
	s_waitcnt lgkmcnt(2)
	;;#ASMSTART
	v_dot2_f32_f16 v58, v50, v64, v58
	;;#ASMEND
	;;#ASMSTART
	v_dot2_f32_f16 v58, v51, v65, v58
	;;#ASMEND
	;;#ASMSTART
	v_dot2_f32_f16 v58, v52, v66, v58
	;;#ASMEND
	;;#ASMSTART
	v_dot2_f32_f16 v58, v53, v67, v58
	;;#ASMEND
	;; [unrolled: 13-line block ×4, first 2 shown]
	;;#ASMSTART
	v_dot2_f32_f16 v49, v60, v1, v49
	;;#ASMEND
	;;#ASMSTART
	v_dot2_f32_f16 v49, v61, v2, v49
	;;#ASMEND
	;; [unrolled: 3-line block ×16, first 2 shown]
	ds_read_b128 v[1:4], v21 offset:208
	ds_read_b128 v[50:53], v22 offset:80
	;; [unrolled: 1-line block ×6, first 2 shown]
	s_waitcnt lgkmcnt(4)
	;;#ASMSTART
	v_dot2_f32_f16 v48, v50, v1, v48
	;;#ASMEND
	;;#ASMSTART
	v_dot2_f32_f16 v48, v51, v2, v48
	;;#ASMEND
	;;#ASMSTART
	v_dot2_f32_f16 v48, v52, v3, v48
	;;#ASMEND
	;;#ASMSTART
	v_dot2_f32_f16 v48, v53, v4, v48
	;;#ASMEND
	s_waitcnt lgkmcnt(2)
	;;#ASMSTART
	v_dot2_f32_f16 v58, v50, v64, v58
	;;#ASMEND
	;;#ASMSTART
	v_dot2_f32_f16 v58, v51, v65, v58
	;;#ASMEND
	;;#ASMSTART
	v_dot2_f32_f16 v58, v52, v66, v58
	;;#ASMEND
	;;#ASMSTART
	v_dot2_f32_f16 v58, v53, v67, v58
	;;#ASMEND
	;; [unrolled: 13-line block ×4, first 2 shown]
	;;#ASMSTART
	v_dot2_f32_f16 v49, v60, v1, v49
	;;#ASMEND
	;;#ASMSTART
	v_dot2_f32_f16 v49, v61, v2, v49
	;;#ASMEND
	;; [unrolled: 3-line block ×16, first 2 shown]
	ds_read_b128 v[1:4], v21 offset:224
	ds_read_b128 v[50:53], v22 offset:96
	;; [unrolled: 1-line block ×6, first 2 shown]
	s_waitcnt lgkmcnt(4)
	;;#ASMSTART
	v_dot2_f32_f16 v48, v50, v1, v48
	;;#ASMEND
	;;#ASMSTART
	v_dot2_f32_f16 v48, v51, v2, v48
	;;#ASMEND
	;;#ASMSTART
	v_dot2_f32_f16 v48, v52, v3, v48
	;;#ASMEND
	;;#ASMSTART
	v_dot2_f32_f16 v48, v53, v4, v48
	;;#ASMEND
	s_waitcnt lgkmcnt(2)
	;;#ASMSTART
	v_dot2_f32_f16 v58, v50, v64, v58
	;;#ASMEND
	;;#ASMSTART
	v_dot2_f32_f16 v58, v51, v65, v58
	;;#ASMEND
	;;#ASMSTART
	v_dot2_f32_f16 v58, v52, v66, v58
	;;#ASMEND
	;;#ASMSTART
	v_dot2_f32_f16 v58, v53, v67, v58
	;;#ASMEND
	;; [unrolled: 13-line block ×4, first 2 shown]
	;;#ASMSTART
	v_dot2_f32_f16 v49, v60, v1, v49
	;;#ASMEND
	;;#ASMSTART
	v_dot2_f32_f16 v49, v61, v2, v49
	;;#ASMEND
	;; [unrolled: 3-line block ×16, first 2 shown]
	ds_read_b128 v[1:4], v21 offset:240
	ds_read_b128 v[50:53], v22 offset:112
	;; [unrolled: 1-line block ×6, first 2 shown]
	s_waitcnt lgkmcnt(4)
	;;#ASMSTART
	v_dot2_f32_f16 v48, v50, v1, v48
	;;#ASMEND
	;;#ASMSTART
	v_dot2_f32_f16 v48, v51, v2, v48
	;;#ASMEND
	;;#ASMSTART
	v_dot2_f32_f16 v48, v52, v3, v48
	;;#ASMEND
	;;#ASMSTART
	v_dot2_f32_f16 v48, v53, v4, v48
	;;#ASMEND
	s_waitcnt lgkmcnt(2)
	;;#ASMSTART
	v_dot2_f32_f16 v58, v50, v64, v58
	;;#ASMEND
	;;#ASMSTART
	v_dot2_f32_f16 v58, v51, v65, v58
	;;#ASMEND
	;;#ASMSTART
	v_dot2_f32_f16 v58, v52, v66, v58
	;;#ASMEND
	;;#ASMSTART
	v_dot2_f32_f16 v58, v53, v67, v58
	;;#ASMEND
	;; [unrolled: 13-line block ×4, first 2 shown]
	;;#ASMSTART
	v_dot2_f32_f16 v49, v60, v1, v49
	;;#ASMEND
	;;#ASMSTART
	v_dot2_f32_f16 v49, v61, v2, v49
	;;#ASMEND
	;; [unrolled: 3-line block ×15, first 2 shown]
	v_cmp_nlt_f32_e64 s[8:9], |v48|, s19
	;;#ASMSTART
	v_dot2_f32_f16 v55, v63, v75, v55
	;;#ASMEND
                                        ; implicit-def: $vgpr4
	s_and_saveexec_b64 s[36:37], s[8:9]
	s_xor_b64 s[8:9], exec, s[36:37]
	s_cbranch_execz .LBB72_14
; %bb.13:                               ;   in Loop: Header=BB72_12 Depth=1
	v_add_f32_e64 v1, |v48|, |v48|
	v_mul_f32_e32 v2, 0x3fb8aa3b, v1
	v_rndne_f32_e32 v3, v2
	v_sub_f32_e32 v4, v2, v3
	v_fma_f32 v2, v1, s24, -v2
	v_fmac_f32_e32 v2, 0x32a5705f, v1
	v_add_f32_e32 v2, v4, v2
	v_cvt_i32_f32_e32 v3, v3
	v_exp_f32_e32 v2, v2
	v_cmp_ngt_f32_e32 vcc, s25, v1
	v_ldexp_f32 v2, v2, v3
	v_cndmask_b32_e32 v2, 0, v2, vcc
	v_cmp_nlt_f32_e32 vcc, s26, v1
	v_cndmask_b32_e32 v1, v31, v2, vcc
	v_add_f32_e32 v1, 1.0, v1
	v_rcp_f32_e32 v1, v1
	v_fma_f32 v4, v1, -2.0, 1.0
.LBB72_14:                              ;   in Loop: Header=BB72_12 Depth=1
	s_andn2_saveexec_b64 s[8:9], s[8:9]
; %bb.15:                               ;   in Loop: Header=BB72_12 Depth=1
	v_mul_f32_e32 v1, v48, v48
	v_mov_b32_e32 v2, 0x3ca908c9
	v_fmac_f32_e32 v2, 0xbbbac73d, v1
	v_fma_f32 v2, v1, v2, v27
	v_fma_f32 v2, v1, v2, v28
	;; [unrolled: 1-line block ×3, first 2 shown]
	v_mul_f32_e64 v2, |v48|, v2
	v_fma_f32 v4, v1, v2, |v48|
; %bb.16:                               ;   in Loop: Header=BB72_12 Depth=1
	s_or_b64 exec, exec, s[8:9]
	v_add_u32_e32 v1, s6, v5
	v_ashrrev_i32_e32 v2, 31, v1
	v_lshlrev_b64 v[1:2], 1, v[1:2]
	v_mov_b32_e32 v3, s31
	v_add_co_u32_e32 v1, vcc, s30, v1
	v_addc_co_u32_e32 v2, vcc, v3, v2, vcc
	global_load_ushort v3, v[1:2], off
	v_cmp_nlt_f32_e64 s[8:9], |v49|, s19
                                        ; implicit-def: $vgpr50
	s_and_saveexec_b64 s[36:37], s[8:9]
	s_xor_b64 s[8:9], exec, s[36:37]
	s_cbranch_execz .LBB72_18
; %bb.17:                               ;   in Loop: Header=BB72_12 Depth=1
	v_add_f32_e64 v50, |v49|, |v49|
	v_mul_f32_e32 v51, 0x3fb8aa3b, v50
	v_rndne_f32_e32 v52, v51
	v_sub_f32_e32 v53, v51, v52
	v_fma_f32 v51, v50, s24, -v51
	v_fmac_f32_e32 v51, 0x32a5705f, v50
	v_add_f32_e32 v51, v53, v51
	v_cvt_i32_f32_e32 v52, v52
	v_exp_f32_e32 v51, v51
	v_cmp_ngt_f32_e32 vcc, s25, v50
	v_ldexp_f32 v51, v51, v52
	v_cndmask_b32_e32 v51, 0, v51, vcc
	v_cmp_nlt_f32_e32 vcc, s26, v50
	v_cndmask_b32_e32 v50, v31, v51, vcc
	v_add_f32_e32 v50, 1.0, v50
	v_rcp_f32_e32 v50, v50
	v_fma_f32 v50, v50, -2.0, 1.0
.LBB72_18:                              ;   in Loop: Header=BB72_12 Depth=1
	s_andn2_saveexec_b64 s[8:9], s[8:9]
; %bb.19:                               ;   in Loop: Header=BB72_12 Depth=1
	v_mul_f32_e32 v50, v49, v49
	v_mov_b32_e32 v51, 0x3ca908c9
	v_fmac_f32_e32 v51, 0xbbbac73d, v50
	v_fma_f32 v51, v50, v51, v27
	v_fma_f32 v51, v50, v51, v28
	v_fma_f32 v51, v50, v51, v29
	v_mul_f32_e64 v51, |v49|, v51
	v_fma_f32 v50, v50, v51, |v49|
; %bb.20:                               ;   in Loop: Header=BB72_12 Depth=1
	s_or_b64 exec, exec, s[8:9]
	global_load_ushort v2, v[1:2], off offset:64
	v_bfi_b32 v1, s27, v4, v48
	v_and_b32_e32 v4, 0x60, v18
	v_add_u32_e32 v48, 32, v4
	v_xor_b32_e32 v51, 16, v18
	v_bfi_b32 v49, s27, v50, v49
	s_waitcnt vmcnt(1)
	v_fma_mix_f32 v63, s14, v1, v3 op_sel_hi:[0,0,1]
	v_cmp_lt_i32_e32 vcc, v51, v48
	v_add_f32_e32 v1, 0x40051340, v63
	v_cndmask_b32_e32 v4, v18, v51, vcc
	v_lshlrev_b32_e32 v4, 2, v4
	v_cmp_nlt_f32_e64 s[8:9], |v58|, s19
                                        ; implicit-def: $vgpr69
	s_waitcnt vmcnt(0)
	v_fma_mix_f32 v62, s14, v49, v2 op_sel_hi:[0,0,1]
	v_add_f32_e32 v49, 0x40051340, v62
	v_max3_f32 v1, v47, v1, v49
	ds_bpermute_b32 v50, v4, v1
	v_xor_b32_e32 v49, 8, v18
	v_cmp_lt_i32_e32 vcc, v49, v48
	v_cndmask_b32_e32 v52, v18, v49, vcc
	v_lshlrev_b32_e32 v64, 2, v52
	s_waitcnt lgkmcnt(0)
	v_max_f32_e32 v50, v50, v50
	v_max_f32_e32 v1, v1, v50
	ds_bpermute_b32 v52, v64, v1
	v_xor_b32_e32 v50, 4, v18
	v_cmp_lt_i32_e32 vcc, v50, v48
	v_cndmask_b32_e32 v53, v18, v50, vcc
	v_lshlrev_b32_e32 v65, 2, v53
	s_waitcnt lgkmcnt(0)
	v_max_f32_e32 v52, v52, v52
	v_max_f32_e32 v1, v1, v52
	ds_bpermute_b32 v53, v65, v1
	v_xor_b32_e32 v52, 2, v18
	v_cmp_lt_i32_e32 vcc, v52, v48
	v_cndmask_b32_e32 v60, v18, v52, vcc
	v_lshlrev_b32_e32 v66, 2, v60
	s_waitcnt lgkmcnt(0)
	v_max_f32_e32 v53, v53, v53
	v_max_f32_e32 v1, v1, v53
	ds_bpermute_b32 v60, v66, v1
	v_xor_b32_e32 v53, 1, v18
	v_cmp_lt_i32_e32 vcc, v53, v48
	v_cndmask_b32_e32 v61, v18, v53, vcc
	v_lshlrev_b32_e32 v67, 2, v61
	s_waitcnt lgkmcnt(0)
	v_max_f32_e32 v60, v60, v60
	v_max_f32_e32 v1, v1, v60
	ds_bpermute_b32 v68, v67, v1
	s_and_saveexec_b64 s[36:37], s[8:9]
	s_xor_b64 s[8:9], exec, s[36:37]
	s_cbranch_execz .LBB72_22
; %bb.21:                               ;   in Loop: Header=BB72_12 Depth=1
	v_add_f32_e64 v60, |v58|, |v58|
	v_mul_f32_e32 v61, 0x3fb8aa3b, v60
	v_rndne_f32_e32 v69, v61
	v_sub_f32_e32 v70, v61, v69
	v_fma_f32 v61, v60, s24, -v61
	v_fmac_f32_e32 v61, 0x32a5705f, v60
	v_add_f32_e32 v61, v70, v61
	v_cvt_i32_f32_e32 v69, v69
	v_exp_f32_e32 v61, v61
	v_cmp_ngt_f32_e32 vcc, s25, v60
	v_ldexp_f32 v61, v61, v69
	v_cndmask_b32_e32 v61, 0, v61, vcc
	v_cmp_nlt_f32_e32 vcc, s26, v60
	v_cndmask_b32_e32 v60, v31, v61, vcc
	v_add_f32_e32 v60, 1.0, v60
	v_rcp_f32_e32 v60, v60
	v_fma_f32 v69, v60, -2.0, 1.0
.LBB72_22:                              ;   in Loop: Header=BB72_12 Depth=1
	s_andn2_saveexec_b64 s[8:9], s[8:9]
; %bb.23:                               ;   in Loop: Header=BB72_12 Depth=1
	v_mul_f32_e32 v60, v58, v58
	v_mov_b32_e32 v61, 0x3ca908c9
	v_fmac_f32_e32 v61, 0xbbbac73d, v60
	v_fma_f32 v61, v60, v61, v27
	v_fma_f32 v61, v60, v61, v28
	;; [unrolled: 1-line block ×3, first 2 shown]
	v_mul_f32_e64 v61, |v58|, v61
	v_fma_f32 v69, v60, v61, |v58|
; %bb.24:                               ;   in Loop: Header=BB72_12 Depth=1
	s_or_b64 exec, exec, s[8:9]
	v_cmp_nlt_f32_e64 s[8:9], |v59|, s19
                                        ; implicit-def: $vgpr70
	s_and_saveexec_b64 s[36:37], s[8:9]
	s_xor_b64 s[8:9], exec, s[36:37]
	s_cbranch_execz .LBB72_26
; %bb.25:                               ;   in Loop: Header=BB72_12 Depth=1
	v_add_f32_e64 v60, |v59|, |v59|
	v_mul_f32_e32 v61, 0x3fb8aa3b, v60
	v_rndne_f32_e32 v70, v61
	v_sub_f32_e32 v71, v61, v70
	v_fma_f32 v61, v60, s24, -v61
	v_fmac_f32_e32 v61, 0x32a5705f, v60
	v_add_f32_e32 v61, v71, v61
	v_cvt_i32_f32_e32 v70, v70
	v_exp_f32_e32 v61, v61
	v_cmp_ngt_f32_e32 vcc, s25, v60
	v_ldexp_f32 v61, v61, v70
	v_cndmask_b32_e32 v61, 0, v61, vcc
	v_cmp_nlt_f32_e32 vcc, s26, v60
	v_cndmask_b32_e32 v60, v31, v61, vcc
	v_add_f32_e32 v60, 1.0, v60
	v_rcp_f32_e32 v60, v60
	v_fma_f32 v70, v60, -2.0, 1.0
.LBB72_26:                              ;   in Loop: Header=BB72_12 Depth=1
	s_andn2_saveexec_b64 s[8:9], s[8:9]
; %bb.27:                               ;   in Loop: Header=BB72_12 Depth=1
	v_mul_f32_e32 v60, v59, v59
	v_mov_b32_e32 v61, 0x3ca908c9
	v_fmac_f32_e32 v61, 0xbbbac73d, v60
	v_fma_f32 v61, v60, v61, v27
	v_fma_f32 v61, v60, v61, v28
	;; [unrolled: 1-line block ×3, first 2 shown]
	v_mul_f32_e64 v61, |v59|, v61
	v_fma_f32 v70, v60, v61, |v59|
; %bb.28:                               ;   in Loop: Header=BB72_12 Depth=1
	s_or_b64 exec, exec, s[8:9]
	v_cvt_f32_f16_e32 v61, v3
	v_cvt_f32_f16_e32 v60, v2
	v_bfi_b32 v2, s27, v69, v58
	v_bfi_b32 v3, s27, v70, v59
	v_fma_f32 v59, s14, v2, v61
	v_fma_f32 v58, s14, v3, v60
	v_add_f32_e32 v2, 0x40051340, v59
	v_add_f32_e32 v3, 0x40051340, v58
	v_max3_f32 v2, v45, v2, v3
	ds_bpermute_b32 v3, v4, v2
	v_cmp_nlt_f32_e64 s[8:9], |v56|, s19
	s_waitcnt lgkmcnt(0)
	v_max_f32_e32 v3, v3, v3
	v_max_f32_e32 v2, v2, v3
	ds_bpermute_b32 v3, v64, v2
	s_waitcnt lgkmcnt(0)
	v_max_f32_e32 v3, v3, v3
	v_max_f32_e32 v2, v2, v3
	ds_bpermute_b32 v3, v65, v2
	;; [unrolled: 4-line block ×4, first 2 shown]
                                        ; implicit-def: $vgpr3
	s_and_saveexec_b64 s[36:37], s[8:9]
	s_xor_b64 s[8:9], exec, s[36:37]
	s_cbranch_execz .LBB72_30
; %bb.29:                               ;   in Loop: Header=BB72_12 Depth=1
	v_add_f32_e64 v3, |v56|, |v56|
	v_mul_f32_e32 v69, 0x3fb8aa3b, v3
	v_rndne_f32_e32 v71, v69
	v_sub_f32_e32 v72, v69, v71
	v_fma_f32 v69, v3, s24, -v69
	v_fmac_f32_e32 v69, 0x32a5705f, v3
	v_add_f32_e32 v69, v72, v69
	v_cvt_i32_f32_e32 v71, v71
	v_exp_f32_e32 v69, v69
	v_cmp_ngt_f32_e32 vcc, s25, v3
	v_ldexp_f32 v69, v69, v71
	v_cndmask_b32_e32 v69, 0, v69, vcc
	v_cmp_nlt_f32_e32 vcc, s26, v3
	v_cndmask_b32_e32 v3, v31, v69, vcc
	v_add_f32_e32 v3, 1.0, v3
	v_rcp_f32_e32 v3, v3
	v_fma_f32 v3, v3, -2.0, 1.0
.LBB72_30:                              ;   in Loop: Header=BB72_12 Depth=1
	s_andn2_saveexec_b64 s[8:9], s[8:9]
; %bb.31:                               ;   in Loop: Header=BB72_12 Depth=1
	v_mul_f32_e32 v3, v56, v56
	v_mov_b32_e32 v69, 0x3ca908c9
	v_fmac_f32_e32 v69, 0xbbbac73d, v3
	v_fma_f32 v69, v3, v69, v27
	v_fma_f32 v69, v3, v69, v28
	;; [unrolled: 1-line block ×3, first 2 shown]
	v_mul_f32_e64 v69, |v56|, v69
	v_fma_f32 v3, v3, v69, |v56|
; %bb.32:                               ;   in Loop: Header=BB72_12 Depth=1
	s_or_b64 exec, exec, s[8:9]
	v_cmp_nlt_f32_e64 s[8:9], |v57|, s19
                                        ; implicit-def: $vgpr71
	s_and_saveexec_b64 s[36:37], s[8:9]
	s_xor_b64 s[8:9], exec, s[36:37]
	s_cbranch_execz .LBB72_34
; %bb.33:                               ;   in Loop: Header=BB72_12 Depth=1
	v_add_f32_e64 v69, |v57|, |v57|
	v_mul_f32_e32 v71, 0x3fb8aa3b, v69
	v_rndne_f32_e32 v72, v71
	v_sub_f32_e32 v73, v71, v72
	v_fma_f32 v71, v69, s24, -v71
	v_fmac_f32_e32 v71, 0x32a5705f, v69
	v_add_f32_e32 v71, v73, v71
	v_cvt_i32_f32_e32 v72, v72
	v_exp_f32_e32 v71, v71
	v_cmp_ngt_f32_e32 vcc, s25, v69
	v_ldexp_f32 v71, v71, v72
	v_cndmask_b32_e32 v71, 0, v71, vcc
	v_cmp_nlt_f32_e32 vcc, s26, v69
	v_cndmask_b32_e32 v69, v31, v71, vcc
	v_add_f32_e32 v69, 1.0, v69
	v_rcp_f32_e32 v69, v69
	v_fma_f32 v71, v69, -2.0, 1.0
.LBB72_34:                              ;   in Loop: Header=BB72_12 Depth=1
	s_andn2_saveexec_b64 s[8:9], s[8:9]
; %bb.35:                               ;   in Loop: Header=BB72_12 Depth=1
	v_mul_f32_e32 v69, v57, v57
	v_mov_b32_e32 v71, 0x3ca908c9
	v_fmac_f32_e32 v71, 0xbbbac73d, v69
	v_fma_f32 v71, v69, v71, v27
	v_fma_f32 v71, v69, v71, v28
	;; [unrolled: 1-line block ×3, first 2 shown]
	v_mul_f32_e64 v71, |v57|, v71
	v_fma_f32 v71, v69, v71, |v57|
; %bb.36:                               ;   in Loop: Header=BB72_12 Depth=1
	s_or_b64 exec, exec, s[8:9]
	v_bfi_b32 v3, s27, v3, v56
	v_bfi_b32 v56, s27, v71, v57
	v_fma_f32 v69, s14, v3, v61
	v_fma_f32 v56, s14, v56, v60
	v_add_f32_e32 v3, 0x40051340, v69
	v_add_f32_e32 v57, 0x40051340, v56
	v_max3_f32 v3, v43, v3, v57
	ds_bpermute_b32 v57, v4, v3
	v_cmp_nlt_f32_e64 s[8:9], |v54|, s19
                                        ; implicit-def: $vgpr71
	s_waitcnt lgkmcnt(0)
	v_max_f32_e32 v57, v57, v57
	v_max_f32_e32 v3, v3, v57
	ds_bpermute_b32 v57, v64, v3
	s_waitcnt lgkmcnt(0)
	v_max_f32_e32 v57, v57, v57
	v_max_f32_e32 v3, v3, v57
	ds_bpermute_b32 v57, v65, v3
	;; [unrolled: 4-line block ×4, first 2 shown]
	s_and_saveexec_b64 s[36:37], s[8:9]
	s_xor_b64 s[8:9], exec, s[36:37]
	s_cbranch_execz .LBB72_38
; %bb.37:                               ;   in Loop: Header=BB72_12 Depth=1
	v_add_f32_e64 v71, |v54|, |v54|
	v_mul_f32_e32 v72, 0x3fb8aa3b, v71
	v_rndne_f32_e32 v73, v72
	v_sub_f32_e32 v74, v72, v73
	v_fma_f32 v72, v71, s24, -v72
	v_fmac_f32_e32 v72, 0x32a5705f, v71
	v_add_f32_e32 v72, v74, v72
	v_cvt_i32_f32_e32 v73, v73
	v_exp_f32_e32 v72, v72
	v_cmp_ngt_f32_e32 vcc, s25, v71
	v_ldexp_f32 v72, v72, v73
	v_cndmask_b32_e32 v72, 0, v72, vcc
	v_cmp_nlt_f32_e32 vcc, s26, v71
	v_cndmask_b32_e32 v71, v31, v72, vcc
	v_add_f32_e32 v71, 1.0, v71
	v_rcp_f32_e32 v71, v71
	v_fma_f32 v71, v71, -2.0, 1.0
.LBB72_38:                              ;   in Loop: Header=BB72_12 Depth=1
	s_andn2_saveexec_b64 s[8:9], s[8:9]
; %bb.39:                               ;   in Loop: Header=BB72_12 Depth=1
	v_mul_f32_e32 v71, v54, v54
	v_mov_b32_e32 v72, 0x3ca908c9
	v_fmac_f32_e32 v72, 0xbbbac73d, v71
	v_fma_f32 v72, v71, v72, v27
	v_fma_f32 v72, v71, v72, v28
	;; [unrolled: 1-line block ×3, first 2 shown]
	v_mul_f32_e64 v72, |v54|, v72
	v_fma_f32 v71, v71, v72, |v54|
; %bb.40:                               ;   in Loop: Header=BB72_12 Depth=1
	s_or_b64 exec, exec, s[8:9]
	v_cmp_nlt_f32_e64 s[8:9], |v55|, s19
                                        ; implicit-def: $vgpr72
	s_and_saveexec_b64 s[36:37], s[8:9]
	s_xor_b64 s[8:9], exec, s[36:37]
	s_cbranch_execz .LBB72_42
; %bb.41:                               ;   in Loop: Header=BB72_12 Depth=1
	v_add_f32_e64 v72, |v55|, |v55|
	v_mul_f32_e32 v73, 0x3fb8aa3b, v72
	v_rndne_f32_e32 v74, v73
	v_sub_f32_e32 v75, v73, v74
	v_fma_f32 v73, v72, s24, -v73
	v_fmac_f32_e32 v73, 0x32a5705f, v72
	v_add_f32_e32 v73, v75, v73
	v_cvt_i32_f32_e32 v74, v74
	v_exp_f32_e32 v73, v73
	v_cmp_ngt_f32_e32 vcc, s25, v72
	v_ldexp_f32 v73, v73, v74
	v_cndmask_b32_e32 v73, 0, v73, vcc
	v_cmp_nlt_f32_e32 vcc, s26, v72
	v_cndmask_b32_e32 v72, v31, v73, vcc
	v_add_f32_e32 v72, 1.0, v72
	v_rcp_f32_e32 v72, v72
	v_fma_f32 v72, v72, -2.0, 1.0
.LBB72_42:                              ;   in Loop: Header=BB72_12 Depth=1
	s_andn2_saveexec_b64 s[8:9], s[8:9]
; %bb.43:                               ;   in Loop: Header=BB72_12 Depth=1
	v_mul_f32_e32 v72, v55, v55
	v_mov_b32_e32 v73, 0x3ca908c9
	v_fmac_f32_e32 v73, 0xbbbac73d, v72
	v_fma_f32 v73, v72, v73, v27
	v_fma_f32 v73, v72, v73, v28
	;; [unrolled: 1-line block ×3, first 2 shown]
	v_mul_f32_e64 v73, |v55|, v73
	v_fma_f32 v72, v72, v73, |v55|
; %bb.44:                               ;   in Loop: Header=BB72_12 Depth=1
	s_or_b64 exec, exec, s[8:9]
	v_bfi_b32 v54, s27, v71, v54
	v_bfi_b32 v55, s27, v72, v55
	v_fmac_f32_e32 v61, s14, v54
	v_fmac_f32_e32 v60, s14, v55
	v_add_f32_e32 v54, 0x40051340, v61
	v_add_f32_e32 v55, 0x40051340, v60
	v_max3_f32 v54, v41, v54, v55
	ds_bpermute_b32 v4, v4, v54
	s_waitcnt lgkmcnt(1)
	v_max_f32_e32 v57, v57, v57
	v_max_f32_e32 v3, v3, v3
	;; [unrolled: 1-line block ×4, first 2 shown]
	s_waitcnt lgkmcnt(0)
	v_max_f32_e32 v4, v4, v4
	v_max_f32_e32 v4, v54, v4
	ds_bpermute_b32 v54, v64, v4
	v_max_f32_e32 v2, v2, v2
	v_max_f32_e32 v2, v2, v57
	;; [unrolled: 1-line block ×4, first 2 shown]
	s_waitcnt lgkmcnt(0)
	v_max_f32_e32 v54, v54, v54
	v_max_f32_e32 v4, v4, v54
	ds_bpermute_b32 v54, v65, v4
	v_max_f32_e32 v1, v1, v57
	v_sub_f32_e32 v47, v47, v1
	v_sub_f32_e32 v45, v45, v2
	;; [unrolled: 1-line block ×3, first 2 shown]
	s_waitcnt lgkmcnt(0)
	v_max_f32_e32 v54, v54, v54
	v_max_f32_e32 v4, v4, v54
	ds_bpermute_b32 v54, v66, v4
	v_sub_f32_e32 v43, v43, v3
	s_mul_hi_i32 s9, s6, s15
	s_mul_i32 s8, s6, s15
	s_lshl_b64 s[8:9], s[8:9], 2
	s_waitcnt lgkmcnt(0)
	v_max_f32_e32 v54, v54, v54
	v_max_f32_e32 v4, v4, v54
	ds_bpermute_b32 v54, v67, v4
	s_add_u32 s8, s12, s8
	s_addc_u32 s9, s13, s9
	s_waitcnt lgkmcnt(0)
	s_barrier
	v_max_f32_e32 v54, v54, v54
	v_max_f32_e32 v4, v4, v54
	v_sub_f32_e32 v54, v63, v1
	v_mul_f32_e32 v55, 0x3fb8aa3b, v54
	v_fma_f32 v57, v54, s24, -v55
	v_rndne_f32_e32 v63, v55
	v_fmac_f32_e32 v57, 0x32a5705f, v54
	v_sub_f32_e32 v55, v55, v63
	v_add_f32_e32 v55, v55, v57
	v_exp_f32_e32 v55, v55
	v_cvt_i32_f32_e32 v57, v63
	v_cmp_ngt_f32_e32 vcc, s25, v54
	v_sub_f32_e32 v41, v41, v4
	v_ldexp_f32 v55, v55, v57
	v_cndmask_b32_e32 v55, 0, v55, vcc
	v_cmp_nlt_f32_e32 vcc, s26, v54
	v_cndmask_b32_e32 v54, v31, v55, vcc
	v_sub_f32_e32 v55, v62, v1
	v_mul_f32_e32 v57, 0x3fb8aa3b, v55
	v_fma_f32 v62, v55, s24, -v57
	v_rndne_f32_e32 v64, v57
	v_fmac_f32_e32 v62, 0x32a5705f, v55
	v_sub_f32_e32 v57, v57, v64
	v_add_f32_e32 v57, v57, v62
	v_exp_f32_e32 v57, v57
	v_cvt_i32_f32_e32 v62, v64
	v_cmp_ngt_f32_e32 vcc, s25, v55
	v_cvt_f16_f32_e32 v63, v54
	v_ldexp_f32 v57, v57, v62
	v_cndmask_b32_e32 v57, 0, v57, vcc
	v_cmp_nlt_f32_e32 vcc, s26, v55
	v_cndmask_b32_e32 v55, v31, v57, vcc
	v_add_f32_e32 v54, v54, v55
	v_cvt_f16_f32_e32 v62, v55
	v_mul_f32_e32 v55, 0x3fb8aa3b, v47
	v_fma_f32 v57, v47, s24, -v55
	v_rndne_f32_e32 v64, v55
	v_fmac_f32_e32 v57, 0x32a5705f, v47
	v_sub_f32_e32 v55, v55, v64
	v_add_f32_e32 v55, v55, v57
	v_exp_f32_e32 v55, v55
	v_cvt_i32_f32_e32 v57, v64
	v_cmp_ngt_f32_e32 vcc, s25, v47
	v_ldexp_f32 v55, v55, v57
	v_cndmask_b32_e32 v55, 0, v55, vcc
	v_cmp_nlt_f32_e32 vcc, s26, v47
	v_cndmask_b32_e32 v47, v31, v55, vcc
	v_fmac_f32_e32 v54, v46, v47
	v_cvt_f16_f32_e32 v46, v47
	v_sub_f32_e32 v47, v59, v2
	v_mul_f32_e32 v55, 0x3fb8aa3b, v47
	v_fma_f32 v57, v47, s24, -v55
	v_rndne_f32_e32 v59, v55
	v_fmac_f32_e32 v57, 0x32a5705f, v47
	v_sub_f32_e32 v55, v55, v59
	v_add_f32_e32 v55, v55, v57
	v_exp_f32_e32 v55, v55
	v_cvt_i32_f32_e32 v57, v59
	v_cmp_ngt_f32_e32 vcc, s25, v47
	v_mul_u32_u24_e32 v46, 0x10001, v46
	v_pk_mul_f16 v39, v39, v46
	v_ldexp_f32 v55, v55, v57
	v_cndmask_b32_e32 v55, 0, v55, vcc
	v_cmp_nlt_f32_e32 vcc, s26, v47
	v_cndmask_b32_e32 v47, v31, v55, vcc
	v_sub_f32_e32 v55, v58, v2
	v_mul_f32_e32 v57, 0x3fb8aa3b, v55
	v_fma_f32 v58, v55, s24, -v57
	v_rndne_f32_e32 v64, v57
	v_fmac_f32_e32 v58, 0x32a5705f, v55
	v_sub_f32_e32 v57, v57, v64
	v_add_f32_e32 v57, v57, v58
	v_exp_f32_e32 v57, v57
	v_cvt_i32_f32_e32 v58, v64
	v_cmp_ngt_f32_e32 vcc, s25, v55
	v_cvt_f16_f32_e32 v59, v47
	v_ldexp_f32 v57, v57, v58
	v_cndmask_b32_e32 v57, 0, v57, vcc
	v_cmp_nlt_f32_e32 vcc, s26, v55
	v_cndmask_b32_e32 v57, v31, v57, vcc
	v_add_f32_e32 v55, v47, v57
	v_cvt_f16_f32_e32 v47, v57
	v_mul_f32_e32 v57, 0x3fb8aa3b, v45
	v_fma_f32 v58, v45, s24, -v57
	v_rndne_f32_e32 v64, v57
	v_fmac_f32_e32 v58, 0x32a5705f, v45
	v_sub_f32_e32 v57, v57, v64
	v_add_f32_e32 v57, v57, v58
	v_exp_f32_e32 v57, v57
	v_cvt_i32_f32_e32 v58, v64
	v_cmp_ngt_f32_e32 vcc, s25, v45
	v_ldexp_f32 v57, v57, v58
	v_cndmask_b32_e32 v57, 0, v57, vcc
	v_cmp_nlt_f32_e32 vcc, s26, v45
	v_cndmask_b32_e32 v45, v31, v57, vcc
	v_fmac_f32_e32 v55, v44, v45
	v_cvt_f16_f32_e32 v44, v45
	v_sub_f32_e32 v45, v69, v3
	v_mul_f32_e32 v57, 0x3fb8aa3b, v45
	v_fma_f32 v58, v45, s24, -v57
	v_rndne_f32_e32 v64, v57
	v_fmac_f32_e32 v58, 0x32a5705f, v45
	v_sub_f32_e32 v57, v57, v64
	v_add_f32_e32 v57, v57, v58
	v_exp_f32_e32 v57, v57
	v_cvt_i32_f32_e32 v58, v64
	v_cmp_ngt_f32_e32 vcc, s25, v45
	v_mul_u32_u24_e32 v44, 0x10001, v44
	v_pk_mul_f16 v38, v38, v44
	v_ldexp_f32 v57, v57, v58
	v_cndmask_b32_e32 v57, 0, v57, vcc
	v_cmp_nlt_f32_e32 vcc, s26, v45
	v_cndmask_b32_e32 v45, v31, v57, vcc
	v_mul_f32_e32 v57, 0x3fb8aa3b, v56
	v_fma_f32 v64, v56, s24, -v57
	v_rndne_f32_e32 v65, v57
	v_fmac_f32_e32 v64, 0x32a5705f, v56
	v_sub_f32_e32 v57, v57, v65
	v_add_f32_e32 v57, v57, v64
	v_exp_f32_e32 v57, v57
	v_cvt_i32_f32_e32 v64, v65
	v_cmp_ngt_f32_e32 vcc, s25, v56
	v_cvt_f16_f32_e32 v58, v45
	v_ldexp_f32 v57, v57, v64
	v_cndmask_b32_e32 v57, 0, v57, vcc
	v_cmp_nlt_f32_e32 vcc, s26, v56
	v_cndmask_b32_e32 v57, v31, v57, vcc
	v_add_f32_e32 v56, v45, v57
	v_cvt_f16_f32_e32 v45, v57
	v_mul_f32_e32 v57, 0x3fb8aa3b, v43
	v_fma_f32 v64, v43, s24, -v57
	v_rndne_f32_e32 v65, v57
	v_fmac_f32_e32 v64, 0x32a5705f, v43
	v_sub_f32_e32 v57, v57, v65
	v_add_f32_e32 v57, v57, v64
	v_exp_f32_e32 v57, v57
	v_cvt_i32_f32_e32 v64, v65
	v_cmp_ngt_f32_e32 vcc, s25, v43
	v_ldexp_f32 v57, v57, v64
	v_cndmask_b32_e32 v57, 0, v57, vcc
	v_cmp_nlt_f32_e32 vcc, s26, v43
	v_cndmask_b32_e32 v43, v31, v57, vcc
	v_fmac_f32_e32 v56, v42, v43
	v_cvt_f16_f32_e32 v42, v43
	v_sub_f32_e32 v43, v61, v4
	v_mul_f32_e32 v57, 0x3fb8aa3b, v43
	v_fma_f32 v61, v43, s24, -v57
	v_rndne_f32_e32 v64, v57
	v_fmac_f32_e32 v61, 0x32a5705f, v43
	v_sub_f32_e32 v57, v57, v64
	v_add_f32_e32 v57, v57, v61
	v_exp_f32_e32 v57, v57
	v_cvt_i32_f32_e32 v61, v64
	v_cmp_ngt_f32_e32 vcc, s25, v43
	v_mul_u32_u24_e32 v42, 0x10001, v42
	v_pk_mul_f16 v37, v37, v42
	v_ldexp_f32 v57, v57, v61
	v_cndmask_b32_e32 v57, 0, v57, vcc
	v_cmp_nlt_f32_e32 vcc, s26, v43
	v_cndmask_b32_e32 v43, v31, v57, vcc
	v_sub_f32_e32 v57, v60, v4
	v_mul_f32_e32 v60, 0x3fb8aa3b, v57
	v_fma_f32 v64, v57, s24, -v60
	v_rndne_f32_e32 v65, v60
	v_fmac_f32_e32 v64, 0x32a5705f, v57
	v_sub_f32_e32 v60, v60, v65
	v_add_f32_e32 v60, v60, v64
	v_exp_f32_e32 v60, v60
	v_cvt_i32_f32_e32 v64, v65
	v_cmp_ngt_f32_e32 vcc, s25, v57
	v_cvt_f16_f32_e32 v61, v43
	v_ldexp_f32 v60, v60, v64
	v_cndmask_b32_e32 v60, 0, v60, vcc
	v_cmp_nlt_f32_e32 vcc, s26, v57
	v_cndmask_b32_e32 v60, v31, v60, vcc
	v_add_f32_e32 v57, v43, v60
	v_cvt_f16_f32_e32 v43, v60
	v_mul_f32_e32 v60, 0x3fb8aa3b, v41
	v_fma_f32 v64, v41, s24, -v60
	v_rndne_f32_e32 v65, v60
	v_fmac_f32_e32 v64, 0x32a5705f, v41
	v_sub_f32_e32 v60, v60, v65
	v_add_f32_e32 v60, v60, v64
	v_exp_f32_e32 v60, v60
	v_cvt_i32_f32_e32 v64, v65
	v_cmp_ngt_f32_e32 vcc, s25, v41
	v_ldexp_f32 v60, v60, v64
	v_cndmask_b32_e32 v60, 0, v60, vcc
	v_cmp_nlt_f32_e32 vcc, s26, v41
	v_cndmask_b32_e32 v41, v31, v60, vcc
	v_fmac_f32_e32 v57, v40, v41
	v_cvt_f16_f32_e32 v40, v41
	v_add_u32_e32 v60, v23, v17
	v_pack_b32_f16 v41, v58, v61
	v_pack_b32_f16 v58, v62, v47
	v_mul_u32_u24_e32 v40, 0x10001, v40
	v_pk_mul_f16 v36, v36, v40
	v_pk_mul_f16 v34, v34, v40
	v_pack_b32_f16 v40, v63, v59
	v_pack_b32_f16 v59, v45, v43
	ds_write2_b64 v60, v[40:41], v[58:59] offset1:32
	v_add_co_u32_e32 v40, vcc, s8, v10
	v_mov_b32_e32 v41, s9
	v_addc_co_u32_e32 v41, vcc, v41, v11, vcc
	v_add_co_u32_e32 v40, vcc, v40, v30
	v_addc_co_u32_e32 v41, vcc, 0, v41, vcc
	global_load_dwordx4 v[58:61], v[40:41], off
	v_add_co_u32_e32 v40, vcc, s8, v12
	v_mov_b32_e32 v41, s9
	v_addc_co_u32_e32 v41, vcc, v41, v13, vcc
	v_add_co_u32_e32 v40, vcc, v40, v30
	v_addc_co_u32_e32 v41, vcc, 0, v41, vcc
	s_or_b32 s8, s6, 32
	s_mul_hi_i32 s9, s8, s15
	s_mul_i32 s8, s8, s15
	s_lshl_b64 s[8:9], s[8:9], 2
	s_add_u32 s8, s12, s8
	s_addc_u32 s9, s13, s9
	s_waitcnt vmcnt(0)
	ds_write_b128 v24, v[58:61]
	global_load_dwordx4 v[58:61], v[40:41], off
	s_waitcnt vmcnt(0)
	ds_write_b128 v25, v[58:61]
	s_waitcnt lgkmcnt(0)
	s_barrier
	ds_read2_b64 v[58:61], v17 offset1:32
	ds_read_b128 v[62:65], v23
	ds_read_b128 v[66:69], v23 offset:16
	ds_read_b128 v[70:73], v23 offset:32
	;; [unrolled: 1-line block ×3, first 2 shown]
	s_waitcnt lgkmcnt(3)
	v_mul_u32_u24_sdwa v40, v62, s34 dst_sel:DWORD dst_unused:UNUSED_PAD src0_sel:WORD_0 src1_sel:DWORD
	v_mul_u32_u24_sdwa v41, v62, s34 dst_sel:DWORD dst_unused:UNUSED_PAD src0_sel:WORD_1 src1_sel:DWORD
	v_pk_mul_f16 v47, v58, v40
	v_mul_u32_u24_sdwa v43, v63, s34 dst_sel:DWORD dst_unused:UNUSED_PAD src0_sel:WORD_0 src1_sel:DWORD
	v_pk_fma_f16 v35, v35, v46, v47
	v_pk_mul_f16 v46, v58, v41
	v_mul_u32_u24_sdwa v45, v63, s34 dst_sel:DWORD dst_unused:UNUSED_PAD src0_sel:WORD_1 src1_sel:DWORD
	v_pk_fma_f16 v33, v33, v44, v46
	v_pk_mul_f16 v44, v58, v43
	v_pk_fma_f16 v32, v32, v42, v44
	v_pk_fma_f16 v39, v59, v40, v39
	;; [unrolled: 1-line block ×5, first 2 shown]
	v_mul_u32_u24_sdwa v40, v64, s34 dst_sel:DWORD dst_unused:UNUSED_PAD src0_sel:WORD_0 src1_sel:DWORD
	v_mul_u32_u24_sdwa v41, v64, s34 dst_sel:DWORD dst_unused:UNUSED_PAD src0_sel:WORD_1 src1_sel:DWORD
	v_mul_u32_u24_sdwa v42, v65, s34 dst_sel:DWORD dst_unused:UNUSED_PAD src0_sel:WORD_0 src1_sel:DWORD
	v_mul_u32_u24_sdwa v43, v65, s34 dst_sel:DWORD dst_unused:UNUSED_PAD src0_sel:WORD_1 src1_sel:DWORD
	v_pk_fma_f16 v36, v58, v45, v36
	v_pk_fma_f16 v44, v60, v40, v35
	;; [unrolled: 1-line block ×6, first 2 shown]
	ds_read2_b64 v[32:35], v17 offset0:64 offset1:96
	v_pk_fma_f16 v36, v60, v43, v36
	v_pk_fma_f16 v38, v61, v41, v38
	;; [unrolled: 1-line block ×3, first 2 shown]
	s_waitcnt lgkmcnt(3)
	v_mul_u32_u24_sdwa v41, v66, s34 dst_sel:DWORD dst_unused:UNUSED_PAD src0_sel:WORD_0 src1_sel:DWORD
	v_mul_u32_u24_sdwa v42, v66, s34 dst_sel:DWORD dst_unused:UNUSED_PAD src0_sel:WORD_1 src1_sel:DWORD
	v_mul_u32_u24_sdwa v43, v67, s34 dst_sel:DWORD dst_unused:UNUSED_PAD src0_sel:WORD_0 src1_sel:DWORD
	v_mul_u32_u24_sdwa v47, v67, s34 dst_sel:DWORD dst_unused:UNUSED_PAD src0_sel:WORD_1 src1_sel:DWORD
	s_waitcnt lgkmcnt(0)
	v_pk_fma_f16 v44, v32, v41, v44
	v_pk_fma_f16 v45, v32, v42, v45
	;; [unrolled: 1-line block ×8, first 2 shown]
	v_mul_u32_u24_sdwa v39, v68, s34 dst_sel:DWORD dst_unused:UNUSED_PAD src0_sel:WORD_0 src1_sel:DWORD
	v_mul_u32_u24_sdwa v40, v68, s34 dst_sel:DWORD dst_unused:UNUSED_PAD src0_sel:WORD_1 src1_sel:DWORD
	v_mul_u32_u24_sdwa v41, v69, s34 dst_sel:DWORD dst_unused:UNUSED_PAD src0_sel:WORD_0 src1_sel:DWORD
	v_mul_u32_u24_sdwa v42, v69, s34 dst_sel:DWORD dst_unused:UNUSED_PAD src0_sel:WORD_1 src1_sel:DWORD
	v_pk_fma_f16 v43, v34, v39, v44
	v_pk_fma_f16 v44, v34, v40, v45
	;; [unrolled: 1-line block ×8, first 2 shown]
	ds_read2_b64 v[32:35], v17 offset0:128 offset1:160
	v_mul_u32_u24_sdwa v40, v70, s34 dst_sel:DWORD dst_unused:UNUSED_PAD src0_sel:WORD_0 src1_sel:DWORD
	v_mul_u32_u24_sdwa v41, v70, s34 dst_sel:DWORD dst_unused:UNUSED_PAD src0_sel:WORD_1 src1_sel:DWORD
	v_mul_u32_u24_sdwa v42, v71, s34 dst_sel:DWORD dst_unused:UNUSED_PAD src0_sel:WORD_0 src1_sel:DWORD
	v_mul_u32_u24_sdwa v47, v71, s34 dst_sel:DWORD dst_unused:UNUSED_PAD src0_sel:WORD_1 src1_sel:DWORD
	s_waitcnt lgkmcnt(0)
	v_pk_fma_f16 v43, v32, v40, v43
	v_pk_fma_f16 v44, v32, v41, v44
	;; [unrolled: 1-line block ×8, first 2 shown]
	v_mul_u32_u24_sdwa v39, v72, s34 dst_sel:DWORD dst_unused:UNUSED_PAD src0_sel:WORD_0 src1_sel:DWORD
	v_mul_u32_u24_sdwa v40, v72, s34 dst_sel:DWORD dst_unused:UNUSED_PAD src0_sel:WORD_1 src1_sel:DWORD
	v_mul_u32_u24_sdwa v41, v73, s34 dst_sel:DWORD dst_unused:UNUSED_PAD src0_sel:WORD_0 src1_sel:DWORD
	v_mul_u32_u24_sdwa v42, v73, s34 dst_sel:DWORD dst_unused:UNUSED_PAD src0_sel:WORD_1 src1_sel:DWORD
	v_pk_fma_f16 v43, v34, v39, v43
	v_pk_fma_f16 v44, v34, v40, v44
	;; [unrolled: 1-line block ×8, first 2 shown]
	ds_read2_b64 v[32:35], v17 offset0:192 offset1:224
	v_mul_u32_u24_sdwa v40, v74, s34 dst_sel:DWORD dst_unused:UNUSED_PAD src0_sel:WORD_0 src1_sel:DWORD
	v_mul_u32_u24_sdwa v41, v74, s34 dst_sel:DWORD dst_unused:UNUSED_PAD src0_sel:WORD_1 src1_sel:DWORD
	v_mul_u32_u24_sdwa v42, v75, s34 dst_sel:DWORD dst_unused:UNUSED_PAD src0_sel:WORD_0 src1_sel:DWORD
	v_mul_u32_u24_sdwa v47, v75, s34 dst_sel:DWORD dst_unused:UNUSED_PAD src0_sel:WORD_1 src1_sel:DWORD
	s_waitcnt lgkmcnt(0)
	v_pk_fma_f16 v43, v32, v40, v43
	v_pk_fma_f16 v44, v32, v41, v44
	;; [unrolled: 1-line block ×5, first 2 shown]
	v_mul_u32_u24_sdwa v42, v77, s34 dst_sel:DWORD dst_unused:UNUSED_PAD src0_sel:WORD_1 src1_sel:DWORD
	v_pk_fma_f16 v36, v33, v40, v36
	v_pk_fma_f16 v38, v33, v41, v38
	;; [unrolled: 1-line block ×3, first 2 shown]
	v_mul_u32_u24_sdwa v39, v76, s34 dst_sel:DWORD dst_unused:UNUSED_PAD src0_sel:WORD_0 src1_sel:DWORD
	v_mul_u32_u24_sdwa v40, v76, s34 dst_sel:DWORD dst_unused:UNUSED_PAD src0_sel:WORD_1 src1_sel:DWORD
	v_mul_u32_u24_sdwa v41, v77, s34 dst_sel:DWORD dst_unused:UNUSED_PAD src0_sel:WORD_0 src1_sel:DWORD
	v_pk_fma_f16 v46, v34, v42, v32
	v_add_u32_e32 v32, 0x800, v17
	v_pk_fma_f16 v43, v34, v39, v43
	v_pk_fma_f16 v44, v34, v40, v44
	;; [unrolled: 1-line block ×7, first 2 shown]
	ds_read2_b64 v[33:36], v32 offset1:32
	ds_read_b128 v[37:40], v23 offset:64
	s_waitcnt lgkmcnt(0)
	v_mul_u32_u24_sdwa v59, v37, s34 dst_sel:DWORD dst_unused:UNUSED_PAD src0_sel:WORD_0 src1_sel:DWORD
	v_mul_u32_u24_sdwa v37, v37, s34 dst_sel:DWORD dst_unused:UNUSED_PAD src0_sel:WORD_1 src1_sel:DWORD
	v_mul_u32_u24_sdwa v60, v38, s34 dst_sel:DWORD dst_unused:UNUSED_PAD src0_sel:WORD_0 src1_sel:DWORD
	v_mul_u32_u24_sdwa v38, v38, s34 dst_sel:DWORD dst_unused:UNUSED_PAD src0_sel:WORD_1 src1_sel:DWORD
	v_pk_fma_f16 v43, v33, v59, v43
	v_pk_fma_f16 v44, v33, v37, v44
	v_pk_fma_f16 v45, v33, v60, v45
	v_pk_fma_f16 v33, v33, v38, v46
	v_pk_fma_f16 v46, v34, v59, v47
	v_pk_fma_f16 v37, v34, v37, v58
	v_pk_fma_f16 v41, v34, v60, v41
	v_pk_fma_f16 v34, v34, v38, v42
	v_mul_u32_u24_sdwa v38, v39, s34 dst_sel:DWORD dst_unused:UNUSED_PAD src0_sel:WORD_0 src1_sel:DWORD
	v_mul_u32_u24_sdwa v39, v39, s34 dst_sel:DWORD dst_unused:UNUSED_PAD src0_sel:WORD_1 src1_sel:DWORD
	v_mul_u32_u24_sdwa v42, v40, s34 dst_sel:DWORD dst_unused:UNUSED_PAD src0_sel:WORD_0 src1_sel:DWORD
	v_mul_u32_u24_sdwa v40, v40, s34 dst_sel:DWORD dst_unused:UNUSED_PAD src0_sel:WORD_1 src1_sel:DWORD
	v_pk_fma_f16 v43, v35, v38, v43
	v_pk_fma_f16 v44, v35, v39, v44
	v_pk_fma_f16 v45, v35, v42, v45
	v_pk_fma_f16 v47, v35, v40, v33
	v_pk_fma_f16 v46, v36, v38, v46
	v_pk_fma_f16 v58, v36, v39, v37
	v_pk_fma_f16 v41, v36, v42, v41
	v_pk_fma_f16 v42, v36, v40, v34
	ds_read2_b64 v[33:36], v32 offset0:64 offset1:96
	ds_read_b128 v[37:40], v23 offset:80
	s_waitcnt lgkmcnt(0)
	v_mul_u32_u24_sdwa v59, v37, s34 dst_sel:DWORD dst_unused:UNUSED_PAD src0_sel:WORD_0 src1_sel:DWORD
	v_mul_u32_u24_sdwa v37, v37, s34 dst_sel:DWORD dst_unused:UNUSED_PAD src0_sel:WORD_1 src1_sel:DWORD
	v_mul_u32_u24_sdwa v60, v38, s34 dst_sel:DWORD dst_unused:UNUSED_PAD src0_sel:WORD_0 src1_sel:DWORD
	v_mul_u32_u24_sdwa v38, v38, s34 dst_sel:DWORD dst_unused:UNUSED_PAD src0_sel:WORD_1 src1_sel:DWORD
	v_pk_fma_f16 v43, v33, v59, v43
	v_pk_fma_f16 v44, v33, v37, v44
	v_pk_fma_f16 v45, v33, v60, v45
	v_pk_fma_f16 v33, v33, v38, v47
	v_pk_fma_f16 v46, v34, v59, v46
	v_pk_fma_f16 v37, v34, v37, v58
	v_pk_fma_f16 v41, v34, v60, v41
	v_pk_fma_f16 v34, v34, v38, v42
	v_mul_u32_u24_sdwa v38, v39, s34 dst_sel:DWORD dst_unused:UNUSED_PAD src0_sel:WORD_0 src1_sel:DWORD
	v_mul_u32_u24_sdwa v39, v39, s34 dst_sel:DWORD dst_unused:UNUSED_PAD src0_sel:WORD_1 src1_sel:DWORD
	v_mul_u32_u24_sdwa v42, v40, s34 dst_sel:DWORD dst_unused:UNUSED_PAD src0_sel:WORD_0 src1_sel:DWORD
	v_mul_u32_u24_sdwa v40, v40, s34 dst_sel:DWORD dst_unused:UNUSED_PAD src0_sel:WORD_1 src1_sel:DWORD
	v_pk_fma_f16 v43, v35, v38, v43
	v_pk_fma_f16 v44, v35, v39, v44
	v_pk_fma_f16 v45, v35, v42, v45
	v_pk_fma_f16 v47, v35, v40, v33
	v_pk_fma_f16 v46, v36, v38, v46
	v_pk_fma_f16 v58, v36, v39, v37
	v_pk_fma_f16 v41, v36, v42, v41
	v_pk_fma_f16 v42, v36, v40, v34
	ds_read2_b64 v[33:36], v32 offset0:128 offset1:160
	;; [unrolled: 27-line block ×3, first 2 shown]
	ds_read_b128 v[37:40], v23 offset:112
	s_waitcnt lgkmcnt(0)
	v_mul_u32_u24_sdwa v59, v37, s34 dst_sel:DWORD dst_unused:UNUSED_PAD src0_sel:WORD_0 src1_sel:DWORD
	v_mul_u32_u24_sdwa v37, v37, s34 dst_sel:DWORD dst_unused:UNUSED_PAD src0_sel:WORD_1 src1_sel:DWORD
	v_mul_u32_u24_sdwa v60, v38, s34 dst_sel:DWORD dst_unused:UNUSED_PAD src0_sel:WORD_0 src1_sel:DWORD
	v_mul_u32_u24_sdwa v38, v38, s34 dst_sel:DWORD dst_unused:UNUSED_PAD src0_sel:WORD_1 src1_sel:DWORD
	v_pk_fma_f16 v43, v33, v59, v43
	v_pk_fma_f16 v44, v33, v37, v44
	;; [unrolled: 1-line block ×8, first 2 shown]
	v_mul_u32_u24_sdwa v42, v40, s34 dst_sel:DWORD dst_unused:UNUSED_PAD src0_sel:WORD_0 src1_sel:DWORD
	v_mul_u32_u24_sdwa v40, v40, s34 dst_sel:DWORD dst_unused:UNUSED_PAD src0_sel:WORD_1 src1_sel:DWORD
	v_mul_u32_u24_sdwa v38, v39, s34 dst_sel:DWORD dst_unused:UNUSED_PAD src0_sel:WORD_0 src1_sel:DWORD
	v_mul_u32_u24_sdwa v39, v39, s34 dst_sel:DWORD dst_unused:UNUSED_PAD src0_sel:WORD_1 src1_sel:DWORD
	v_pk_fma_f16 v47, v35, v40, v33
	v_add_u32_e32 v33, 0x1000, v17
	v_pk_fma_f16 v43, v35, v38, v43
	v_pk_fma_f16 v44, v35, v39, v44
	v_pk_fma_f16 v45, v35, v42, v45
	v_pk_fma_f16 v46, v36, v38, v46
	v_pk_fma_f16 v58, v36, v39, v37
	v_pk_fma_f16 v42, v36, v42, v41
	v_pk_fma_f16 v59, v36, v40, v34
	ds_read2_b64 v[34:37], v33 offset1:32
	ds_read_b128 v[38:41], v23 offset:128
	s_waitcnt lgkmcnt(0)
	v_mul_u32_u24_sdwa v60, v38, s34 dst_sel:DWORD dst_unused:UNUSED_PAD src0_sel:WORD_0 src1_sel:DWORD
	v_mul_u32_u24_sdwa v38, v38, s34 dst_sel:DWORD dst_unused:UNUSED_PAD src0_sel:WORD_1 src1_sel:DWORD
	v_mul_u32_u24_sdwa v61, v39, s34 dst_sel:DWORD dst_unused:UNUSED_PAD src0_sel:WORD_0 src1_sel:DWORD
	v_mul_u32_u24_sdwa v39, v39, s34 dst_sel:DWORD dst_unused:UNUSED_PAD src0_sel:WORD_1 src1_sel:DWORD
	v_pk_fma_f16 v43, v34, v60, v43
	v_pk_fma_f16 v44, v34, v38, v44
	v_pk_fma_f16 v45, v34, v61, v45
	v_pk_fma_f16 v34, v34, v39, v47
	v_pk_fma_f16 v46, v35, v60, v46
	v_pk_fma_f16 v38, v35, v38, v58
	v_pk_fma_f16 v42, v35, v61, v42
	v_pk_fma_f16 v35, v35, v39, v59
	v_mul_u32_u24_sdwa v39, v40, s34 dst_sel:DWORD dst_unused:UNUSED_PAD src0_sel:WORD_0 src1_sel:DWORD
	v_mul_u32_u24_sdwa v40, v40, s34 dst_sel:DWORD dst_unused:UNUSED_PAD src0_sel:WORD_1 src1_sel:DWORD
	v_mul_u32_u24_sdwa v47, v41, s34 dst_sel:DWORD dst_unused:UNUSED_PAD src0_sel:WORD_0 src1_sel:DWORD
	v_mul_u32_u24_sdwa v41, v41, s34 dst_sel:DWORD dst_unused:UNUSED_PAD src0_sel:WORD_1 src1_sel:DWORD
	v_pk_fma_f16 v43, v36, v39, v43
	v_pk_fma_f16 v44, v36, v40, v44
	v_pk_fma_f16 v45, v36, v47, v45
	v_pk_fma_f16 v58, v36, v41, v34
	v_pk_fma_f16 v46, v37, v39, v46
	v_pk_fma_f16 v59, v37, v40, v38
	v_pk_fma_f16 v42, v37, v47, v42
	v_pk_fma_f16 v47, v37, v41, v35
	ds_read2_b64 v[34:37], v33 offset0:64 offset1:96
	ds_read_b128 v[38:41], v23 offset:144
	s_waitcnt lgkmcnt(0)
	v_mul_u32_u24_sdwa v60, v38, s34 dst_sel:DWORD dst_unused:UNUSED_PAD src0_sel:WORD_0 src1_sel:DWORD
	v_mul_u32_u24_sdwa v38, v38, s34 dst_sel:DWORD dst_unused:UNUSED_PAD src0_sel:WORD_1 src1_sel:DWORD
	v_mul_u32_u24_sdwa v61, v39, s34 dst_sel:DWORD dst_unused:UNUSED_PAD src0_sel:WORD_0 src1_sel:DWORD
	v_mul_u32_u24_sdwa v39, v39, s34 dst_sel:DWORD dst_unused:UNUSED_PAD src0_sel:WORD_1 src1_sel:DWORD
	v_pk_fma_f16 v43, v34, v60, v43
	v_pk_fma_f16 v44, v34, v38, v44
	v_pk_fma_f16 v45, v34, v61, v45
	v_pk_fma_f16 v34, v34, v39, v58
	v_pk_fma_f16 v46, v35, v60, v46
	v_pk_fma_f16 v38, v35, v38, v59
	v_pk_fma_f16 v42, v35, v61, v42
	v_pk_fma_f16 v35, v35, v39, v47
	v_mul_u32_u24_sdwa v39, v40, s34 dst_sel:DWORD dst_unused:UNUSED_PAD src0_sel:WORD_0 src1_sel:DWORD
	v_mul_u32_u24_sdwa v40, v40, s34 dst_sel:DWORD dst_unused:UNUSED_PAD src0_sel:WORD_1 src1_sel:DWORD
	v_mul_u32_u24_sdwa v47, v41, s34 dst_sel:DWORD dst_unused:UNUSED_PAD src0_sel:WORD_0 src1_sel:DWORD
	v_mul_u32_u24_sdwa v41, v41, s34 dst_sel:DWORD dst_unused:UNUSED_PAD src0_sel:WORD_1 src1_sel:DWORD
	v_pk_fma_f16 v43, v36, v39, v43
	v_pk_fma_f16 v44, v36, v40, v44
	v_pk_fma_f16 v45, v36, v47, v45
	v_pk_fma_f16 v58, v36, v41, v34
	v_pk_fma_f16 v46, v37, v39, v46
	v_pk_fma_f16 v59, v37, v40, v38
	v_pk_fma_f16 v42, v37, v47, v42
	v_pk_fma_f16 v47, v37, v41, v35
	ds_read2_b64 v[34:37], v33 offset0:128 offset1:160
	;; [unrolled: 27-line block ×3, first 2 shown]
	ds_read_b128 v[38:41], v23 offset:176
	s_waitcnt lgkmcnt(0)
	v_mul_u32_u24_sdwa v60, v38, s34 dst_sel:DWORD dst_unused:UNUSED_PAD src0_sel:WORD_0 src1_sel:DWORD
	v_mul_u32_u24_sdwa v38, v38, s34 dst_sel:DWORD dst_unused:UNUSED_PAD src0_sel:WORD_1 src1_sel:DWORD
	v_mul_u32_u24_sdwa v61, v39, s34 dst_sel:DWORD dst_unused:UNUSED_PAD src0_sel:WORD_0 src1_sel:DWORD
	v_mul_u32_u24_sdwa v39, v39, s34 dst_sel:DWORD dst_unused:UNUSED_PAD src0_sel:WORD_1 src1_sel:DWORD
	v_pk_fma_f16 v43, v34, v60, v43
	v_pk_fma_f16 v44, v34, v38, v44
	;; [unrolled: 1-line block ×8, first 2 shown]
	v_mul_u32_u24_sdwa v47, v41, s34 dst_sel:DWORD dst_unused:UNUSED_PAD src0_sel:WORD_0 src1_sel:DWORD
	v_mul_u32_u24_sdwa v41, v41, s34 dst_sel:DWORD dst_unused:UNUSED_PAD src0_sel:WORD_1 src1_sel:DWORD
	v_mul_u32_u24_sdwa v39, v40, s34 dst_sel:DWORD dst_unused:UNUSED_PAD src0_sel:WORD_0 src1_sel:DWORD
	v_mul_u32_u24_sdwa v40, v40, s34 dst_sel:DWORD dst_unused:UNUSED_PAD src0_sel:WORD_1 src1_sel:DWORD
	v_pk_fma_f16 v58, v36, v41, v34
	v_add_u32_e32 v34, 0x1800, v17
	v_pk_fma_f16 v43, v36, v39, v43
	v_pk_fma_f16 v44, v36, v40, v44
	;; [unrolled: 1-line block ×7, first 2 shown]
	ds_read2_b64 v[35:38], v34 offset1:32
	ds_read_b128 v[39:42], v23 offset:192
	s_waitcnt lgkmcnt(0)
	v_mul_u32_u24_sdwa v61, v39, s34 dst_sel:DWORD dst_unused:UNUSED_PAD src0_sel:WORD_0 src1_sel:DWORD
	v_mul_u32_u24_sdwa v39, v39, s34 dst_sel:DWORD dst_unused:UNUSED_PAD src0_sel:WORD_1 src1_sel:DWORD
	v_mul_u32_u24_sdwa v62, v40, s34 dst_sel:DWORD dst_unused:UNUSED_PAD src0_sel:WORD_0 src1_sel:DWORD
	v_mul_u32_u24_sdwa v40, v40, s34 dst_sel:DWORD dst_unused:UNUSED_PAD src0_sel:WORD_1 src1_sel:DWORD
	v_pk_fma_f16 v43, v35, v61, v43
	v_pk_fma_f16 v44, v35, v39, v44
	v_pk_fma_f16 v45, v35, v62, v45
	v_pk_fma_f16 v35, v35, v40, v58
	v_pk_fma_f16 v46, v36, v61, v46
	v_pk_fma_f16 v39, v36, v39, v59
	v_pk_fma_f16 v47, v36, v62, v47
	v_pk_fma_f16 v36, v36, v40, v60
	v_mul_u32_u24_sdwa v40, v41, s34 dst_sel:DWORD dst_unused:UNUSED_PAD src0_sel:WORD_0 src1_sel:DWORD
	v_mul_u32_u24_sdwa v41, v41, s34 dst_sel:DWORD dst_unused:UNUSED_PAD src0_sel:WORD_1 src1_sel:DWORD
	v_mul_u32_u24_sdwa v58, v42, s34 dst_sel:DWORD dst_unused:UNUSED_PAD src0_sel:WORD_0 src1_sel:DWORD
	v_mul_u32_u24_sdwa v42, v42, s34 dst_sel:DWORD dst_unused:UNUSED_PAD src0_sel:WORD_1 src1_sel:DWORD
	v_pk_fma_f16 v43, v37, v40, v43
	v_pk_fma_f16 v44, v37, v41, v44
	v_pk_fma_f16 v45, v37, v58, v45
	v_pk_fma_f16 v59, v37, v42, v35
	v_pk_fma_f16 v46, v38, v40, v46
	v_pk_fma_f16 v60, v38, v41, v39
	v_pk_fma_f16 v47, v38, v58, v47
	v_pk_fma_f16 v58, v38, v42, v36
	ds_read2_b64 v[35:38], v34 offset0:64 offset1:96
	ds_read_b128 v[39:42], v23 offset:208
	s_waitcnt lgkmcnt(0)
	v_mul_u32_u24_sdwa v61, v39, s34 dst_sel:DWORD dst_unused:UNUSED_PAD src0_sel:WORD_0 src1_sel:DWORD
	v_mul_u32_u24_sdwa v39, v39, s34 dst_sel:DWORD dst_unused:UNUSED_PAD src0_sel:WORD_1 src1_sel:DWORD
	v_mul_u32_u24_sdwa v62, v40, s34 dst_sel:DWORD dst_unused:UNUSED_PAD src0_sel:WORD_0 src1_sel:DWORD
	v_mul_u32_u24_sdwa v40, v40, s34 dst_sel:DWORD dst_unused:UNUSED_PAD src0_sel:WORD_1 src1_sel:DWORD
	v_pk_fma_f16 v43, v35, v61, v43
	v_pk_fma_f16 v44, v35, v39, v44
	v_pk_fma_f16 v45, v35, v62, v45
	v_pk_fma_f16 v35, v35, v40, v59
	v_pk_fma_f16 v46, v36, v61, v46
	v_pk_fma_f16 v39, v36, v39, v60
	v_pk_fma_f16 v47, v36, v62, v47
	v_pk_fma_f16 v36, v36, v40, v58
	v_mul_u32_u24_sdwa v40, v41, s34 dst_sel:DWORD dst_unused:UNUSED_PAD src0_sel:WORD_0 src1_sel:DWORD
	v_mul_u32_u24_sdwa v41, v41, s34 dst_sel:DWORD dst_unused:UNUSED_PAD src0_sel:WORD_1 src1_sel:DWORD
	v_mul_u32_u24_sdwa v58, v42, s34 dst_sel:DWORD dst_unused:UNUSED_PAD src0_sel:WORD_0 src1_sel:DWORD
	v_mul_u32_u24_sdwa v42, v42, s34 dst_sel:DWORD dst_unused:UNUSED_PAD src0_sel:WORD_1 src1_sel:DWORD
	v_pk_fma_f16 v43, v37, v40, v43
	v_pk_fma_f16 v44, v37, v41, v44
	v_pk_fma_f16 v45, v37, v58, v45
	v_pk_fma_f16 v59, v37, v42, v35
	v_pk_fma_f16 v46, v38, v40, v46
	v_pk_fma_f16 v60, v38, v41, v39
	v_pk_fma_f16 v47, v38, v58, v47
	v_pk_fma_f16 v58, v38, v42, v36
	ds_read2_b64 v[35:38], v34 offset0:128 offset1:160
	;; [unrolled: 27-line block ×3, first 2 shown]
	ds_read_b128 v[39:42], v23 offset:240
	s_waitcnt lgkmcnt(0)
	s_barrier
	v_mul_u32_u24_sdwa v61, v39, s34 dst_sel:DWORD dst_unused:UNUSED_PAD src0_sel:WORD_0 src1_sel:DWORD
	v_mul_u32_u24_sdwa v39, v39, s34 dst_sel:DWORD dst_unused:UNUSED_PAD src0_sel:WORD_1 src1_sel:DWORD
	v_mul_u32_u24_sdwa v62, v40, s34 dst_sel:DWORD dst_unused:UNUSED_PAD src0_sel:WORD_0 src1_sel:DWORD
	v_mul_u32_u24_sdwa v40, v40, s34 dst_sel:DWORD dst_unused:UNUSED_PAD src0_sel:WORD_1 src1_sel:DWORD
	v_pk_fma_f16 v43, v35, v61, v43
	v_pk_fma_f16 v44, v35, v39, v44
	;; [unrolled: 1-line block ×8, first 2 shown]
	v_mul_u32_u24_sdwa v58, v42, s34 dst_sel:DWORD dst_unused:UNUSED_PAD src0_sel:WORD_0 src1_sel:DWORD
	v_mul_u32_u24_sdwa v42, v42, s34 dst_sel:DWORD dst_unused:UNUSED_PAD src0_sel:WORD_1 src1_sel:DWORD
	v_pk_fma_f16 v69, v37, v42, v35
	v_pk_fma_f16 v72, v38, v42, v36
	v_add_co_u32_e32 v35, vcc, s8, v10
	v_mov_b32_e32 v36, s9
	v_addc_co_u32_e32 v36, vcc, v36, v11, vcc
	v_add_co_u32_e32 v35, vcc, v35, v30
	v_mul_u32_u24_sdwa v40, v41, s34 dst_sel:DWORD dst_unused:UNUSED_PAD src0_sel:WORD_0 src1_sel:DWORD
	v_mul_u32_u24_sdwa v41, v41, s34 dst_sel:DWORD dst_unused:UNUSED_PAD src0_sel:WORD_1 src1_sel:DWORD
	v_addc_co_u32_e32 v36, vcc, 0, v36, vcc
	v_pk_fma_f16 v66, v37, v40, v43
	v_pk_fma_f16 v67, v37, v41, v44
	;; [unrolled: 1-line block ×6, first 2 shown]
	global_load_dwordx4 v[35:38], v[35:36], off
	s_waitcnt vmcnt(0)
	ds_write_b128 v24, v[35:38]
	v_add_co_u32_e32 v35, vcc, s8, v12
	v_mov_b32_e32 v36, s9
	v_addc_co_u32_e32 v36, vcc, v36, v13, vcc
	v_add_co_u32_e32 v35, vcc, v35, v30
	v_addc_co_u32_e32 v36, vcc, 0, v36, vcc
	global_load_dwordx4 v[35:38], v[35:36], off
	s_waitcnt vmcnt(0)
	ds_write_b128 v25, v[35:38]
	s_waitcnt lgkmcnt(0)
	s_barrier
	ds_read2_b64 v[35:38], v17 offset1:32
	ds_read_b128 v[39:42], v23 offset:256
	ds_read_b128 v[43:46], v23 offset:272
	;; [unrolled: 1-line block ×4, first 2 shown]
	s_waitcnt lgkmcnt(3)
	v_mul_u32_u24_sdwa v73, v39, s34 dst_sel:DWORD dst_unused:UNUSED_PAD src0_sel:WORD_0 src1_sel:DWORD
	v_mul_u32_u24_sdwa v39, v39, s34 dst_sel:DWORD dst_unused:UNUSED_PAD src0_sel:WORD_1 src1_sel:DWORD
	v_mul_u32_u24_sdwa v74, v40, s34 dst_sel:DWORD dst_unused:UNUSED_PAD src0_sel:WORD_0 src1_sel:DWORD
	v_mul_u32_u24_sdwa v40, v40, s34 dst_sel:DWORD dst_unused:UNUSED_PAD src0_sel:WORD_1 src1_sel:DWORD
	v_pk_fma_f16 v66, v35, v73, v66
	v_pk_fma_f16 v67, v35, v39, v67
	;; [unrolled: 1-line block ×8, first 2 shown]
	v_mul_u32_u24_sdwa v40, v41, s34 dst_sel:DWORD dst_unused:UNUSED_PAD src0_sel:WORD_0 src1_sel:DWORD
	v_mul_u32_u24_sdwa v41, v41, s34 dst_sel:DWORD dst_unused:UNUSED_PAD src0_sel:WORD_1 src1_sel:DWORD
	v_mul_u32_u24_sdwa v70, v42, s34 dst_sel:DWORD dst_unused:UNUSED_PAD src0_sel:WORD_0 src1_sel:DWORD
	v_mul_u32_u24_sdwa v42, v42, s34 dst_sel:DWORD dst_unused:UNUSED_PAD src0_sel:WORD_1 src1_sel:DWORD
	v_pk_fma_f16 v66, v37, v40, v66
	v_pk_fma_f16 v67, v37, v41, v67
	;; [unrolled: 1-line block ×8, first 2 shown]
	ds_read2_b64 v[35:38], v17 offset0:64 offset1:96
	s_waitcnt lgkmcnt(3)
	v_mul_u32_u24_sdwa v47, v43, s34 dst_sel:DWORD dst_unused:UNUSED_PAD src0_sel:WORD_0 src1_sel:DWORD
	v_mul_u32_u24_sdwa v43, v43, s34 dst_sel:DWORD dst_unused:UNUSED_PAD src0_sel:WORD_1 src1_sel:DWORD
	v_mul_u32_u24_sdwa v69, v44, s34 dst_sel:DWORD dst_unused:UNUSED_PAD src0_sel:WORD_0 src1_sel:DWORD
	v_mul_u32_u24_sdwa v44, v44, s34 dst_sel:DWORD dst_unused:UNUSED_PAD src0_sel:WORD_1 src1_sel:DWORD
	s_waitcnt lgkmcnt(0)
	v_pk_fma_f16 v66, v35, v47, v66
	v_pk_fma_f16 v67, v35, v43, v67
	;; [unrolled: 1-line block ×8, first 2 shown]
	v_mul_u32_u24_sdwa v42, v45, s34 dst_sel:DWORD dst_unused:UNUSED_PAD src0_sel:WORD_0 src1_sel:DWORD
	v_mul_u32_u24_sdwa v43, v45, s34 dst_sel:DWORD dst_unused:UNUSED_PAD src0_sel:WORD_1 src1_sel:DWORD
	v_mul_u32_u24_sdwa v44, v46, s34 dst_sel:DWORD dst_unused:UNUSED_PAD src0_sel:WORD_0 src1_sel:DWORD
	v_mul_u32_u24_sdwa v45, v46, s34 dst_sel:DWORD dst_unused:UNUSED_PAD src0_sel:WORD_1 src1_sel:DWORD
	v_pk_fma_f16 v46, v37, v42, v66
	v_pk_fma_f16 v47, v37, v43, v67
	;; [unrolled: 1-line block ×8, first 2 shown]
	ds_read2_b64 v[35:38], v17 offset0:128 offset1:160
	v_mul_u32_u24_sdwa v43, v58, s34 dst_sel:DWORD dst_unused:UNUSED_PAD src0_sel:WORD_0 src1_sel:DWORD
	v_mul_u32_u24_sdwa v44, v58, s34 dst_sel:DWORD dst_unused:UNUSED_PAD src0_sel:WORD_1 src1_sel:DWORD
	v_mul_u32_u24_sdwa v45, v59, s34 dst_sel:DWORD dst_unused:UNUSED_PAD src0_sel:WORD_0 src1_sel:DWORD
	v_mul_u32_u24_sdwa v58, v59, s34 dst_sel:DWORD dst_unused:UNUSED_PAD src0_sel:WORD_1 src1_sel:DWORD
	s_waitcnt lgkmcnt(0)
	v_pk_fma_f16 v46, v35, v43, v46
	v_pk_fma_f16 v47, v35, v44, v47
	;; [unrolled: 1-line block ×8, first 2 shown]
	v_mul_u32_u24_sdwa v42, v60, s34 dst_sel:DWORD dst_unused:UNUSED_PAD src0_sel:WORD_0 src1_sel:DWORD
	v_mul_u32_u24_sdwa v43, v60, s34 dst_sel:DWORD dst_unused:UNUSED_PAD src0_sel:WORD_1 src1_sel:DWORD
	v_mul_u32_u24_sdwa v44, v61, s34 dst_sel:DWORD dst_unused:UNUSED_PAD src0_sel:WORD_0 src1_sel:DWORD
	v_mul_u32_u24_sdwa v45, v61, s34 dst_sel:DWORD dst_unused:UNUSED_PAD src0_sel:WORD_1 src1_sel:DWORD
	v_pk_fma_f16 v46, v37, v42, v46
	v_pk_fma_f16 v47, v37, v43, v47
	;; [unrolled: 1-line block ×8, first 2 shown]
	ds_read2_b64 v[35:38], v17 offset0:192 offset1:224
	v_mul_u32_u24_sdwa v43, v62, s34 dst_sel:DWORD dst_unused:UNUSED_PAD src0_sel:WORD_0 src1_sel:DWORD
	v_mul_u32_u24_sdwa v44, v62, s34 dst_sel:DWORD dst_unused:UNUSED_PAD src0_sel:WORD_1 src1_sel:DWORD
	v_mul_u32_u24_sdwa v45, v63, s34 dst_sel:DWORD dst_unused:UNUSED_PAD src0_sel:WORD_0 src1_sel:DWORD
	v_mul_u32_u24_sdwa v60, v63, s34 dst_sel:DWORD dst_unused:UNUSED_PAD src0_sel:WORD_1 src1_sel:DWORD
	s_waitcnt lgkmcnt(0)
	v_pk_fma_f16 v46, v35, v43, v46
	v_pk_fma_f16 v47, v35, v44, v47
	;; [unrolled: 1-line block ×8, first 2 shown]
	v_mul_u32_u24_sdwa v42, v64, s34 dst_sel:DWORD dst_unused:UNUSED_PAD src0_sel:WORD_0 src1_sel:DWORD
	v_mul_u32_u24_sdwa v43, v64, s34 dst_sel:DWORD dst_unused:UNUSED_PAD src0_sel:WORD_1 src1_sel:DWORD
	v_mul_u32_u24_sdwa v44, v65, s34 dst_sel:DWORD dst_unused:UNUSED_PAD src0_sel:WORD_0 src1_sel:DWORD
	v_mul_u32_u24_sdwa v45, v65, s34 dst_sel:DWORD dst_unused:UNUSED_PAD src0_sel:WORD_1 src1_sel:DWORD
	v_pk_fma_f16 v46, v37, v42, v46
	v_pk_fma_f16 v47, v37, v43, v47
	;; [unrolled: 1-line block ×8, first 2 shown]
	ds_read2_b64 v[35:38], v32 offset1:32
	ds_read_b128 v[39:42], v23 offset:320
	s_waitcnt lgkmcnt(0)
	v_mul_u32_u24_sdwa v61, v39, s34 dst_sel:DWORD dst_unused:UNUSED_PAD src0_sel:WORD_0 src1_sel:DWORD
	v_mul_u32_u24_sdwa v39, v39, s34 dst_sel:DWORD dst_unused:UNUSED_PAD src0_sel:WORD_1 src1_sel:DWORD
	v_mul_u32_u24_sdwa v62, v40, s34 dst_sel:DWORD dst_unused:UNUSED_PAD src0_sel:WORD_0 src1_sel:DWORD
	v_mul_u32_u24_sdwa v40, v40, s34 dst_sel:DWORD dst_unused:UNUSED_PAD src0_sel:WORD_1 src1_sel:DWORD
	v_pk_fma_f16 v46, v35, v61, v46
	v_pk_fma_f16 v47, v35, v39, v47
	v_pk_fma_f16 v58, v35, v62, v58
	v_pk_fma_f16 v35, v35, v40, v59
	v_pk_fma_f16 v59, v36, v61, v60
	v_pk_fma_f16 v39, v36, v39, v43
	v_pk_fma_f16 v43, v36, v62, v44
	v_pk_fma_f16 v36, v36, v40, v45
	v_mul_u32_u24_sdwa v40, v41, s34 dst_sel:DWORD dst_unused:UNUSED_PAD src0_sel:WORD_0 src1_sel:DWORD
	v_mul_u32_u24_sdwa v41, v41, s34 dst_sel:DWORD dst_unused:UNUSED_PAD src0_sel:WORD_1 src1_sel:DWORD
	v_mul_u32_u24_sdwa v44, v42, s34 dst_sel:DWORD dst_unused:UNUSED_PAD src0_sel:WORD_0 src1_sel:DWORD
	v_mul_u32_u24_sdwa v42, v42, s34 dst_sel:DWORD dst_unused:UNUSED_PAD src0_sel:WORD_1 src1_sel:DWORD
	v_pk_fma_f16 v45, v37, v40, v46
	v_pk_fma_f16 v46, v37, v41, v47
	v_pk_fma_f16 v47, v37, v44, v58
	v_pk_fma_f16 v58, v37, v42, v35
	v_pk_fma_f16 v59, v38, v40, v59
	v_pk_fma_f16 v60, v38, v41, v39
	v_pk_fma_f16 v43, v38, v44, v43
	v_pk_fma_f16 v44, v38, v42, v36
	ds_read2_b64 v[35:38], v32 offset0:64 offset1:96
	ds_read_b128 v[39:42], v23 offset:336
	s_waitcnt lgkmcnt(0)
	v_mul_u32_u24_sdwa v61, v39, s34 dst_sel:DWORD dst_unused:UNUSED_PAD src0_sel:WORD_0 src1_sel:DWORD
	v_mul_u32_u24_sdwa v39, v39, s34 dst_sel:DWORD dst_unused:UNUSED_PAD src0_sel:WORD_1 src1_sel:DWORD
	v_mul_u32_u24_sdwa v62, v40, s34 dst_sel:DWORD dst_unused:UNUSED_PAD src0_sel:WORD_0 src1_sel:DWORD
	v_mul_u32_u24_sdwa v40, v40, s34 dst_sel:DWORD dst_unused:UNUSED_PAD src0_sel:WORD_1 src1_sel:DWORD
	v_pk_fma_f16 v45, v35, v61, v45
	v_pk_fma_f16 v46, v35, v39, v46
	v_pk_fma_f16 v47, v35, v62, v47
	v_pk_fma_f16 v35, v35, v40, v58
	v_pk_fma_f16 v58, v36, v61, v59
	v_pk_fma_f16 v39, v36, v39, v60
	v_pk_fma_f16 v43, v36, v62, v43
	v_pk_fma_f16 v36, v36, v40, v44
	v_mul_u32_u24_sdwa v40, v41, s34 dst_sel:DWORD dst_unused:UNUSED_PAD src0_sel:WORD_0 src1_sel:DWORD
	v_mul_u32_u24_sdwa v41, v41, s34 dst_sel:DWORD dst_unused:UNUSED_PAD src0_sel:WORD_1 src1_sel:DWORD
	v_mul_u32_u24_sdwa v44, v42, s34 dst_sel:DWORD dst_unused:UNUSED_PAD src0_sel:WORD_0 src1_sel:DWORD
	v_mul_u32_u24_sdwa v42, v42, s34 dst_sel:DWORD dst_unused:UNUSED_PAD src0_sel:WORD_1 src1_sel:DWORD
	v_pk_fma_f16 v45, v37, v40, v45
	v_pk_fma_f16 v46, v37, v41, v46
	v_pk_fma_f16 v47, v37, v44, v47
	v_pk_fma_f16 v59, v37, v42, v35
	v_pk_fma_f16 v58, v38, v40, v58
	v_pk_fma_f16 v60, v38, v41, v39
	v_pk_fma_f16 v43, v38, v44, v43
	v_pk_fma_f16 v44, v38, v42, v36
	ds_read2_b64 v[35:38], v32 offset0:128 offset1:160
	;; [unrolled: 27-line block ×3, first 2 shown]
	ds_read_b128 v[39:42], v23 offset:368
	s_waitcnt lgkmcnt(0)
	v_mul_u32_u24_sdwa v32, v39, s34 dst_sel:DWORD dst_unused:UNUSED_PAD src0_sel:WORD_0 src1_sel:DWORD
	v_mul_u32_u24_sdwa v39, v39, s34 dst_sel:DWORD dst_unused:UNUSED_PAD src0_sel:WORD_1 src1_sel:DWORD
	v_mul_u32_u24_sdwa v61, v40, s34 dst_sel:DWORD dst_unused:UNUSED_PAD src0_sel:WORD_0 src1_sel:DWORD
	v_mul_u32_u24_sdwa v40, v40, s34 dst_sel:DWORD dst_unused:UNUSED_PAD src0_sel:WORD_1 src1_sel:DWORD
	v_pk_fma_f16 v45, v35, v32, v45
	v_pk_fma_f16 v46, v35, v39, v46
	;; [unrolled: 1-line block ×8, first 2 shown]
	v_mul_u32_u24_sdwa v40, v41, s34 dst_sel:DWORD dst_unused:UNUSED_PAD src0_sel:WORD_0 src1_sel:DWORD
	v_mul_u32_u24_sdwa v41, v41, s34 dst_sel:DWORD dst_unused:UNUSED_PAD src0_sel:WORD_1 src1_sel:DWORD
	v_mul_u32_u24_sdwa v44, v42, s34 dst_sel:DWORD dst_unused:UNUSED_PAD src0_sel:WORD_0 src1_sel:DWORD
	v_mul_u32_u24_sdwa v42, v42, s34 dst_sel:DWORD dst_unused:UNUSED_PAD src0_sel:WORD_1 src1_sel:DWORD
	v_pk_fma_f16 v45, v37, v40, v45
	v_pk_fma_f16 v46, v37, v41, v46
	;; [unrolled: 1-line block ×8, first 2 shown]
	ds_read2_b64 v[35:38], v33 offset1:32
	ds_read_b128 v[39:42], v23 offset:384
	s_waitcnt lgkmcnt(0)
	v_mul_u32_u24_sdwa v60, v39, s34 dst_sel:DWORD dst_unused:UNUSED_PAD src0_sel:WORD_0 src1_sel:DWORD
	v_mul_u32_u24_sdwa v39, v39, s34 dst_sel:DWORD dst_unused:UNUSED_PAD src0_sel:WORD_1 src1_sel:DWORD
	v_mul_u32_u24_sdwa v61, v40, s34 dst_sel:DWORD dst_unused:UNUSED_PAD src0_sel:WORD_0 src1_sel:DWORD
	v_mul_u32_u24_sdwa v40, v40, s34 dst_sel:DWORD dst_unused:UNUSED_PAD src0_sel:WORD_1 src1_sel:DWORD
	v_pk_fma_f16 v45, v35, v60, v45
	v_pk_fma_f16 v46, v35, v39, v46
	v_pk_fma_f16 v47, v35, v61, v47
	v_pk_fma_f16 v35, v35, v40, v58
	v_pk_fma_f16 v32, v36, v60, v32
	v_pk_fma_f16 v39, v36, v39, v59
	v_pk_fma_f16 v43, v36, v61, v43
	v_pk_fma_f16 v36, v36, v40, v44
	v_mul_u32_u24_sdwa v40, v41, s34 dst_sel:DWORD dst_unused:UNUSED_PAD src0_sel:WORD_0 src1_sel:DWORD
	v_mul_u32_u24_sdwa v41, v41, s34 dst_sel:DWORD dst_unused:UNUSED_PAD src0_sel:WORD_1 src1_sel:DWORD
	v_mul_u32_u24_sdwa v44, v42, s34 dst_sel:DWORD dst_unused:UNUSED_PAD src0_sel:WORD_0 src1_sel:DWORD
	v_mul_u32_u24_sdwa v42, v42, s34 dst_sel:DWORD dst_unused:UNUSED_PAD src0_sel:WORD_1 src1_sel:DWORD
	v_pk_fma_f16 v45, v37, v40, v45
	v_pk_fma_f16 v46, v37, v41, v46
	v_pk_fma_f16 v47, v37, v44, v47
	v_pk_fma_f16 v58, v37, v42, v35
	v_pk_fma_f16 v32, v38, v40, v32
	v_pk_fma_f16 v59, v38, v41, v39
	v_pk_fma_f16 v43, v38, v44, v43
	v_pk_fma_f16 v44, v38, v42, v36
	ds_read2_b64 v[35:38], v33 offset0:64 offset1:96
	ds_read_b128 v[39:42], v23 offset:400
	s_waitcnt lgkmcnt(0)
	v_mul_u32_u24_sdwa v60, v39, s34 dst_sel:DWORD dst_unused:UNUSED_PAD src0_sel:WORD_0 src1_sel:DWORD
	v_mul_u32_u24_sdwa v39, v39, s34 dst_sel:DWORD dst_unused:UNUSED_PAD src0_sel:WORD_1 src1_sel:DWORD
	v_mul_u32_u24_sdwa v61, v40, s34 dst_sel:DWORD dst_unused:UNUSED_PAD src0_sel:WORD_0 src1_sel:DWORD
	v_mul_u32_u24_sdwa v40, v40, s34 dst_sel:DWORD dst_unused:UNUSED_PAD src0_sel:WORD_1 src1_sel:DWORD
	v_pk_fma_f16 v45, v35, v60, v45
	v_pk_fma_f16 v46, v35, v39, v46
	v_pk_fma_f16 v47, v35, v61, v47
	v_pk_fma_f16 v35, v35, v40, v58
	v_pk_fma_f16 v32, v36, v60, v32
	v_pk_fma_f16 v39, v36, v39, v59
	v_pk_fma_f16 v43, v36, v61, v43
	v_pk_fma_f16 v36, v36, v40, v44
	v_mul_u32_u24_sdwa v40, v41, s34 dst_sel:DWORD dst_unused:UNUSED_PAD src0_sel:WORD_0 src1_sel:DWORD
	v_mul_u32_u24_sdwa v41, v41, s34 dst_sel:DWORD dst_unused:UNUSED_PAD src0_sel:WORD_1 src1_sel:DWORD
	v_mul_u32_u24_sdwa v44, v42, s34 dst_sel:DWORD dst_unused:UNUSED_PAD src0_sel:WORD_0 src1_sel:DWORD
	v_mul_u32_u24_sdwa v42, v42, s34 dst_sel:DWORD dst_unused:UNUSED_PAD src0_sel:WORD_1 src1_sel:DWORD
	v_pk_fma_f16 v45, v37, v40, v45
	v_pk_fma_f16 v46, v37, v41, v46
	v_pk_fma_f16 v47, v37, v44, v47
	v_pk_fma_f16 v58, v37, v42, v35
	v_pk_fma_f16 v32, v38, v40, v32
	v_pk_fma_f16 v59, v38, v41, v39
	v_pk_fma_f16 v43, v38, v44, v43
	v_pk_fma_f16 v44, v38, v42, v36
	ds_read2_b64 v[35:38], v33 offset0:128 offset1:160
	;; [unrolled: 27-line block ×3, first 2 shown]
	ds_read_b128 v[39:42], v23 offset:432
	s_waitcnt lgkmcnt(0)
	v_mul_u32_u24_sdwa v33, v39, s34 dst_sel:DWORD dst_unused:UNUSED_PAD src0_sel:WORD_0 src1_sel:DWORD
	v_mul_u32_u24_sdwa v39, v39, s34 dst_sel:DWORD dst_unused:UNUSED_PAD src0_sel:WORD_1 src1_sel:DWORD
	v_mul_u32_u24_sdwa v60, v40, s34 dst_sel:DWORD dst_unused:UNUSED_PAD src0_sel:WORD_0 src1_sel:DWORD
	v_mul_u32_u24_sdwa v40, v40, s34 dst_sel:DWORD dst_unused:UNUSED_PAD src0_sel:WORD_1 src1_sel:DWORD
	v_pk_fma_f16 v45, v35, v33, v45
	v_pk_fma_f16 v46, v35, v39, v46
	;; [unrolled: 1-line block ×8, first 2 shown]
	v_mul_u32_u24_sdwa v40, v41, s34 dst_sel:DWORD dst_unused:UNUSED_PAD src0_sel:WORD_0 src1_sel:DWORD
	v_mul_u32_u24_sdwa v41, v41, s34 dst_sel:DWORD dst_unused:UNUSED_PAD src0_sel:WORD_1 src1_sel:DWORD
	v_mul_u32_u24_sdwa v43, v42, s34 dst_sel:DWORD dst_unused:UNUSED_PAD src0_sel:WORD_0 src1_sel:DWORD
	v_mul_u32_u24_sdwa v42, v42, s34 dst_sel:DWORD dst_unused:UNUSED_PAD src0_sel:WORD_1 src1_sel:DWORD
	v_pk_fma_f16 v44, v37, v40, v45
	v_pk_fma_f16 v45, v37, v41, v46
	;; [unrolled: 1-line block ×8, first 2 shown]
	ds_read2_b64 v[35:38], v34 offset1:32
	ds_read_b128 v[39:42], v23 offset:448
	s_waitcnt lgkmcnt(0)
	v_mul_u32_u24_sdwa v59, v39, s34 dst_sel:DWORD dst_unused:UNUSED_PAD src0_sel:WORD_0 src1_sel:DWORD
	v_mul_u32_u24_sdwa v39, v39, s34 dst_sel:DWORD dst_unused:UNUSED_PAD src0_sel:WORD_1 src1_sel:DWORD
	v_mul_u32_u24_sdwa v60, v40, s34 dst_sel:DWORD dst_unused:UNUSED_PAD src0_sel:WORD_0 src1_sel:DWORD
	v_mul_u32_u24_sdwa v40, v40, s34 dst_sel:DWORD dst_unused:UNUSED_PAD src0_sel:WORD_1 src1_sel:DWORD
	v_pk_fma_f16 v44, v35, v59, v44
	v_pk_fma_f16 v45, v35, v39, v45
	v_pk_fma_f16 v46, v35, v60, v46
	v_pk_fma_f16 v35, v35, v40, v47
	v_pk_fma_f16 v32, v36, v59, v32
	v_pk_fma_f16 v33, v36, v39, v33
	v_pk_fma_f16 v39, v36, v60, v43
	v_pk_fma_f16 v36, v36, v40, v58
	v_mul_u32_u24_sdwa v40, v41, s34 dst_sel:DWORD dst_unused:UNUSED_PAD src0_sel:WORD_0 src1_sel:DWORD
	v_mul_u32_u24_sdwa v41, v41, s34 dst_sel:DWORD dst_unused:UNUSED_PAD src0_sel:WORD_1 src1_sel:DWORD
	v_mul_u32_u24_sdwa v43, v42, s34 dst_sel:DWORD dst_unused:UNUSED_PAD src0_sel:WORD_0 src1_sel:DWORD
	v_mul_u32_u24_sdwa v42, v42, s34 dst_sel:DWORD dst_unused:UNUSED_PAD src0_sel:WORD_1 src1_sel:DWORD
	v_pk_fma_f16 v44, v37, v40, v44
	v_pk_fma_f16 v45, v37, v41, v45
	v_pk_fma_f16 v46, v37, v43, v46
	v_pk_fma_f16 v47, v37, v42, v35
	v_pk_fma_f16 v32, v38, v40, v32
	v_pk_fma_f16 v33, v38, v41, v33
	v_pk_fma_f16 v43, v38, v43, v39
	v_pk_fma_f16 v58, v38, v42, v36
	ds_read2_b64 v[35:38], v34 offset0:64 offset1:96
	ds_read_b128 v[39:42], v23 offset:464
	s_waitcnt lgkmcnt(0)
	v_mul_u32_u24_sdwa v59, v39, s34 dst_sel:DWORD dst_unused:UNUSED_PAD src0_sel:WORD_0 src1_sel:DWORD
	v_mul_u32_u24_sdwa v39, v39, s34 dst_sel:DWORD dst_unused:UNUSED_PAD src0_sel:WORD_1 src1_sel:DWORD
	v_mul_u32_u24_sdwa v60, v40, s34 dst_sel:DWORD dst_unused:UNUSED_PAD src0_sel:WORD_0 src1_sel:DWORD
	v_mul_u32_u24_sdwa v40, v40, s34 dst_sel:DWORD dst_unused:UNUSED_PAD src0_sel:WORD_1 src1_sel:DWORD
	v_pk_fma_f16 v44, v35, v59, v44
	v_pk_fma_f16 v45, v35, v39, v45
	v_pk_fma_f16 v46, v35, v60, v46
	v_pk_fma_f16 v35, v35, v40, v47
	v_pk_fma_f16 v32, v36, v59, v32
	v_pk_fma_f16 v33, v36, v39, v33
	v_pk_fma_f16 v39, v36, v60, v43
	v_pk_fma_f16 v36, v36, v40, v58
	v_mul_u32_u24_sdwa v40, v41, s34 dst_sel:DWORD dst_unused:UNUSED_PAD src0_sel:WORD_0 src1_sel:DWORD
	v_mul_u32_u24_sdwa v41, v41, s34 dst_sel:DWORD dst_unused:UNUSED_PAD src0_sel:WORD_1 src1_sel:DWORD
	v_mul_u32_u24_sdwa v43, v42, s34 dst_sel:DWORD dst_unused:UNUSED_PAD src0_sel:WORD_0 src1_sel:DWORD
	v_mul_u32_u24_sdwa v42, v42, s34 dst_sel:DWORD dst_unused:UNUSED_PAD src0_sel:WORD_1 src1_sel:DWORD
	v_pk_fma_f16 v44, v37, v40, v44
	v_pk_fma_f16 v45, v37, v41, v45
	v_pk_fma_f16 v46, v37, v43, v46
	v_pk_fma_f16 v47, v37, v42, v35
	v_pk_fma_f16 v32, v38, v40, v32
	v_pk_fma_f16 v33, v38, v41, v33
	v_pk_fma_f16 v43, v38, v43, v39
	v_pk_fma_f16 v58, v38, v42, v36
	ds_read2_b64 v[35:38], v34 offset0:128 offset1:160
	;; [unrolled: 27-line block ×3, first 2 shown]
	ds_read_b128 v[32:35], v23 offset:496
	s_waitcnt lgkmcnt(0)
	s_barrier
	s_load_dword s8, s[0:1], 0x4
	v_mul_u32_u24_sdwa v42, v32, s34 dst_sel:DWORD dst_unused:UNUSED_PAD src0_sel:WORD_0 src1_sel:DWORD
	v_mul_u32_u24_sdwa v32, v32, s34 dst_sel:DWORD dst_unused:UNUSED_PAD src0_sel:WORD_1 src1_sel:DWORD
	v_mul_u32_u24_sdwa v59, v33, s34 dst_sel:DWORD dst_unused:UNUSED_PAD src0_sel:WORD_0 src1_sel:DWORD
	v_mul_u32_u24_sdwa v33, v33, s34 dst_sel:DWORD dst_unused:UNUSED_PAD src0_sel:WORD_1 src1_sel:DWORD
	s_waitcnt lgkmcnt(0)
	s_lshl_b32 s8, s8, 6
	v_pk_fma_f16 v44, v37, v42, v44
	v_pk_fma_f16 v45, v37, v32, v45
	;; [unrolled: 1-line block ×8, first 2 shown]
	v_mul_u32_u24_sdwa v38, v34, s34 dst_sel:DWORD dst_unused:UNUSED_PAD src0_sel:WORD_0 src1_sel:DWORD
	v_mul_u32_u24_sdwa v34, v34, s34 dst_sel:DWORD dst_unused:UNUSED_PAD src0_sel:WORD_1 src1_sel:DWORD
	v_mul_u32_u24_sdwa v58, v35, s34 dst_sel:DWORD dst_unused:UNUSED_PAD src0_sel:WORD_0 src1_sel:DWORD
	v_mul_u32_u24_sdwa v59, v35, s34 dst_sel:DWORD dst_unused:UNUSED_PAD src0_sel:WORD_1 src1_sel:DWORD
	s_add_i32 s6, s8, s6
	v_pk_fma_f16 v35, v39, v38, v44
	v_pk_fma_f16 v33, v39, v34, v45
	;; [unrolled: 1-line block ×8, first 2 shown]
	s_cmp_ge_i32 s6, s28
	s_cbranch_scc1 .LBB72_7
; %bb.45:                               ;   in Loop: Header=BB72_12 Depth=1
	v_mov_b32_e32 v47, v1
	v_mov_b32_e32 v45, v2
	;; [unrolled: 1-line block ×8, first 2 shown]
	s_branch .LBB72_12
.LBB72_46:
	v_mov_b32_e32 v12, v8
	v_mov_b32_e32 v11, v7
	;; [unrolled: 1-line block ×4, first 2 shown]
	v_cmp_gt_i32_e32 vcc, s2, v14
	s_and_saveexec_b64 s[0:1], vcc
	s_cbranch_execz .LBB72_9
.LBB72_47:
	s_load_dword s6, s[4:5], 0xd4
	v_mov_b32_e32 v17, 1.0
	s_waitcnt lgkmcnt(0)
	s_cmp_lg_u32 s6, 1
	s_cselect_b64 s[0:1], -1, 0
	s_cmp_eq_u32 s6, 1
	s_cselect_b64 s[4:5], -1, 0
	s_and_b64 vcc, exec, s[0:1]
	s_cbranch_vccnz .LBB72_49
; %bb.48:
	v_div_scale_f32 v13, s[8:9], v5, v5, 1.0
	v_div_scale_f32 v17, vcc, 1.0, v5, 1.0
	v_rcp_f32_e32 v18, v13
	v_fma_f32 v19, -v13, v18, 1.0
	v_fmac_f32_e32 v18, v19, v18
	v_mul_f32_e32 v19, v17, v18
	v_fma_f32 v20, -v13, v19, v17
	v_fmac_f32_e32 v19, v20, v18
	v_fma_f32 v13, -v13, v19, v17
	v_div_fmas_f32 v13, v13, v18, v19
	v_div_fixup_f32 v17, v13, v5, 1.0
.LBB72_49:
	s_mul_i32 s33, s33, s2
	v_add_u32_e32 v5, s33, v14
	v_mul_lo_u32 v5, v5, s3
	v_cvt_f32_f16_sdwa v14, v35 dst_sel:DWORD dst_unused:UNUSED_PAD src0_sel:WORD_1
	v_cmp_eq_u32_e32 vcc, 0, v0
	v_cvt_f32_f16_e32 v0, v35
	v_add3_u32 v5, s29, v15, v5
	v_mul_lo_u32 v5, s6, v5
	v_cvt_f32_f16_e32 v15, v39
	v_mov_b32_e32 v23, 0
	v_mul_f32_e32 v19, v17, v14
	v_add_u32_e32 v13, s7, v5
	v_lshl_add_u32 v22, v13, 7, v16
	v_cvt_f32_f16_sdwa v5, v39 dst_sel:DWORD dst_unused:UNUSED_PAD src0_sel:WORD_1
	v_mul_f32_e32 v20, v17, v15
	v_lshlrev_b64 v[14:15], 2, v[22:23]
	s_and_b64 s[2:3], vcc, s[0:1]
	v_mul_f32_e32 v18, v17, v0
	v_mov_b32_e32 v0, s21
	v_add_co_u32_e32 v14, vcc, s20, v14
	v_mul_f32_e32 v21, v17, v5
	v_addc_co_u32_e32 v15, vcc, v0, v15, vcc
	global_store_dwordx4 v[14:15], v[18:21], off
	s_and_saveexec_b64 s[0:1], s[2:3]
	s_cbranch_execz .LBB72_51
; %bb.50:
	v_ashrrev_i32_e32 v14, 31, v13
	v_lshlrev_b64 v[14:15], 3, v[13:14]
	v_mov_b32_e32 v0, s23
	v_add_co_u32_e32 v14, vcc, s22, v14
	v_addc_co_u32_e32 v15, vcc, v0, v15, vcc
	v_mov_b32_e32 v0, v1
	v_mov_b32_e32 v1, v9
	global_store_dwordx2 v[14:15], v[0:1], off
.LBB72_51:
	s_or_b64 exec, exec, s[0:1]
	v_cndmask_b32_e64 v0, 0, 1, s[4:5]
	v_cmp_ne_u32_e64 s[0:1], 1, v0
	s_andn2_b64 vcc, exec, s[4:5]
	v_mov_b32_e32 v1, 1.0
	s_cbranch_vccnz .LBB72_53
; %bb.52:
	v_div_scale_f32 v0, s[4:5], v6, v6, 1.0
	v_div_scale_f32 v1, vcc, 1.0, v6, 1.0
	v_rcp_f32_e32 v5, v0
	v_fma_f32 v9, -v0, v5, 1.0
	v_fmac_f32_e32 v5, v9, v5
	v_mul_f32_e32 v9, v1, v5
	v_fma_f32 v14, -v0, v9, v1
	v_fmac_f32_e32 v9, v14, v5
	v_fma_f32 v0, -v0, v9, v1
	v_div_fmas_f32 v0, v0, v5, v9
	v_div_fixup_f32 v1, v0, v6, 1.0
.LBB72_53:
	v_add_u32_e32 v0, s6, v13
	v_cvt_f32_f16_e32 v9, v33
	v_cvt_f32_f16_sdwa v13, v33 dst_sel:DWORD dst_unused:UNUSED_PAD src0_sel:WORD_1
	v_cvt_f32_f16_e32 v14, v38
	v_cvt_f32_f16_sdwa v15, v38 dst_sel:DWORD dst_unused:UNUSED_PAD src0_sel:WORD_1
	v_lshl_add_u32 v5, v0, 7, v16
	v_mov_b32_e32 v6, 0
	v_lshlrev_b64 v[5:6], 2, v[5:6]
	v_mul_f32_e32 v17, v1, v9
	v_mul_f32_e32 v18, v1, v13
	;; [unrolled: 1-line block ×4, first 2 shown]
	v_mov_b32_e32 v1, s21
	v_add_co_u32_e32 v5, vcc, s20, v5
	v_addc_co_u32_e32 v6, vcc, v1, v6, vcc
	global_store_dwordx4 v[5:6], v[17:20], off
	s_and_saveexec_b64 s[4:5], s[2:3]
	s_cbranch_execz .LBB72_55
; %bb.54:
	v_ashrrev_i32_e32 v1, 31, v0
	v_lshlrev_b64 v[5:6], 3, v[0:1]
	v_mov_b32_e32 v1, s23
	v_add_co_u32_e32 v5, vcc, s22, v5
	v_addc_co_u32_e32 v6, vcc, v1, v6, vcc
	v_mov_b32_e32 v9, v2
	global_store_dwordx2 v[5:6], v[9:10], off
.LBB72_55:
	s_or_b64 exec, exec, s[4:5]
	s_and_b64 vcc, exec, s[0:1]
	v_mov_b32_e32 v1, 1.0
	s_cbranch_vccnz .LBB72_57
; %bb.56:
	v_div_scale_f32 v1, s[4:5], v7, v7, 1.0
	v_div_scale_f32 v2, vcc, 1.0, v7, 1.0
	v_rcp_f32_e32 v5, v1
	v_fma_f32 v6, -v1, v5, 1.0
	v_fmac_f32_e32 v5, v6, v5
	v_mul_f32_e32 v6, v2, v5
	v_fma_f32 v9, -v1, v6, v2
	v_fmac_f32_e32 v6, v9, v5
	v_fma_f32 v1, -v1, v6, v2
	v_div_fmas_f32 v1, v1, v5, v6
	v_div_fixup_f32 v1, v1, v7, 1.0
.LBB72_57:
	v_cvt_f32_f16_e32 v2, v32
	v_cvt_f32_f16_sdwa v7, v32 dst_sel:DWORD dst_unused:UNUSED_PAD src0_sel:WORD_1
	v_cvt_f32_f16_e32 v9, v37
	v_cvt_f32_f16_sdwa v10, v37 dst_sel:DWORD dst_unused:UNUSED_PAD src0_sel:WORD_1
	v_add_u32_e32 v0, s6, v0
	v_lshl_add_u32 v5, v0, 7, v16
	v_mov_b32_e32 v6, 0
	v_mul_f32_e32 v17, v1, v2
	v_mul_f32_e32 v18, v1, v7
	;; [unrolled: 1-line block ×4, first 2 shown]
	v_lshlrev_b64 v[1:2], 2, v[5:6]
	v_mov_b32_e32 v5, s21
	v_add_co_u32_e32 v1, vcc, s20, v1
	v_addc_co_u32_e32 v2, vcc, v5, v2, vcc
	global_store_dwordx4 v[1:2], v[17:20], off
	s_and_saveexec_b64 s[4:5], s[2:3]
	s_cbranch_execz .LBB72_59
; %bb.58:
	v_ashrrev_i32_e32 v1, 31, v0
	v_lshlrev_b64 v[1:2], 3, v[0:1]
	v_mov_b32_e32 v5, s23
	v_add_co_u32_e32 v1, vcc, s22, v1
	v_addc_co_u32_e32 v2, vcc, v5, v2, vcc
	v_mov_b32_e32 v10, v3
	global_store_dwordx2 v[1:2], v[10:11], off
.LBB72_59:
	s_or_b64 exec, exec, s[4:5]
	s_and_b64 vcc, exec, s[0:1]
	v_mov_b32_e32 v1, 1.0
	s_cbranch_vccnz .LBB72_61
; %bb.60:
	v_div_scale_f32 v1, s[0:1], v8, v8, 1.0
	v_div_scale_f32 v2, vcc, 1.0, v8, 1.0
	v_rcp_f32_e32 v3, v1
	v_fma_f32 v5, -v1, v3, 1.0
	v_fmac_f32_e32 v3, v5, v3
	v_mul_f32_e32 v5, v2, v3
	v_fma_f32 v6, -v1, v5, v2
	v_fmac_f32_e32 v5, v6, v3
	v_fma_f32 v1, -v1, v5, v2
	v_div_fmas_f32 v1, v1, v3, v5
	v_div_fixup_f32 v1, v1, v8, 1.0
.LBB72_61:
	v_cvt_f32_f16_e32 v5, v36
	v_cvt_f32_f16_sdwa v6, v36 dst_sel:DWORD dst_unused:UNUSED_PAD src0_sel:WORD_1
	v_cvt_f32_f16_e32 v7, v34
	v_cvt_f32_f16_sdwa v8, v34 dst_sel:DWORD dst_unused:UNUSED_PAD src0_sel:WORD_1
	v_add_u32_e32 v0, s6, v0
	v_lshl_add_u32 v2, v0, 7, v16
	v_mov_b32_e32 v3, 0
	v_mul_f32_e32 v5, v1, v5
	v_mul_f32_e32 v6, v1, v6
	;; [unrolled: 1-line block ×4, first 2 shown]
	v_lshlrev_b64 v[1:2], 2, v[2:3]
	v_mov_b32_e32 v3, s21
	v_add_co_u32_e32 v1, vcc, s20, v1
	v_addc_co_u32_e32 v2, vcc, v3, v2, vcc
	global_store_dwordx4 v[1:2], v[5:8], off
	s_and_b64 exec, exec, s[2:3]
	s_cbranch_execz .LBB72_9
; %bb.62:
	v_ashrrev_i32_e32 v1, 31, v0
	v_lshlrev_b64 v[0:1], 3, v[0:1]
	v_mov_b32_e32 v2, s23
	v_add_co_u32_e32 v0, vcc, s22, v0
	v_addc_co_u32_e32 v1, vcc, v2, v1, vcc
	v_mov_b32_e32 v11, v4
	global_store_dwordx2 v[0:1], v[11:12], off
	s_endpgm
	.section	.rodata,"a",@progbits
	.p2align	6, 0x0
	.amdhsa_kernel _ZL15flash_attn_tileILi128ELi128ELi4ELi8ELb1EEvPKcS1_S1_S1_S1_PKiPfP15HIP_vector_typeIfLj2EEffffjfiS5_IjLj3EEiiiiiiiiiiiliiliiiiil
		.amdhsa_group_segment_fixed_size 21504
		.amdhsa_private_segment_fixed_size 0
		.amdhsa_kernarg_size 464
		.amdhsa_user_sgpr_count 6
		.amdhsa_user_sgpr_private_segment_buffer 1
		.amdhsa_user_sgpr_dispatch_ptr 0
		.amdhsa_user_sgpr_queue_ptr 0
		.amdhsa_user_sgpr_kernarg_segment_ptr 1
		.amdhsa_user_sgpr_dispatch_id 0
		.amdhsa_user_sgpr_flat_scratch_init 0
		.amdhsa_user_sgpr_private_segment_size 0
		.amdhsa_uses_dynamic_stack 0
		.amdhsa_system_sgpr_private_segment_wavefront_offset 0
		.amdhsa_system_sgpr_workgroup_id_x 1
		.amdhsa_system_sgpr_workgroup_id_y 1
		.amdhsa_system_sgpr_workgroup_id_z 1
		.amdhsa_system_sgpr_workgroup_info 0
		.amdhsa_system_vgpr_workitem_id 1
		.amdhsa_next_free_vgpr 80
		.amdhsa_next_free_sgpr 98
		.amdhsa_reserve_vcc 1
		.amdhsa_reserve_flat_scratch 0
		.amdhsa_float_round_mode_32 0
		.amdhsa_float_round_mode_16_64 0
		.amdhsa_float_denorm_mode_32 3
		.amdhsa_float_denorm_mode_16_64 3
		.amdhsa_dx10_clamp 1
		.amdhsa_ieee_mode 1
		.amdhsa_fp16_overflow 0
		.amdhsa_exception_fp_ieee_invalid_op 0
		.amdhsa_exception_fp_denorm_src 0
		.amdhsa_exception_fp_ieee_div_zero 0
		.amdhsa_exception_fp_ieee_overflow 0
		.amdhsa_exception_fp_ieee_underflow 0
		.amdhsa_exception_fp_ieee_inexact 0
		.amdhsa_exception_int_div_zero 0
	.end_amdhsa_kernel
	.section	.text._ZL15flash_attn_tileILi128ELi128ELi4ELi8ELb1EEvPKcS1_S1_S1_S1_PKiPfP15HIP_vector_typeIfLj2EEffffjfiS5_IjLj3EEiiiiiiiiiiiliiliiiiil,"axG",@progbits,_ZL15flash_attn_tileILi128ELi128ELi4ELi8ELb1EEvPKcS1_S1_S1_S1_PKiPfP15HIP_vector_typeIfLj2EEffffjfiS5_IjLj3EEiiiiiiiiiiiliiliiiiil,comdat
.Lfunc_end72:
	.size	_ZL15flash_attn_tileILi128ELi128ELi4ELi8ELb1EEvPKcS1_S1_S1_S1_PKiPfP15HIP_vector_typeIfLj2EEffffjfiS5_IjLj3EEiiiiiiiiiiiliiliiiiil, .Lfunc_end72-_ZL15flash_attn_tileILi128ELi128ELi4ELi8ELb1EEvPKcS1_S1_S1_S1_PKiPfP15HIP_vector_typeIfLj2EEffffjfiS5_IjLj3EEiiiiiiiiiiiliiliiiiil
                                        ; -- End function
	.set _ZL15flash_attn_tileILi128ELi128ELi4ELi8ELb1EEvPKcS1_S1_S1_S1_PKiPfP15HIP_vector_typeIfLj2EEffffjfiS5_IjLj3EEiiiiiiiiiiiliiliiiiil.num_vgpr, 80
	.set _ZL15flash_attn_tileILi128ELi128ELi4ELi8ELb1EEvPKcS1_S1_S1_S1_PKiPfP15HIP_vector_typeIfLj2EEffffjfiS5_IjLj3EEiiiiiiiiiiiliiliiiiil.num_agpr, 0
	.set _ZL15flash_attn_tileILi128ELi128ELi4ELi8ELb1EEvPKcS1_S1_S1_S1_PKiPfP15HIP_vector_typeIfLj2EEffffjfiS5_IjLj3EEiiiiiiiiiiiliiliiiiil.numbered_sgpr, 44
	.set _ZL15flash_attn_tileILi128ELi128ELi4ELi8ELb1EEvPKcS1_S1_S1_S1_PKiPfP15HIP_vector_typeIfLj2EEffffjfiS5_IjLj3EEiiiiiiiiiiiliiliiiiil.num_named_barrier, 0
	.set _ZL15flash_attn_tileILi128ELi128ELi4ELi8ELb1EEvPKcS1_S1_S1_S1_PKiPfP15HIP_vector_typeIfLj2EEffffjfiS5_IjLj3EEiiiiiiiiiiiliiliiiiil.private_seg_size, 0
	.set _ZL15flash_attn_tileILi128ELi128ELi4ELi8ELb1EEvPKcS1_S1_S1_S1_PKiPfP15HIP_vector_typeIfLj2EEffffjfiS5_IjLj3EEiiiiiiiiiiiliiliiiiil.uses_vcc, 1
	.set _ZL15flash_attn_tileILi128ELi128ELi4ELi8ELb1EEvPKcS1_S1_S1_S1_PKiPfP15HIP_vector_typeIfLj2EEffffjfiS5_IjLj3EEiiiiiiiiiiiliiliiiiil.uses_flat_scratch, 0
	.set _ZL15flash_attn_tileILi128ELi128ELi4ELi8ELb1EEvPKcS1_S1_S1_S1_PKiPfP15HIP_vector_typeIfLj2EEffffjfiS5_IjLj3EEiiiiiiiiiiiliiliiiiil.has_dyn_sized_stack, 0
	.set _ZL15flash_attn_tileILi128ELi128ELi4ELi8ELb1EEvPKcS1_S1_S1_S1_PKiPfP15HIP_vector_typeIfLj2EEffffjfiS5_IjLj3EEiiiiiiiiiiiliiliiiiil.has_recursion, 0
	.set _ZL15flash_attn_tileILi128ELi128ELi4ELi8ELb1EEvPKcS1_S1_S1_S1_PKiPfP15HIP_vector_typeIfLj2EEffffjfiS5_IjLj3EEiiiiiiiiiiiliiliiiiil.has_indirect_call, 0
	.section	.AMDGPU.csdata,"",@progbits
; Kernel info:
; codeLenInByte = 20036
; TotalNumSgprs: 48
; NumVgprs: 80
; ScratchSize: 0
; MemoryBound: 0
; FloatMode: 240
; IeeeMode: 1
; LDSByteSize: 21504 bytes/workgroup (compile time only)
; SGPRBlocks: 12
; VGPRBlocks: 19
; NumSGPRsForWavesPerEU: 102
; NumVGPRsForWavesPerEU: 80
; Occupancy: 3
; WaveLimiterHint : 1
; COMPUTE_PGM_RSRC2:SCRATCH_EN: 0
; COMPUTE_PGM_RSRC2:USER_SGPR: 6
; COMPUTE_PGM_RSRC2:TRAP_HANDLER: 0
; COMPUTE_PGM_RSRC2:TGID_X_EN: 1
; COMPUTE_PGM_RSRC2:TGID_Y_EN: 1
; COMPUTE_PGM_RSRC2:TGID_Z_EN: 1
; COMPUTE_PGM_RSRC2:TIDIG_COMP_CNT: 1
	.section	.text._ZL15flash_attn_tileILi128ELi128ELi2ELi8ELb1EEvPKcS1_S1_S1_S1_PKiPfP15HIP_vector_typeIfLj2EEffffjfiS5_IjLj3EEiiiiiiiiiiiliiliiiiil,"axG",@progbits,_ZL15flash_attn_tileILi128ELi128ELi2ELi8ELb1EEvPKcS1_S1_S1_S1_PKiPfP15HIP_vector_typeIfLj2EEffffjfiS5_IjLj3EEiiiiiiiiiiiliiliiiiil,comdat
	.globl	_ZL15flash_attn_tileILi128ELi128ELi2ELi8ELb1EEvPKcS1_S1_S1_S1_PKiPfP15HIP_vector_typeIfLj2EEffffjfiS5_IjLj3EEiiiiiiiiiiiliiliiiiil ; -- Begin function _ZL15flash_attn_tileILi128ELi128ELi2ELi8ELb1EEvPKcS1_S1_S1_S1_PKiPfP15HIP_vector_typeIfLj2EEffffjfiS5_IjLj3EEiiiiiiiiiiiliiliiiiil
	.p2align	8
	.type	_ZL15flash_attn_tileILi128ELi128ELi2ELi8ELb1EEvPKcS1_S1_S1_S1_PKiPfP15HIP_vector_typeIfLj2EEffffjfiS5_IjLj3EEiiiiiiiiiiiliiliiiiil,@function
_ZL15flash_attn_tileILi128ELi128ELi2ELi8ELb1EEvPKcS1_S1_S1_S1_PKiPfP15HIP_vector_typeIfLj2EEffffjfiS5_IjLj3EEiiiiiiiiiiiliiliiiiil: ; @_ZL15flash_attn_tileILi128ELi128ELi2ELi8ELb1EEvPKcS1_S1_S1_S1_PKiPfP15HIP_vector_typeIfLj2EEffffjfiS5_IjLj3EEiiiiiiiiiiiliiliiiiil
; %bb.0:
	s_load_dwordx4 s[0:3], s[4:5], 0x5c
	s_load_dwordx2 s[28:29], s[4:5], 0x80
	s_load_dwordx2 s[34:35], s[4:5], 0xb8
	s_mov_b64 s[30:31], 0
	s_waitcnt lgkmcnt(0)
	s_ashr_i32 s9, s3, 31
	s_lshr_b32 s9, s9, 29
	s_add_i32 s9, s3, s9
	s_ashr_i32 s9, s9, 3
	v_cvt_f32_u32_e32 v2, s9
	s_sub_i32 s10, 0, s9
	v_rcp_iflag_f32_e32 v2, v2
	v_mul_f32_e32 v2, 0x4f7ffffe, v2
	v_cvt_u32_f32_e32 v2, v2
	v_readfirstlane_b32 s11, v2
	s_mul_i32 s10, s10, s11
	s_mul_hi_u32 s10, s11, s10
	s_add_i32 s11, s11, s10
	s_mul_hi_u32 s10, s8, s11
	s_mul_i32 s11, s10, s9
	s_sub_i32 s11, s8, s11
	s_add_i32 s12, s10, 1
	s_sub_i32 s13, s11, s9
	s_cmp_ge_u32 s11, s9
	s_cselect_b32 s10, s12, s10
	s_cselect_b32 s11, s13, s11
	s_add_i32 s12, s10, 1
	s_cmp_ge_u32 s11, s9
	s_cselect_b32 s33, s12, s10
	s_abs_i32 s9, s29
	v_cvt_f32_u32_e32 v2, s9
	s_lshl_b32 s8, s8, 3
	s_mul_i32 s12, s33, s3
	s_xor_b32 s10, s3, s29
	v_rcp_iflag_f32_e32 v2, v2
	s_sub_i32 s13, 0, s9
	s_sub_i32 s29, s8, s12
	s_abs_i32 s11, s3
	v_mul_f32_e32 v2, 0x4f7ffffe, v2
	v_cvt_u32_f32_e32 v2, v2
	s_ashr_i32 s10, s10, 31
	v_readfirstlane_b32 s8, v2
	s_mul_i32 s13, s13, s8
	s_mul_hi_u32 s12, s8, s13
	s_add_i32 s8, s8, s12
	s_mul_hi_u32 s8, s11, s8
	s_mul_i32 s12, s8, s9
	s_sub_i32 s11, s11, s12
	s_add_i32 s13, s8, 1
	s_sub_i32 s12, s11, s9
	s_cmp_ge_u32 s11, s9
	s_cselect_b32 s8, s13, s8
	s_cselect_b32 s11, s12, s11
	s_add_i32 s12, s8, 1
	s_cmp_ge_u32 s11, s9
	s_cselect_b32 s8, s12, s8
	s_xor_b32 s8, s8, s10
	s_sub_i32 s37, s8, s10
	s_abs_i32 s36, s37
	v_cvt_f32_u32_e32 v2, s36
	s_load_dwordx16 s[8:23], s[4:5], 0x0
	v_rcp_iflag_f32_e32 v2, v2
	s_waitcnt lgkmcnt(0)
	s_cmp_eq_u64 s[14:15], 0
	v_mul_f32_e32 v2, 0x4f7ffffe, v2
	v_cvt_u32_f32_e32 v2, v2
	v_readfirstlane_b32 s24, v2
	s_cbranch_scc1 .LBB73_2
; %bb.1:
	s_abs_i32 s25, s34
	v_cvt_f32_u32_e32 v2, s25
	s_sub_i32 s34, 0, s25
	s_abs_i32 s31, s33
	s_ashr_i32 s30, s33, 31
	v_rcp_iflag_f32_e32 v2, v2
	s_load_dwordx2 s[26:27], s[4:5], 0xc8
	v_mul_f32_e32 v2, 0x4f7ffffe, v2
	v_cvt_u32_f32_e32 v2, v2
	v_readfirstlane_b32 s38, v2
	s_mul_i32 s34, s34, s38
	s_mul_hi_u32 s34, s38, s34
	s_add_i32 s38, s38, s34
	s_mul_hi_u32 s34, s31, s38
	s_mul_i32 s34, s34, s25
	s_sub_i32 s31, s31, s34
	s_sub_i32 s34, s31, s25
	s_cmp_ge_u32 s31, s25
	s_cselect_b32 s31, s34, s31
	s_sub_i32 s34, s31, s25
	s_cmp_ge_u32 s31, s25
	s_cselect_b32 s25, s34, s31
	s_xor_b32 s25, s25, s30
	s_sub_i32 s25, s25, s30
	s_ashr_i32 s30, s25, 31
	s_waitcnt lgkmcnt(0)
	s_mul_hi_u32 s31, s26, s25
	s_mul_i32 s30, s26, s30
	s_mul_i32 s27, s27, s25
	s_add_i32 s30, s31, s30
	s_add_i32 s27, s30, s27
	s_mul_i32 s25, s26, s25
	s_add_u32 s30, s14, s25
	s_addc_u32 s31, s15, s27
.LBB73_2:
	v_lshrrev_b32_e32 v2, 2, v1
	s_load_dwordx4 s[40:43], s[4:5], 0x70
	v_lshl_add_u32 v21, s6, 1, v2
	v_mul_hi_u32 v2, s0, v21
	v_lshlrev_b32_e32 v12, 4, v0
	v_lshlrev_b32_e32 v24, 3, v0
	s_waitcnt lgkmcnt(0)
	s_mul_i32 s0, s33, s42
	v_add_u32_e32 v2, v21, v2
	s_ashr_i32 s15, s0, 31
	v_lshrrev_b32_e32 v2, s1, v2
	s_mul_i32 s14, s29, s41
	s_add_u32 s0, s8, s0
	v_mul_lo_u32 v2, v2, s2
	s_addc_u32 s8, s9, s15
	s_ashr_i32 s9, s14, 31
	s_add_u32 s25, s0, s14
	s_addc_u32 s14, s8, s9
	s_ashr_i32 s1, s41, 31
	s_mov_b32 s0, s41
	s_ashr_i32 s41, s40, 31
	v_sub_u32_e32 v2, v21, v2
	s_lshr_b64 s[8:9], s[40:41], 2
	v_mad_u64_u32 v[4:5], s[8:9], s8, v2, 0
	s_lshr_b32 s8, s41, 2
	v_mov_b32_e32 v8, s14
	v_mov_b32_e32 v3, v5
	v_mad_u64_u32 v[5:6], s[8:9], s8, v2, v[3:4]
	v_lshlrev_b32_e32 v3, 1, v1
	s_lshr_b64 s[8:9], s[0:1], 2
	v_and_b32_e32 v22, 6, v3
	v_mad_u64_u32 v[6:7], s[14:15], s8, v22, 0
	v_lshlrev_b64 v[4:5], 2, v[4:5]
	s_lshr_b32 s9, s1, 2
	v_add_co_u32_e32 v11, vcc, s25, v4
	v_mov_b32_e32 v4, v7
	v_or_b32_e32 v13, 1, v3
	v_addc_co_u32_e32 v8, vcc, v8, v5, vcc
	v_mad_u64_u32 v[4:5], s[0:1], s9, v22, v[4:5]
	v_and_b32_e32 v14, 7, v13
	v_mad_u64_u32 v[9:10], s[0:1], s8, v14, 0
	v_mov_b32_e32 v7, v4
	v_lshlrev_b64 v[4:5], 2, v[6:7]
	v_mov_b32_e32 v6, v10
	v_add_co_u32_e32 v12, vcc, v11, v12
	v_mad_u64_u32 v[10:11], s[0:1], s9, v14, v[6:7]
	v_addc_co_u32_e32 v15, vcc, 0, v8, vcc
	v_add_co_u32_e32 v4, vcc, v12, v4
	v_lshlrev_b64 v[9:10], 2, v[9:10]
	v_addc_co_u32_e32 v5, vcc, v15, v5, vcc
	v_add_co_u32_e32 v9, vcc, v12, v9
	global_load_dwordx4 v[5:8], v[4:5], off
	v_addc_co_u32_e32 v10, vcc, v15, v10, vcc
	global_load_dwordx4 v[9:12], v[9:10], off
	s_load_dword s0, s[4:5], 0x40
	v_lshlrev_b32_e32 v4, 9, v1
	v_add_u32_e32 v14, 0x4400, v24
	v_add_u32_e32 v15, v14, v4
	s_cmp_eq_u64 s[18:19], 0
	v_lshl_add_u32 v13, v13, 8, v14
	s_waitcnt vmcnt(1) lgkmcnt(0)
	v_fma_mixlo_f16 v5, s0, v5, 0
	v_fma_mixlo_f16 v6, s0, v6, 0
	;; [unrolled: 1-line block ×4, first 2 shown]
	s_waitcnt vmcnt(0)
	v_fma_mixlo_f16 v9, s0, v9, 0
	v_fma_mixlo_f16 v10, s0, v10, 0
	v_lshlrev_b32_e32 v6, 16, v6
	v_and_b32_e32 v5, 0xffff, v5
	v_fma_mixlo_f16 v11, s0, v11, 0
	v_fma_mixlo_f16 v12, s0, v12, 0
	v_lshlrev_b32_e32 v8, 16, v8
	v_and_b32_e32 v7, 0xffff, v7
	v_lshlrev_b32_e32 v10, 16, v10
	v_and_b32_e32 v9, 0xffff, v9
	v_or_b32_e32 v5, v6, v5
	v_lshlrev_b32_e32 v12, 16, v12
	v_and_b32_e32 v11, 0xffff, v11
	v_or3_b32 v6, v8, v7, 0
	v_or_b32_e32 v7, v10, v9
	v_or3_b32 v5, 0, 0, v5
	v_or3_b32 v8, v12, v11, 0
	;; [unrolled: 1-line block ×3, first 2 shown]
	ds_write_b64 v15, v[5:6]
	ds_write_b64 v13, v[7:8]
	s_waitcnt lgkmcnt(0)
	s_barrier
	s_cbranch_scc1 .LBB73_4
; %bb.3:
	s_load_dword s0, s[4:5], 0xd0
	s_mov_b32 s1, 0
	s_waitcnt lgkmcnt(0)
	s_mul_i32 s0, s0, s33
	s_add_i32 s0, s0, s6
	s_lshl_b64 s[0:1], s[0:1], 2
	s_add_u32 s0, s18, s0
	s_addc_u32 s1, s19, s1
	s_load_dword s28, s[0:1], 0x0
.LBB73_4:
	s_lshl_b32 s6, s7, 6
	s_waitcnt lgkmcnt(0)
	s_cmp_lt_i32 s6, s28
	v_mbcnt_lo_u32_b32 v19, -1, 0
	s_cbranch_scc1 .LBB73_10
; %bb.5:
	v_mbcnt_hi_u32_b32 v25, -1, v19
	v_and_b32_e32 v5, 0x60, v25
	v_add_u32_e32 v51, 32, v5
	v_xor_b32_e32 v56, 16, v25
	v_xor_b32_e32 v52, 8, v25
	;; [unrolled: 1-line block ×5, first 2 shown]
	v_lshlrev_b32_e32 v23, 2, v0
	s_cbranch_execz .LBB73_11
; %bb.6:
	v_mov_b32_e32 v43, 0
	v_mov_b32_e32 v50, 0
	;; [unrolled: 1-line block ×8, first 2 shown]
.LBB73_7:
	v_cmp_lt_i32_e32 vcc, v56, v51
	v_cndmask_b32_e32 v1, v25, v56, vcc
	v_lshlrev_b32_e32 v1, 2, v1
	ds_bpermute_b32 v2, v1, v49
	ds_bpermute_b32 v1, v1, v50
	v_cmp_lt_i32_e32 vcc, v52, v51
	v_cndmask_b32_e32 v3, v25, v52, vcc
	v_lshlrev_b32_e32 v3, 2, v3
	s_waitcnt lgkmcnt(1)
	v_add_f32_e32 v2, v49, v2
	s_waitcnt lgkmcnt(0)
	v_add_f32_e32 v1, v50, v1
	ds_bpermute_b32 v4, v3, v2
	ds_bpermute_b32 v3, v3, v1
	v_cmp_lt_i32_e32 vcc, v53, v51
	v_cndmask_b32_e32 v5, v25, v53, vcc
	v_lshlrev_b32_e32 v5, 2, v5
	s_waitcnt lgkmcnt(1)
	v_add_f32_e32 v2, v2, v4
	s_waitcnt lgkmcnt(0)
	v_add_f32_e32 v1, v1, v3
	;; [unrolled: 9-line block ×4, first 2 shown]
	ds_bpermute_b32 v4, v5, v2
	ds_bpermute_b32 v5, v5, v3
	s_cmp_lg_u64 s[16:17], 0
	s_cselect_b64 s[0:1], -1, 0
	s_cmp_eq_u32 s7, 0
	s_cselect_b64 s[8:9], -1, 0
	s_and_b64 s[0:1], s[8:9], s[0:1]
	s_waitcnt lgkmcnt(1)
	v_add_f32_e32 v1, v2, v4
	s_waitcnt lgkmcnt(0)
	v_add_f32_e32 v2, v3, v5
	s_and_b64 vcc, exec, s[0:1]
	s_cbranch_vccz .LBB73_30
; %bb.8:
	v_add_u32_e32 v3, s29, v22
	v_ashrrev_i32_e32 v4, 31, v3
	v_lshlrev_b64 v[3:4], 2, v[3:4]
	v_mov_b32_e32 v5, s17
	v_add_co_u32_e32 v3, vcc, s16, v3
	v_addc_co_u32_e32 v4, vcc, v5, v4, vcc
	global_load_dwordx2 v[3:4], v[3:4], off
	v_max_f32_e32 v5, v19, v19
	v_max_f32_e32 v6, v20, v20
	s_mov_b32 s0, 0x3fb8aa3b
	s_mov_b32 s1, 0xc2ce8ed0
	s_mov_b32 s6, 0x42b17218
	v_mov_b32_e32 v7, 0x7f800000
	s_waitcnt vmcnt(0)
	v_max_f32_e32 v8, v3, v3
	v_max_f32_e32 v9, v4, v4
	;; [unrolled: 1-line block ×4, first 2 shown]
	v_sub_f32_e32 v8, v19, v5
	v_sub_f32_e32 v9, v20, v6
	v_mov_b32_e32 v20, v6
	v_sub_f32_e32 v3, v3, v5
	v_mov_b32_e32 v19, v5
	v_mul_f32_e32 v5, 0x3fb8aa3b, v8
	v_sub_f32_e32 v4, v4, v6
	v_mul_f32_e32 v6, 0x3fb8aa3b, v3
	v_fma_f32 v12, v8, s0, -v5
	v_rndne_f32_e32 v13, v5
	v_mul_f32_e32 v10, 0x3fb8aa3b, v9
	v_fma_f32 v14, v3, s0, -v6
	v_rndne_f32_e32 v15, v6
	v_fmac_f32_e32 v12, 0x32a5705f, v8
	v_sub_f32_e32 v5, v5, v13
	v_mul_f32_e32 v11, 0x3fb8aa3b, v4
	v_fma_f32 v16, v9, s0, -v10
	v_rndne_f32_e32 v17, v10
	v_fmac_f32_e32 v14, 0x32a5705f, v3
	v_sub_f32_e32 v6, v6, v15
	v_add_f32_e32 v5, v5, v12
	v_fma_f32 v18, v4, s0, -v11
	v_rndne_f32_e32 v24, v11
	v_cvt_i32_f32_e32 v13, v13
	v_fmac_f32_e32 v16, 0x32a5705f, v9
	v_sub_f32_e32 v10, v10, v17
	v_add_f32_e32 v6, v6, v14
	v_exp_f32_e32 v5, v5
	v_cvt_i32_f32_e32 v15, v15
	v_fmac_f32_e32 v18, 0x32a5705f, v4
	v_sub_f32_e32 v11, v11, v24
	v_add_f32_e32 v10, v10, v16
	v_exp_f32_e32 v6, v6
	v_cvt_i32_f32_e32 v17, v17
	v_add_f32_e32 v11, v11, v18
	v_exp_f32_e32 v10, v10
	v_cvt_i32_f32_e32 v24, v24
	v_exp_f32_e32 v11, v11
	v_ldexp_f32 v5, v5, v13
	v_cmp_ngt_f32_e32 vcc, s1, v8
	v_ldexp_f32 v6, v6, v15
	v_cndmask_b32_e32 v5, 0, v5, vcc
	v_cmp_ngt_f32_e32 vcc, s1, v3
	v_ldexp_f32 v10, v10, v17
	v_cndmask_b32_e32 v6, 0, v6, vcc
	;; [unrolled: 3-line block ×3, first 2 shown]
	v_cmp_ngt_f32_e32 vcc, s1, v4
	v_cndmask_b32_e32 v11, 0, v11, vcc
	v_cmp_nlt_f32_e32 vcc, s6, v8
	v_cndmask_b32_e32 v5, v7, v5, vcc
	v_cmp_nlt_f32_e32 vcc, s6, v3
	;; [unrolled: 2-line block ×4, first 2 shown]
	v_cndmask_b32_e32 v4, v7, v11, vcc
	v_fmac_f32_e32 v3, v1, v5
	v_cvt_f16_f32_e32 v5, v5
	v_cvt_f16_f32_e32 v7, v6
	v_fmac_f32_e32 v4, v2, v6
	v_mov_b32_e32 v1, v3
	v_mul_u32_u24_e32 v2, 0x10001, v5
	v_mul_u32_u24_e32 v5, 0x10001, v7
	v_pk_mul_f16 v43, v43, v2
	v_pk_mul_f16 v44, v44, v2
	;; [unrolled: 1-line block ×4, first 2 shown]
	v_mov_b32_e32 v2, v4
	v_cmp_gt_i32_e32 vcc, s2, v21
	s_and_saveexec_b64 s[0:1], vcc
	s_cbranch_execnz .LBB73_31
.LBB73_9:
	s_endpgm
.LBB73_10:
                                        ; implicit-def: $vgpr25
                                        ; implicit-def: $vgpr51
                                        ; implicit-def: $vgpr56
                                        ; implicit-def: $vgpr52
                                        ; implicit-def: $vgpr53
                                        ; implicit-def: $vgpr54
                                        ; implicit-def: $vgpr55
	v_lshlrev_b32_e32 v23, 2, v0
.LBB73_11:
	s_sub_i32 s0, 0, s36
	s_mul_i32 s0, s0, s24
	s_mul_hi_u32 s0, s24, s0
	s_abs_i32 s19, s29
	s_add_i32 s24, s24, s0
	s_mul_hi_u32 s34, s19, s24
	s_load_dwordx4 s[24:27], s[4:5], 0x98
	s_load_dword s14, s[4:5], 0x54
	s_load_dwordx2 s[0:1], s[4:5], 0x8c
	s_ashr_i32 s38, s29, 31
	s_ashr_i32 s37, s37, 31
	s_waitcnt lgkmcnt(0)
	s_ashr_i32 s15, s26, 2
	s_ashr_i32 s26, s35, 1
	;; [unrolled: 1-line block ×4, first 2 shown]
	s_mul_hi_u32 s35, s24, s33
	s_mul_i32 s39, s24, s0
	s_add_i32 s35, s35, s39
	s_mul_i32 s25, s25, s33
	s_add_i32 s35, s35, s25
	s_mul_i32 s24, s24, s33
	s_add_u32 s10, s10, s24
	s_mul_i32 s25, s34, s36
	s_addc_u32 s11, s11, s35
	s_sub_i32 s19, s19, s25
	s_xor_b32 s24, s38, s37
	s_add_i32 s25, s34, 1
	s_sub_i32 s35, s19, s36
	s_cmp_ge_u32 s19, s36
	s_cselect_b32 s25, s25, s34
	s_cselect_b32 s19, s35, s19
	s_add_i32 s34, s25, 1
	s_cmp_ge_u32 s19, s36
	s_load_dwordx2 s[8:9], s[4:5], 0xa8
	s_cselect_b32 s19, s34, s25
	s_xor_b32 s19, s19, s24
	s_sub_i32 s19, s19, s24
	s_mul_i32 s1, s19, s1
	s_ashr_i32 s24, s1, 31
	s_add_u32 s10, s10, s1
	s_waitcnt lgkmcnt(0)
	s_mul_hi_u32 s1, s8, s33
	s_mul_i32 s0, s8, s0
	s_addc_u32 s11, s11, s24
	s_add_i32 s0, s1, s0
	s_mul_i32 s1, s9, s33
	s_add_i32 s0, s0, s1
	s_mul_i32 s1, s8, s33
	v_lshrrev_b32_e32 v5, 4, v0
	s_add_u32 s1, s12, s1
	s_mul_i32 s19, s19, s27
	v_add_u32_e32 v14, v5, v3
	s_addc_u32 s0, s13, s0
	s_ashr_i32 s8, s19, 31
	v_mul_lo_u32 v5, s18, v14
	s_add_u32 s12, s1, s19
	v_and_b32_e32 v20, 60, v23
	s_addc_u32 s13, s0, s8
	v_lshlrev_b32_e32 v15, 2, v20
	s_movk_i32 s0, 0x110
	v_mad_u32_u24 v26, v14, s0, v15
	s_lshl_b32 s0, s18, 4
	v_add_u32_e32 v7, s0, v5
	v_mul_lo_u32 v13, s15, v14
	v_add_u32_e32 v9, s0, v7
	v_add_u32_e32 v11, s0, v9
	v_mad_u64_u32 v[2:3], s[0:1], v2, s26, v[0:1]
	s_lshl_b32 s0, s15, 4
	v_lshl_or_b32 v32, v14, 8, v15
	v_add_u32_e32 v15, s0, v13
	v_add_u32_e32 v17, s0, v15
	;; [unrolled: 1-line block ×3, first 2 shown]
	v_ashrrev_i32_e32 v6, 31, v5
	v_ashrrev_i32_e32 v8, 31, v7
	;; [unrolled: 1-line block ×4, first 2 shown]
	v_mov_b32_e32 v3, 0x5400
	v_ashrrev_i32_e32 v14, 31, v13
	v_ashrrev_i32_e32 v16, 31, v15
	;; [unrolled: 1-line block ×4, first 2 shown]
	v_add_u32_e32 v30, 0x4400, v4
	v_lshl_add_u32 v1, v1, 8, v3
	s_add_u32 s0, s4, 0xd0
	v_lshlrev_b64 v[3:4], 2, v[5:6]
	v_lshlrev_b64 v[5:6], 2, v[7:8]
	;; [unrolled: 1-line block ×8, first 2 shown]
	v_mov_b32_e32 v41, 0
	v_add_u32_e32 v27, 0x1100, v26
	v_add_u32_e32 v28, 0x2200, v26
	;; [unrolled: 1-line block ×3, first 2 shown]
	v_mul_u32_u24_e32 v31, 0x110, v0
	v_add_u32_e32 v33, 0x1000, v32
	v_add_u32_e32 v34, 0x2000, v32
	;; [unrolled: 1-line block ×3, first 2 shown]
	s_addc_u32 s1, s5, 0
	v_mov_b32_e32 v48, 0xfeffffff
	v_lshlrev_b32_e32 v36, 2, v20
	s_mov_b32 s19, 0x3f200000
	s_mov_b32 s24, 0x3fb8aa3b
	;; [unrolled: 1-line block ×4, first 2 shown]
	v_mov_b32_e32 v37, 0xbd5c1c4e
	v_mov_b32_e32 v38, 0x3e088382
	;; [unrolled: 1-line block ×3, first 2 shown]
	s_brev_b32 s27, -2
	s_mov_b32 s34, 0x10001
	v_mov_b32_e32 v40, 0x7f800000
	v_mbcnt_hi_u32_b32 v25, -1, v19
	v_mov_b32_e32 v42, 0
	v_mov_b32_e32 v44, 0
	;; [unrolled: 1-line block ×6, first 2 shown]
.LBB73_12:                              ; =>This Inner Loop Header: Depth=1
	s_mul_hi_i32 s9, s6, s18
	s_mul_i32 s8, s6, s18
	s_lshl_b64 s[8:9], s[8:9], 2
	s_add_u32 s8, s10, s8
	s_addc_u32 s9, s11, s9
	v_mov_b32_e32 v19, s9
	v_add_co_u32_e32 v20, vcc, s8, v3
	v_addc_co_u32_e32 v49, vcc, v19, v4, vcc
	v_add_co_u32_e32 v19, vcc, v20, v36
	v_addc_co_u32_e32 v20, vcc, 0, v49, vcc
	v_mov_b32_e32 v49, s9
	v_add_co_u32_e32 v50, vcc, s8, v5
	v_addc_co_u32_e32 v51, vcc, v49, v6, vcc
	v_add_co_u32_e32 v49, vcc, v50, v36
	v_addc_co_u32_e32 v50, vcc, 0, v51, vcc
	global_load_dwordx4 v[52:55], v[19:20], off
	global_load_dwordx4 v[56:59], v[49:50], off
	v_mov_b32_e32 v19, s9
	v_add_co_u32_e32 v20, vcc, s8, v7
	v_addc_co_u32_e32 v49, vcc, v19, v8, vcc
	v_add_co_u32_e32 v19, vcc, v20, v36
	v_addc_co_u32_e32 v20, vcc, 0, v49, vcc
	v_mov_b32_e32 v49, s9
	v_add_co_u32_e32 v50, vcc, s8, v9
	v_addc_co_u32_e32 v51, vcc, v49, v10, vcc
	v_add_co_u32_e32 v49, vcc, v50, v36
	v_addc_co_u32_e32 v50, vcc, 0, v51, vcc
	global_load_dwordx4 v[60:63], v[19:20], off
	global_load_dwordx4 v[64:67], v[49:50], off
	v_mov_b32_e32 v51, 0
	v_mov_b32_e32 v49, 0
	;; [unrolled: 1-line block ×3, first 2 shown]
	s_waitcnt vmcnt(3)
	ds_write_b128 v26, v[52:55]
	s_waitcnt vmcnt(2)
	ds_write_b128 v27, v[56:59]
	;; [unrolled: 2-line block ×4, first 2 shown]
	s_waitcnt lgkmcnt(0)
	s_barrier
	ds_read_b128 v[53:56], v31
	ds_read_b128 v[57:60], v30
	ds_read_b128 v[61:64], v31 offset:8704
	ds_read_b128 v[65:68], v30 offset:256
	s_waitcnt lgkmcnt(2)
	;;#ASMSTART
	v_dot2_f32_f16 v51, v53, v57, v51
	;;#ASMEND
	;;#ASMSTART
	v_dot2_f32_f16 v51, v54, v58, v51
	;;#ASMEND
	;; [unrolled: 3-line block ×4, first 2 shown]
	s_waitcnt lgkmcnt(0)
	;;#ASMSTART
	v_dot2_f32_f16 v49, v53, v65, v49
	;;#ASMEND
	;;#ASMSTART
	v_dot2_f32_f16 v49, v54, v66, v49
	;;#ASMEND
	v_mov_b32_e32 v52, 0
	;;#ASMSTART
	v_dot2_f32_f16 v49, v55, v67, v49
	;;#ASMEND
	;;#ASMSTART
	v_dot2_f32_f16 v49, v56, v68, v49
	;;#ASMEND
	;;#ASMSTART
	v_dot2_f32_f16 v52, v61, v57, v52
	;;#ASMEND
	;;#ASMSTART
	v_dot2_f32_f16 v52, v62, v58, v52
	;;#ASMEND
	;;#ASMSTART
	v_dot2_f32_f16 v52, v63, v59, v52
	;;#ASMEND
	;;#ASMSTART
	v_dot2_f32_f16 v52, v64, v60, v52
	;;#ASMEND
	;;#ASMSTART
	v_dot2_f32_f16 v50, v61, v65, v50
	;;#ASMEND
	;;#ASMSTART
	v_dot2_f32_f16 v50, v62, v66, v50
	;;#ASMEND
	;;#ASMSTART
	v_dot2_f32_f16 v50, v63, v67, v50
	;;#ASMEND
	;;#ASMSTART
	v_dot2_f32_f16 v50, v64, v68, v50
	;;#ASMEND
	ds_read_b128 v[53:56], v30 offset:16
	ds_read_b128 v[57:60], v31 offset:16
	ds_read_b128 v[61:64], v31 offset:8720
	ds_read_b128 v[65:68], v30 offset:272
	s_waitcnt lgkmcnt(2)
	;;#ASMSTART
	v_dot2_f32_f16 v51, v57, v53, v51
	;;#ASMEND
	;;#ASMSTART
	v_dot2_f32_f16 v51, v58, v54, v51
	;;#ASMEND
	;;#ASMSTART
	v_dot2_f32_f16 v51, v59, v55, v51
	;;#ASMEND
	;;#ASMSTART
	v_dot2_f32_f16 v51, v60, v56, v51
	;;#ASMEND
	s_waitcnt lgkmcnt(0)
	;;#ASMSTART
	v_dot2_f32_f16 v49, v57, v65, v49
	;;#ASMEND
	;;#ASMSTART
	v_dot2_f32_f16 v49, v58, v66, v49
	;;#ASMEND
	;;#ASMSTART
	v_dot2_f32_f16 v49, v59, v67, v49
	;;#ASMEND
	;;#ASMSTART
	v_dot2_f32_f16 v49, v60, v68, v49
	;;#ASMEND
	;;#ASMSTART
	v_dot2_f32_f16 v52, v61, v53, v52
	;;#ASMEND
	;;#ASMSTART
	v_dot2_f32_f16 v52, v62, v54, v52
	;;#ASMEND
	;;#ASMSTART
	v_dot2_f32_f16 v52, v63, v55, v52
	;;#ASMEND
	;;#ASMSTART
	v_dot2_f32_f16 v52, v64, v56, v52
	;;#ASMEND
	;;#ASMSTART
	v_dot2_f32_f16 v50, v61, v65, v50
	;;#ASMEND
	;;#ASMSTART
	v_dot2_f32_f16 v50, v62, v66, v50
	;;#ASMEND
	;;#ASMSTART
	v_dot2_f32_f16 v50, v63, v67, v50
	;;#ASMEND
	;;#ASMSTART
	v_dot2_f32_f16 v50, v64, v68, v50
	;;#ASMEND
	ds_read_b128 v[53:56], v30 offset:32
	ds_read_b128 v[57:60], v31 offset:32
	ds_read_b128 v[61:64], v31 offset:8736
	ds_read_b128 v[65:68], v30 offset:288
	s_waitcnt lgkmcnt(2)
	;;#ASMSTART
	v_dot2_f32_f16 v51, v57, v53, v51
	;;#ASMEND
	;;#ASMSTART
	v_dot2_f32_f16 v51, v58, v54, v51
	;;#ASMEND
	;;#ASMSTART
	v_dot2_f32_f16 v51, v59, v55, v51
	;;#ASMEND
	;;#ASMSTART
	v_dot2_f32_f16 v51, v60, v56, v51
	;;#ASMEND
	s_waitcnt lgkmcnt(0)
	;;#ASMSTART
	v_dot2_f32_f16 v49, v57, v65, v49
	;;#ASMEND
	;;#ASMSTART
	v_dot2_f32_f16 v49, v58, v66, v49
	;;#ASMEND
	;; [unrolled: 54-line block ×15, first 2 shown]
	;;#ASMSTART
	v_dot2_f32_f16 v49, v59, v67, v49
	;;#ASMEND
	;;#ASMSTART
	v_dot2_f32_f16 v49, v60, v68, v49
	;;#ASMEND
	;; [unrolled: 3-line block ×9, first 2 shown]
	v_cmp_nlt_f32_e64 s[8:9], |v51|, s19
	;;#ASMSTART
	v_dot2_f32_f16 v50, v64, v68, v50
	;;#ASMEND
                                        ; implicit-def: $vgpr53
	s_and_saveexec_b64 s[36:37], s[8:9]
	s_xor_b64 s[8:9], exec, s[36:37]
	s_cbranch_execz .LBB73_14
; %bb.13:                               ;   in Loop: Header=BB73_12 Depth=1
	v_add_f32_e64 v19, |v51|, |v51|
	v_mul_f32_e32 v20, 0x3fb8aa3b, v19
	v_rndne_f32_e32 v53, v20
	v_sub_f32_e32 v54, v20, v53
	v_fma_f32 v20, v19, s24, -v20
	v_fmac_f32_e32 v20, 0x32a5705f, v19
	v_add_f32_e32 v20, v54, v20
	v_cvt_i32_f32_e32 v53, v53
	v_exp_f32_e32 v20, v20
	v_cmp_ngt_f32_e32 vcc, s25, v19
	v_ldexp_f32 v20, v20, v53
	v_cndmask_b32_e32 v20, 0, v20, vcc
	v_cmp_nlt_f32_e32 vcc, s26, v19
	v_cndmask_b32_e32 v19, v40, v20, vcc
	v_add_f32_e32 v19, 1.0, v19
	v_rcp_f32_e32 v19, v19
	v_fma_f32 v53, v19, -2.0, 1.0
.LBB73_14:                              ;   in Loop: Header=BB73_12 Depth=1
	s_andn2_saveexec_b64 s[8:9], s[8:9]
; %bb.15:                               ;   in Loop: Header=BB73_12 Depth=1
	v_mul_f32_e32 v19, v51, v51
	v_mov_b32_e32 v20, 0x3ca908c9
	v_fmac_f32_e32 v20, 0xbbbac73d, v19
	v_fma_f32 v20, v19, v20, v37
	v_fma_f32 v20, v19, v20, v38
	;; [unrolled: 1-line block ×3, first 2 shown]
	v_mul_f32_e64 v20, |v51|, v20
	v_fma_f32 v53, v19, v20, |v51|
; %bb.16:                               ;   in Loop: Header=BB73_12 Depth=1
	s_or_b64 exec, exec, s[8:9]
	v_add_u32_e32 v19, s6, v2
	v_ashrrev_i32_e32 v20, 31, v19
	v_lshlrev_b64 v[19:20], 1, v[19:20]
	v_mov_b32_e32 v54, s31
	v_add_co_u32_e32 v19, vcc, s30, v19
	v_addc_co_u32_e32 v20, vcc, v54, v20, vcc
	global_load_ushort v57, v[19:20], off
	v_cmp_nlt_f32_e64 s[8:9], |v52|, s19
                                        ; implicit-def: $vgpr54
	s_and_saveexec_b64 s[36:37], s[8:9]
	s_xor_b64 s[8:9], exec, s[36:37]
	s_cbranch_execz .LBB73_18
; %bb.17:                               ;   in Loop: Header=BB73_12 Depth=1
	v_add_f32_e64 v54, |v52|, |v52|
	v_mul_f32_e32 v55, 0x3fb8aa3b, v54
	v_rndne_f32_e32 v56, v55
	v_sub_f32_e32 v58, v55, v56
	v_fma_f32 v55, v54, s24, -v55
	v_fmac_f32_e32 v55, 0x32a5705f, v54
	v_add_f32_e32 v55, v58, v55
	v_cvt_i32_f32_e32 v56, v56
	v_exp_f32_e32 v55, v55
	v_cmp_ngt_f32_e32 vcc, s25, v54
	v_ldexp_f32 v55, v55, v56
	v_cndmask_b32_e32 v55, 0, v55, vcc
	v_cmp_nlt_f32_e32 vcc, s26, v54
	v_cndmask_b32_e32 v54, v40, v55, vcc
	v_add_f32_e32 v54, 1.0, v54
	v_rcp_f32_e32 v54, v54
	v_fma_f32 v54, v54, -2.0, 1.0
.LBB73_18:                              ;   in Loop: Header=BB73_12 Depth=1
	s_andn2_saveexec_b64 s[8:9], s[8:9]
; %bb.19:                               ;   in Loop: Header=BB73_12 Depth=1
	v_mul_f32_e32 v54, v52, v52
	v_mov_b32_e32 v55, 0x3ca908c9
	v_fmac_f32_e32 v55, 0xbbbac73d, v54
	v_fma_f32 v55, v54, v55, v37
	v_fma_f32 v55, v54, v55, v38
	;; [unrolled: 1-line block ×3, first 2 shown]
	v_mul_f32_e64 v55, |v52|, v55
	v_fma_f32 v54, v54, v55, |v52|
; %bb.20:                               ;   in Loop: Header=BB73_12 Depth=1
	s_or_b64 exec, exec, s[8:9]
	global_load_ushort v63, v[19:20], off offset:64
	v_bfi_b32 v19, s27, v53, v51
	s_waitcnt vmcnt(1)
	v_fma_mix_f32 v20, s14, v19, v57 op_sel_hi:[0,0,1]
	v_and_b32_e32 v19, 0x60, v25
	v_add_u32_e32 v51, 32, v19
	v_xor_b32_e32 v56, 16, v25
	v_bfi_b32 v52, s27, v54, v52
	v_cmp_lt_i32_e32 vcc, v56, v51
	v_add_f32_e32 v53, 0x40051340, v20
	v_cndmask_b32_e32 v19, v25, v56, vcc
	v_lshlrev_b32_e32 v19, 2, v19
	v_cmp_nlt_f32_e64 s[8:9], |v49|, s19
                                        ; implicit-def: $vgpr66
	s_waitcnt vmcnt(0)
	v_fma_mix_f32 v58, s14, v52, v63 op_sel_hi:[0,0,1]
	v_add_f32_e32 v52, 0x40051340, v58
	v_max3_f32 v53, v48, v53, v52
	ds_bpermute_b32 v54, v19, v53
	v_xor_b32_e32 v52, 8, v25
	v_cmp_lt_i32_e32 vcc, v52, v51
	v_cndmask_b32_e32 v55, v25, v52, vcc
	v_lshlrev_b32_e32 v62, 2, v55
	s_waitcnt lgkmcnt(0)
	v_max_f32_e32 v54, v54, v54
	v_max_f32_e32 v54, v53, v54
	ds_bpermute_b32 v55, v62, v54
	v_xor_b32_e32 v53, 4, v25
	v_cmp_lt_i32_e32 vcc, v53, v51
	v_cndmask_b32_e32 v59, v25, v53, vcc
	v_lshlrev_b32_e32 v61, 2, v59
	s_waitcnt lgkmcnt(0)
	v_max_f32_e32 v55, v55, v55
	v_max_f32_e32 v55, v54, v55
	;; [unrolled: 8-line block ×4, first 2 shown]
	ds_bpermute_b32 v65, v59, v64
	s_and_saveexec_b64 s[36:37], s[8:9]
	s_xor_b64 s[8:9], exec, s[36:37]
	s_cbranch_execz .LBB73_22
; %bb.21:                               ;   in Loop: Header=BB73_12 Depth=1
	v_add_f32_e64 v66, |v49|, |v49|
	v_mul_f32_e32 v67, 0x3fb8aa3b, v66
	v_rndne_f32_e32 v68, v67
	v_sub_f32_e32 v69, v67, v68
	v_fma_f32 v67, v66, s24, -v67
	v_fmac_f32_e32 v67, 0x32a5705f, v66
	v_add_f32_e32 v67, v69, v67
	v_cvt_i32_f32_e32 v68, v68
	v_exp_f32_e32 v67, v67
	v_cmp_ngt_f32_e32 vcc, s25, v66
	v_ldexp_f32 v67, v67, v68
	v_cndmask_b32_e32 v67, 0, v67, vcc
	v_cmp_nlt_f32_e32 vcc, s26, v66
	v_cndmask_b32_e32 v66, v40, v67, vcc
	v_add_f32_e32 v66, 1.0, v66
	v_rcp_f32_e32 v66, v66
	v_fma_f32 v66, v66, -2.0, 1.0
.LBB73_22:                              ;   in Loop: Header=BB73_12 Depth=1
	s_andn2_saveexec_b64 s[8:9], s[8:9]
; %bb.23:                               ;   in Loop: Header=BB73_12 Depth=1
	v_mul_f32_e32 v66, v49, v49
	v_mov_b32_e32 v67, 0x3ca908c9
	v_fmac_f32_e32 v67, 0xbbbac73d, v66
	v_fma_f32 v67, v66, v67, v37
	v_fma_f32 v67, v66, v67, v38
	v_fma_f32 v67, v66, v67, v39
	v_mul_f32_e64 v67, |v49|, v67
	v_fma_f32 v66, v66, v67, |v49|
; %bb.24:                               ;   in Loop: Header=BB73_12 Depth=1
	s_or_b64 exec, exec, s[8:9]
	v_cmp_nlt_f32_e64 s[8:9], |v50|, s19
                                        ; implicit-def: $vgpr67
	s_and_saveexec_b64 s[36:37], s[8:9]
	s_xor_b64 s[8:9], exec, s[36:37]
	s_cbranch_execz .LBB73_26
; %bb.25:                               ;   in Loop: Header=BB73_12 Depth=1
	v_add_f32_e64 v67, |v50|, |v50|
	v_mul_f32_e32 v68, 0x3fb8aa3b, v67
	v_rndne_f32_e32 v69, v68
	v_sub_f32_e32 v70, v68, v69
	v_fma_f32 v68, v67, s24, -v68
	v_fmac_f32_e32 v68, 0x32a5705f, v67
	v_add_f32_e32 v68, v70, v68
	v_cvt_i32_f32_e32 v69, v69
	v_exp_f32_e32 v68, v68
	v_cmp_ngt_f32_e32 vcc, s25, v67
	v_ldexp_f32 v68, v68, v69
	v_cndmask_b32_e32 v68, 0, v68, vcc
	v_cmp_nlt_f32_e32 vcc, s26, v67
	v_cndmask_b32_e32 v67, v40, v68, vcc
	v_add_f32_e32 v67, 1.0, v67
	v_rcp_f32_e32 v67, v67
	v_fma_f32 v67, v67, -2.0, 1.0
.LBB73_26:                              ;   in Loop: Header=BB73_12 Depth=1
	s_andn2_saveexec_b64 s[8:9], s[8:9]
; %bb.27:                               ;   in Loop: Header=BB73_12 Depth=1
	v_mul_f32_e32 v67, v50, v50
	v_mov_b32_e32 v68, 0x3ca908c9
	v_fmac_f32_e32 v68, 0xbbbac73d, v67
	v_fma_f32 v68, v67, v68, v37
	v_fma_f32 v68, v67, v68, v38
	;; [unrolled: 1-line block ×3, first 2 shown]
	v_mul_f32_e64 v68, |v50|, v68
	v_fma_f32 v67, v67, v68, |v50|
; %bb.28:                               ;   in Loop: Header=BB73_12 Depth=1
	s_or_b64 exec, exec, s[8:9]
	v_cvt_f32_f16_e32 v73, v57
	v_cvt_f32_f16_e32 v74, v63
	v_bfi_b32 v49, s27, v66, v49
	v_bfi_b32 v50, s27, v67, v50
	v_fmac_f32_e32 v73, s14, v49
	v_fmac_f32_e32 v74, s14, v50
	v_add_f32_e32 v49, 0x40051340, v73
	v_add_f32_e32 v50, 0x40051340, v74
	v_max3_f32 v49, v46, v49, v50
	ds_bpermute_b32 v19, v19, v49
	s_waitcnt lgkmcnt(1)
	v_max_f32_e32 v50, v65, v65
	s_mul_hi_i32 s9, s6, s15
	s_mul_i32 s8, s6, s15
	s_lshl_b64 s[8:9], s[8:9], 2
	s_waitcnt lgkmcnt(0)
	v_max_f32_e32 v19, v19, v19
	v_max_f32_e32 v49, v49, v19
	ds_bpermute_b32 v57, v62, v49
	v_max_f32_e32 v19, v64, v64
	v_max_f32_e32 v19, v19, v50
	v_sub_f32_e32 v50, v20, v19
	v_sub_f32_e32 v76, v58, v19
	s_waitcnt lgkmcnt(0)
	v_max_f32_e32 v20, v57, v57
	v_max_f32_e32 v20, v49, v20
	ds_bpermute_b32 v49, v61, v20
	v_mul_f32_e32 v57, 0x3fb8aa3b, v50
	v_fma_f32 v61, v50, s24, -v57
	v_rndne_f32_e32 v62, v57
	v_fmac_f32_e32 v61, 0x32a5705f, v50
	s_waitcnt lgkmcnt(0)
	v_max_f32_e32 v49, v49, v49
	v_max_f32_e32 v20, v20, v49
	ds_bpermute_b32 v49, v60, v20
	v_sub_f32_e32 v57, v57, v62
	v_add_f32_e32 v57, v57, v61
	v_cvt_i32_f32_e32 v60, v62
	v_exp_f32_e32 v57, v57
	s_waitcnt lgkmcnt(0)
	v_max_f32_e32 v49, v49, v49
	v_max_f32_e32 v20, v20, v49
	ds_bpermute_b32 v49, v59, v20
	v_sub_f32_e32 v75, v48, v19
	v_ldexp_f32 v48, v57, v60
	v_cmp_ngt_f32_e32 vcc, s25, v50
	s_add_u32 s8, s12, s8
	s_waitcnt lgkmcnt(0)
	v_max_f32_e32 v49, v49, v49
	v_max_f32_e32 v20, v20, v49
	v_mul_f32_e32 v49, 0x3fb8aa3b, v76
	v_fma_f32 v57, v76, s24, -v49
	v_rndne_f32_e32 v58, v49
	v_fmac_f32_e32 v57, 0x32a5705f, v76
	v_sub_f32_e32 v49, v49, v58
	v_add_f32_e32 v49, v49, v57
	v_exp_f32_e32 v49, v49
	v_cvt_i32_f32_e32 v57, v58
	v_cndmask_b32_e32 v48, 0, v48, vcc
	v_cmp_nlt_f32_e32 vcc, s26, v50
	s_addc_u32 s9, s13, s9
	v_cndmask_b32_e32 v50, v40, v48, vcc
	v_ldexp_f32 v78, v49, v57
	v_mov_b32_e32 v48, s9
	v_add_co_u32_e32 v49, vcc, s8, v11
	v_addc_co_u32_e32 v57, vcc, v48, v12, vcc
	v_add_co_u32_e32 v48, vcc, v49, v36
	v_addc_co_u32_e32 v49, vcc, 0, v57, vcc
	v_mov_b32_e32 v57, s9
	v_add_co_u32_e32 v58, vcc, s8, v13
	v_addc_co_u32_e32 v57, vcc, v57, v14, vcc
	v_add_co_u32_e32 v61, vcc, v58, v36
	v_addc_co_u32_e32 v62, vcc, 0, v57, vcc
	;; [unrolled: 5-line block ×4, first 2 shown]
	s_barrier
	global_load_dwordx4 v[57:60], v[48:49], off
	s_nop 0
	global_load_dwordx4 v[61:64], v[61:62], off
	s_nop 0
	;; [unrolled: 2-line block ×3, first 2 shown]
	global_load_dwordx4 v[69:72], v[69:70], off
	v_cmp_ngt_f32_e32 vcc, s25, v76
	v_mul_f32_e32 v49, 0x3fb8aa3b, v75
	v_cndmask_b32_e32 v48, 0, v78, vcc
	v_fma_f32 v78, v75, s24, -v49
	v_rndne_f32_e32 v79, v49
	v_fmac_f32_e32 v78, 0x32a5705f, v75
	v_sub_f32_e32 v49, v49, v79
	v_add_f32_e32 v49, v49, v78
	v_exp_f32_e32 v78, v49
	v_cvt_i32_f32_e32 v79, v79
	v_cmp_nlt_f32_e32 vcc, s26, v76
	v_cndmask_b32_e32 v48, v40, v48, vcc
	v_cvt_f16_f32_e32 v77, v50
	v_add_f32_e32 v49, v50, v48
	v_ldexp_f32 v50, v78, v79
	v_cmp_ngt_f32_e32 vcc, s25, v75
	v_cndmask_b32_e32 v50, 0, v50, vcc
	v_cmp_nlt_f32_e32 vcc, s26, v75
	v_cndmask_b32_e32 v50, v40, v50, vcc
	v_fmac_f32_e32 v49, v47, v50
	v_cvt_f16_f32_e32 v47, v50
	v_sub_f32_e32 v50, v73, v20
	v_mul_f32_e32 v73, 0x3fb8aa3b, v50
	v_fma_f32 v75, v50, s24, -v73
	v_rndne_f32_e32 v76, v73
	v_fmac_f32_e32 v75, 0x32a5705f, v50
	v_sub_f32_e32 v73, v73, v76
	v_add_f32_e32 v73, v73, v75
	v_exp_f32_e32 v73, v73
	v_cvt_i32_f32_e32 v75, v76
	v_mul_u32_u24_e32 v76, 0x10001, v47
	v_sub_f32_e32 v47, v74, v20
	v_pk_mul_f16 v78, v44, v76
	v_sub_f32_e32 v44, v46, v20
	v_ldexp_f32 v46, v73, v75
	v_mul_f32_e32 v73, 0x3fb8aa3b, v47
	v_fma_f32 v74, v47, s24, -v73
	v_rndne_f32_e32 v75, v73
	v_fmac_f32_e32 v74, 0x32a5705f, v47
	v_sub_f32_e32 v73, v73, v75
	v_add_f32_e32 v73, v73, v74
	v_exp_f32_e32 v73, v73
	v_cvt_i32_f32_e32 v74, v75
	v_cmp_ngt_f32_e32 vcc, s25, v50
	v_cndmask_b32_e32 v46, 0, v46, vcc
	v_cmp_nlt_f32_e32 vcc, s26, v50
	v_ldexp_f32 v50, v73, v74
	v_mul_f32_e32 v73, 0x3fb8aa3b, v44
	v_fma_f32 v74, v44, s24, -v73
	v_rndne_f32_e32 v79, v73
	v_fmac_f32_e32 v74, 0x32a5705f, v44
	v_sub_f32_e32 v73, v73, v79
	v_add_f32_e32 v73, v73, v74
	v_exp_f32_e32 v73, v73
	v_cvt_i32_f32_e32 v74, v79
	v_cndmask_b32_e32 v46, v40, v46, vcc
	v_cmp_ngt_f32_e32 vcc, s25, v47
	v_cndmask_b32_e32 v50, 0, v50, vcc
	v_cmp_nlt_f32_e32 vcc, s26, v47
	v_cndmask_b32_e32 v47, v40, v50, vcc
	v_ldexp_f32 v50, v73, v74
	v_cmp_ngt_f32_e32 vcc, s25, v44
	v_cndmask_b32_e32 v50, 0, v50, vcc
	v_cmp_nlt_f32_e32 vcc, s26, v44
	v_cvt_f16_f32_e32 v48, v48
	v_cvt_f16_f32_e32 v75, v46
	v_cndmask_b32_e32 v44, v40, v50, vcc
	v_add_f32_e32 v50, v46, v47
	v_cvt_f16_f32_e32 v46, v47
	v_cvt_f16_f32_e32 v73, v44
	v_fmac_f32_e32 v50, v45, v44
	v_add_u32_e32 v44, v1, v23
	v_pack_b32_f16 v45, v77, v75
	v_pack_b32_f16 v46, v48, v46
	ds_write2_b32 v44, v45, v46 offset1:32
	s_waitcnt vmcnt(3)
	ds_write_b128 v32, v[57:60]
	s_waitcnt vmcnt(2)
	ds_write_b128 v33, v[61:64]
	;; [unrolled: 2-line block ×4, first 2 shown]
	s_waitcnt lgkmcnt(0)
	s_barrier
	ds_read_b128 v[44:47], v1
	ds_read2_b64 v[57:60], v24 offset1:32
	ds_read_b128 v[61:64], v1 offset:16
	ds_read_b128 v[65:68], v1 offset:32
	;; [unrolled: 1-line block ×3, first 2 shown]
	v_mul_u32_u24_e32 v73, 0x10001, v73
	s_waitcnt lgkmcnt(4)
	v_mul_u32_u24_sdwa v48, v44, s34 dst_sel:DWORD dst_unused:UNUSED_PAD src0_sel:WORD_0 src1_sel:DWORD
	v_mul_u32_u24_sdwa v44, v44, s34 dst_sel:DWORD dst_unused:UNUSED_PAD src0_sel:WORD_1 src1_sel:DWORD
	v_pk_mul_f16 v41, v41, v73
	s_waitcnt lgkmcnt(3)
	v_pk_mul_f16 v74, v57, v48
	v_pk_mul_f16 v57, v57, v44
	v_pk_fma_f16 v43, v43, v76, v74
	v_pk_fma_f16 v42, v42, v73, v57
	;; [unrolled: 1-line block ×4, first 2 shown]
	v_mul_u32_u24_sdwa v58, v45, s34 dst_sel:DWORD dst_unused:UNUSED_PAD src0_sel:WORD_0 src1_sel:DWORD
	v_mul_u32_u24_sdwa v45, v45, s34 dst_sel:DWORD dst_unused:UNUSED_PAD src0_sel:WORD_1 src1_sel:DWORD
	v_pk_fma_f16 v73, v59, v58, v43
	v_pk_fma_f16 v59, v59, v45, v42
	ds_read2_b64 v[41:44], v24 offset0:64 offset1:96
	v_pk_fma_f16 v48, v60, v58, v48
	v_pk_fma_f16 v45, v60, v45, v57
	v_mul_u32_u24_sdwa v57, v46, s34 dst_sel:DWORD dst_unused:UNUSED_PAD src0_sel:WORD_0 src1_sel:DWORD
	v_mul_u32_u24_sdwa v46, v46, s34 dst_sel:DWORD dst_unused:UNUSED_PAD src0_sel:WORD_1 src1_sel:DWORD
	s_waitcnt lgkmcnt(0)
	v_pk_fma_f16 v58, v41, v57, v73
	v_pk_fma_f16 v41, v41, v46, v59
	;; [unrolled: 1-line block ×4, first 2 shown]
	v_mul_u32_u24_sdwa v59, v47, s34 dst_sel:DWORD dst_unused:UNUSED_PAD src0_sel:WORD_0 src1_sel:DWORD
	v_mul_u32_u24_sdwa v60, v47, s34 dst_sel:DWORD dst_unused:UNUSED_PAD src0_sel:WORD_1 src1_sel:DWORD
	ds_read2_b64 v[45:48], v24 offset0:128 offset1:160
	v_pk_fma_f16 v58, v43, v59, v58
	v_pk_fma_f16 v41, v43, v60, v41
	;; [unrolled: 1-line block ×4, first 2 shown]
	v_mul_u32_u24_sdwa v44, v61, s34 dst_sel:DWORD dst_unused:UNUSED_PAD src0_sel:WORD_0 src1_sel:DWORD
	v_mul_u32_u24_sdwa v57, v61, s34 dst_sel:DWORD dst_unused:UNUSED_PAD src0_sel:WORD_1 src1_sel:DWORD
	s_waitcnt lgkmcnt(0)
	v_pk_fma_f16 v58, v45, v44, v58
	v_pk_fma_f16 v41, v45, v57, v41
	;; [unrolled: 1-line block ×4, first 2 shown]
	v_mul_u32_u24_sdwa v57, v62, s34 dst_sel:DWORD dst_unused:UNUSED_PAD src0_sel:WORD_0 src1_sel:DWORD
	v_mul_u32_u24_sdwa v59, v62, s34 dst_sel:DWORD dst_unused:UNUSED_PAD src0_sel:WORD_1 src1_sel:DWORD
	v_pk_fma_f16 v58, v47, v57, v58
	v_pk_fma_f16 v47, v47, v59, v41
	ds_read2_b64 v[41:44], v24 offset0:192 offset1:224
	v_pk_fma_f16 v45, v48, v57, v45
	v_pk_fma_f16 v46, v48, v59, v46
	v_mul_u32_u24_sdwa v48, v63, s34 dst_sel:DWORD dst_unused:UNUSED_PAD src0_sel:WORD_0 src1_sel:DWORD
	v_mul_u32_u24_sdwa v57, v63, s34 dst_sel:DWORD dst_unused:UNUSED_PAD src0_sel:WORD_1 src1_sel:DWORD
	v_add_u32_e32 v61, 0x800, v24
	s_waitcnt lgkmcnt(0)
	v_pk_fma_f16 v58, v41, v48, v58
	v_pk_fma_f16 v41, v41, v57, v47
	;; [unrolled: 1-line block ×4, first 2 shown]
	ds_read2_b64 v[45:48], v61 offset1:32
	v_mul_u32_u24_sdwa v57, v64, s34 dst_sel:DWORD dst_unused:UNUSED_PAD src0_sel:WORD_0 src1_sel:DWORD
	v_mul_u32_u24_sdwa v60, v64, s34 dst_sel:DWORD dst_unused:UNUSED_PAD src0_sel:WORD_1 src1_sel:DWORD
	v_pk_fma_f16 v58, v43, v57, v58
	v_pk_fma_f16 v41, v43, v60, v41
	v_pk_fma_f16 v43, v44, v57, v59
	v_pk_fma_f16 v42, v44, v60, v42
	v_mul_u32_u24_sdwa v44, v65, s34 dst_sel:DWORD dst_unused:UNUSED_PAD src0_sel:WORD_0 src1_sel:DWORD
	v_mul_u32_u24_sdwa v57, v65, s34 dst_sel:DWORD dst_unused:UNUSED_PAD src0_sel:WORD_1 src1_sel:DWORD
	s_waitcnt lgkmcnt(0)
	v_pk_fma_f16 v58, v45, v44, v58
	v_pk_fma_f16 v41, v45, v57, v41
	;; [unrolled: 1-line block ×4, first 2 shown]
	v_mul_u32_u24_sdwa v57, v66, s34 dst_sel:DWORD dst_unused:UNUSED_PAD src0_sel:WORD_0 src1_sel:DWORD
	v_mul_u32_u24_sdwa v59, v66, s34 dst_sel:DWORD dst_unused:UNUSED_PAD src0_sel:WORD_1 src1_sel:DWORD
	v_pk_fma_f16 v58, v47, v57, v58
	v_pk_fma_f16 v47, v47, v59, v41
	ds_read2_b64 v[41:44], v61 offset0:64 offset1:96
	v_pk_fma_f16 v45, v48, v57, v45
	v_pk_fma_f16 v46, v48, v59, v46
	v_mul_u32_u24_sdwa v48, v67, s34 dst_sel:DWORD dst_unused:UNUSED_PAD src0_sel:WORD_0 src1_sel:DWORD
	v_mul_u32_u24_sdwa v57, v67, s34 dst_sel:DWORD dst_unused:UNUSED_PAD src0_sel:WORD_1 src1_sel:DWORD
	s_waitcnt lgkmcnt(0)
	v_pk_fma_f16 v58, v41, v48, v58
	v_pk_fma_f16 v41, v41, v57, v47
	;; [unrolled: 1-line block ×4, first 2 shown]
	ds_read2_b64 v[45:48], v61 offset0:128 offset1:160
	v_mul_u32_u24_sdwa v57, v68, s34 dst_sel:DWORD dst_unused:UNUSED_PAD src0_sel:WORD_0 src1_sel:DWORD
	v_mul_u32_u24_sdwa v60, v68, s34 dst_sel:DWORD dst_unused:UNUSED_PAD src0_sel:WORD_1 src1_sel:DWORD
	v_pk_fma_f16 v58, v43, v57, v58
	v_pk_fma_f16 v41, v43, v60, v41
	;; [unrolled: 1-line block ×4, first 2 shown]
	v_mul_u32_u24_sdwa v44, v69, s34 dst_sel:DWORD dst_unused:UNUSED_PAD src0_sel:WORD_0 src1_sel:DWORD
	v_mul_u32_u24_sdwa v57, v69, s34 dst_sel:DWORD dst_unused:UNUSED_PAD src0_sel:WORD_1 src1_sel:DWORD
	s_waitcnt lgkmcnt(0)
	v_pk_fma_f16 v58, v45, v44, v58
	v_pk_fma_f16 v41, v45, v57, v41
	;; [unrolled: 1-line block ×4, first 2 shown]
	v_mul_u32_u24_sdwa v57, v70, s34 dst_sel:DWORD dst_unused:UNUSED_PAD src0_sel:WORD_0 src1_sel:DWORD
	v_mul_u32_u24_sdwa v59, v70, s34 dst_sel:DWORD dst_unused:UNUSED_PAD src0_sel:WORD_1 src1_sel:DWORD
	v_pk_fma_f16 v58, v47, v57, v58
	v_pk_fma_f16 v47, v47, v59, v41
	ds_read2_b64 v[41:44], v61 offset0:192 offset1:224
	v_pk_fma_f16 v45, v48, v57, v45
	v_pk_fma_f16 v46, v48, v59, v46
	v_mul_u32_u24_sdwa v48, v71, s34 dst_sel:DWORD dst_unused:UNUSED_PAD src0_sel:WORD_0 src1_sel:DWORD
	v_mul_u32_u24_sdwa v57, v71, s34 dst_sel:DWORD dst_unused:UNUSED_PAD src0_sel:WORD_1 src1_sel:DWORD
	s_waitcnt lgkmcnt(0)
	v_pk_fma_f16 v58, v41, v48, v58
	v_pk_fma_f16 v45, v42, v48, v45
	;; [unrolled: 1-line block ×3, first 2 shown]
	v_mul_u32_u24_sdwa v46, v72, s34 dst_sel:DWORD dst_unused:UNUSED_PAD src0_sel:WORD_0 src1_sel:DWORD
	v_pk_fma_f16 v41, v41, v57, v47
	v_pk_fma_f16 v62, v43, v46, v58
	;; [unrolled: 1-line block ×3, first 2 shown]
	ds_read_b128 v[45:48], v1 offset:64
	v_add_u32_e32 v65, 0x1000, v24
	ds_read2_b64 v[57:60], v65 offset1:32
	v_mul_u32_u24_sdwa v61, v72, s34 dst_sel:DWORD dst_unused:UNUSED_PAD src0_sel:WORD_1 src1_sel:DWORD
	v_pk_fma_f16 v63, v43, v61, v41
	v_pk_fma_f16 v61, v44, v61, v42
	ds_read_b128 v[41:44], v1 offset:80
	s_waitcnt lgkmcnt(2)
	v_mul_u32_u24_sdwa v66, v45, s34 dst_sel:DWORD dst_unused:UNUSED_PAD src0_sel:WORD_0 src1_sel:DWORD
	v_mul_u32_u24_sdwa v45, v45, s34 dst_sel:DWORD dst_unused:UNUSED_PAD src0_sel:WORD_1 src1_sel:DWORD
	s_waitcnt lgkmcnt(1)
	v_pk_fma_f16 v62, v57, v66, v62
	v_pk_fma_f16 v57, v57, v45, v63
	;; [unrolled: 1-line block ×4, first 2 shown]
	v_mul_u32_u24_sdwa v58, v46, s34 dst_sel:DWORD dst_unused:UNUSED_PAD src0_sel:WORD_0 src1_sel:DWORD
	v_pk_fma_f16 v67, v59, v58, v62
	ds_read2_b64 v[61:64], v65 offset0:64 offset1:96
	v_mul_u32_u24_sdwa v46, v46, s34 dst_sel:DWORD dst_unused:UNUSED_PAD src0_sel:WORD_1 src1_sel:DWORD
	v_pk_fma_f16 v57, v59, v46, v57
	v_pk_fma_f16 v58, v60, v58, v66
	;; [unrolled: 1-line block ×3, first 2 shown]
	v_mul_u32_u24_sdwa v46, v47, s34 dst_sel:DWORD dst_unused:UNUSED_PAD src0_sel:WORD_0 src1_sel:DWORD
	v_mul_u32_u24_sdwa v47, v47, s34 dst_sel:DWORD dst_unused:UNUSED_PAD src0_sel:WORD_1 src1_sel:DWORD
	s_waitcnt lgkmcnt(0)
	v_pk_fma_f16 v59, v61, v46, v67
	v_pk_fma_f16 v57, v61, v47, v57
	v_pk_fma_f16 v58, v62, v46, v58
	v_pk_fma_f16 v60, v62, v47, v45
	v_mul_u32_u24_sdwa v61, v48, s34 dst_sel:DWORD dst_unused:UNUSED_PAD src0_sel:WORD_0 src1_sel:DWORD
	v_mul_u32_u24_sdwa v62, v48, s34 dst_sel:DWORD dst_unused:UNUSED_PAD src0_sel:WORD_1 src1_sel:DWORD
	ds_read2_b64 v[45:48], v65 offset0:128 offset1:160
	v_pk_fma_f16 v59, v63, v61, v59
	v_pk_fma_f16 v57, v63, v62, v57
	;; [unrolled: 1-line block ×4, first 2 shown]
	v_mul_u32_u24_sdwa v61, v41, s34 dst_sel:DWORD dst_unused:UNUSED_PAD src0_sel:WORD_0 src1_sel:DWORD
	v_mul_u32_u24_sdwa v41, v41, s34 dst_sel:DWORD dst_unused:UNUSED_PAD src0_sel:WORD_1 src1_sel:DWORD
	s_waitcnt lgkmcnt(0)
	v_pk_fma_f16 v59, v45, v61, v59
	v_pk_fma_f16 v45, v45, v41, v57
	;; [unrolled: 1-line block ×4, first 2 shown]
	v_mul_u32_u24_sdwa v46, v42, s34 dst_sel:DWORD dst_unused:UNUSED_PAD src0_sel:WORD_0 src1_sel:DWORD
	v_pk_fma_f16 v62, v47, v46, v59
	ds_read2_b64 v[57:60], v65 offset0:192 offset1:224
	v_mul_u32_u24_sdwa v42, v42, s34 dst_sel:DWORD dst_unused:UNUSED_PAD src0_sel:WORD_1 src1_sel:DWORD
	v_pk_fma_f16 v45, v47, v42, v45
	v_pk_fma_f16 v46, v48, v46, v61
	;; [unrolled: 1-line block ×3, first 2 shown]
	v_mul_u32_u24_sdwa v42, v43, s34 dst_sel:DWORD dst_unused:UNUSED_PAD src0_sel:WORD_0 src1_sel:DWORD
	v_mul_u32_u24_sdwa v43, v43, s34 dst_sel:DWORD dst_unused:UNUSED_PAD src0_sel:WORD_1 src1_sel:DWORD
	s_waitcnt lgkmcnt(0)
	v_pk_fma_f16 v47, v57, v42, v62
	v_pk_fma_f16 v45, v57, v43, v45
	;; [unrolled: 1-line block ×4, first 2 shown]
	v_mul_u32_u24_sdwa v41, v44, s34 dst_sel:DWORD dst_unused:UNUSED_PAD src0_sel:WORD_0 src1_sel:DWORD
	v_mul_u32_u24_sdwa v58, v44, s34 dst_sel:DWORD dst_unused:UNUSED_PAD src0_sel:WORD_1 src1_sel:DWORD
	v_pk_fma_f16 v61, v59, v41, v47
	v_pk_fma_f16 v63, v60, v41, v42
	ds_read_b128 v[41:44], v1 offset:96
	v_add_u32_e32 v65, 0x1800, v24
	v_pk_fma_f16 v62, v59, v58, v45
	ds_read2_b64 v[45:48], v65 offset1:32
	v_pk_fma_f16 v64, v60, v58, v57
	ds_read_b128 v[57:60], v1 offset:112
	s_waitcnt lgkmcnt(2)
	v_mul_u32_u24_sdwa v66, v41, s34 dst_sel:DWORD dst_unused:UNUSED_PAD src0_sel:WORD_0 src1_sel:DWORD
	v_mul_u32_u24_sdwa v41, v41, s34 dst_sel:DWORD dst_unused:UNUSED_PAD src0_sel:WORD_1 src1_sel:DWORD
	s_waitcnt lgkmcnt(1)
	v_pk_fma_f16 v61, v45, v66, v61
	v_pk_fma_f16 v45, v45, v41, v62
	v_pk_fma_f16 v66, v46, v66, v63
	v_pk_fma_f16 v41, v46, v41, v64
	v_mul_u32_u24_sdwa v46, v42, s34 dst_sel:DWORD dst_unused:UNUSED_PAD src0_sel:WORD_0 src1_sel:DWORD
	v_pk_fma_f16 v67, v47, v46, v61
	ds_read2_b64 v[61:64], v65 offset0:64 offset1:96
	v_mul_u32_u24_sdwa v42, v42, s34 dst_sel:DWORD dst_unused:UNUSED_PAD src0_sel:WORD_1 src1_sel:DWORD
	v_pk_fma_f16 v45, v47, v42, v45
	v_pk_fma_f16 v46, v48, v46, v66
	v_pk_fma_f16 v41, v48, v42, v41
	v_mul_u32_u24_sdwa v42, v43, s34 dst_sel:DWORD dst_unused:UNUSED_PAD src0_sel:WORD_0 src1_sel:DWORD
	v_mul_u32_u24_sdwa v43, v43, s34 dst_sel:DWORD dst_unused:UNUSED_PAD src0_sel:WORD_1 src1_sel:DWORD
	s_waitcnt lgkmcnt(0)
	v_pk_fma_f16 v47, v61, v42, v67
	v_pk_fma_f16 v45, v61, v43, v45
	v_pk_fma_f16 v46, v62, v42, v46
	v_pk_fma_f16 v48, v62, v43, v41
	v_mul_u32_u24_sdwa v61, v44, s34 dst_sel:DWORD dst_unused:UNUSED_PAD src0_sel:WORD_0 src1_sel:DWORD
	v_mul_u32_u24_sdwa v62, v44, s34 dst_sel:DWORD dst_unused:UNUSED_PAD src0_sel:WORD_1 src1_sel:DWORD
	ds_read2_b64 v[41:44], v65 offset0:128 offset1:160
	v_pk_fma_f16 v47, v63, v61, v47
	v_pk_fma_f16 v45, v63, v62, v45
	v_pk_fma_f16 v46, v64, v61, v46
	v_pk_fma_f16 v48, v64, v62, v48
	v_mul_u32_u24_sdwa v61, v57, s34 dst_sel:DWORD dst_unused:UNUSED_PAD src0_sel:WORD_0 src1_sel:DWORD
	v_mul_u32_u24_sdwa v57, v57, s34 dst_sel:DWORD dst_unused:UNUSED_PAD src0_sel:WORD_1 src1_sel:DWORD
	s_waitcnt lgkmcnt(0)
	v_pk_fma_f16 v47, v41, v61, v47
	v_pk_fma_f16 v41, v41, v57, v45
	v_pk_fma_f16 v61, v42, v61, v46
	v_pk_fma_f16 v42, v42, v57, v48
	v_mul_u32_u24_sdwa v57, v58, s34 dst_sel:DWORD dst_unused:UNUSED_PAD src0_sel:WORD_0 src1_sel:DWORD
	v_pk_fma_f16 v62, v43, v57, v47
	ds_read2_b64 v[45:48], v65 offset0:192 offset1:224
	v_mul_u32_u24_sdwa v58, v58, s34 dst_sel:DWORD dst_unused:UNUSED_PAD src0_sel:WORD_1 src1_sel:DWORD
	v_pk_fma_f16 v41, v43, v58, v41
	v_pk_fma_f16 v43, v44, v57, v61
	v_pk_fma_f16 v42, v44, v58, v42
	v_mul_u32_u24_sdwa v44, v59, s34 dst_sel:DWORD dst_unused:UNUSED_PAD src0_sel:WORD_0 src1_sel:DWORD
	v_mul_u32_u24_sdwa v57, v59, s34 dst_sel:DWORD dst_unused:UNUSED_PAD src0_sel:WORD_1 src1_sel:DWORD
	s_waitcnt lgkmcnt(0)
	v_pk_fma_f16 v58, v45, v44, v62
	v_pk_fma_f16 v41, v45, v57, v41
	v_pk_fma_f16 v43, v46, v44, v43
	v_pk_fma_f16 v45, v46, v57, v42
	v_mul_u32_u24_sdwa v42, v60, s34 dst_sel:DWORD dst_unused:UNUSED_PAD src0_sel:WORD_0 src1_sel:DWORD
	v_mul_u32_u24_sdwa v46, v60, s34 dst_sel:DWORD dst_unused:UNUSED_PAD src0_sel:WORD_1 src1_sel:DWORD
	v_pk_fma_f16 v61, v47, v42, v58
	v_pk_fma_f16 v62, v47, v46, v41
	v_pk_fma_f16 v63, v48, v42, v43
	ds_read_b128 v[41:44], v1 offset:128
	v_add_u32_e32 v65, 0x2000, v24
	ds_read2_b64 v[57:60], v65 offset1:32
	v_pk_fma_f16 v64, v48, v46, v45
	ds_read_b128 v[45:48], v1 offset:144
	s_waitcnt lgkmcnt(2)
	v_mul_u32_u24_sdwa v66, v41, s34 dst_sel:DWORD dst_unused:UNUSED_PAD src0_sel:WORD_0 src1_sel:DWORD
	v_mul_u32_u24_sdwa v41, v41, s34 dst_sel:DWORD dst_unused:UNUSED_PAD src0_sel:WORD_1 src1_sel:DWORD
	s_waitcnt lgkmcnt(1)
	v_pk_fma_f16 v61, v57, v66, v61
	v_pk_fma_f16 v57, v57, v41, v62
	v_pk_fma_f16 v66, v58, v66, v63
	v_pk_fma_f16 v41, v58, v41, v64
	v_mul_u32_u24_sdwa v58, v42, s34 dst_sel:DWORD dst_unused:UNUSED_PAD src0_sel:WORD_0 src1_sel:DWORD
	v_pk_fma_f16 v67, v59, v58, v61
	ds_read2_b64 v[61:64], v65 offset0:64 offset1:96
	v_mul_u32_u24_sdwa v42, v42, s34 dst_sel:DWORD dst_unused:UNUSED_PAD src0_sel:WORD_1 src1_sel:DWORD
	v_pk_fma_f16 v57, v59, v42, v57
	v_pk_fma_f16 v58, v60, v58, v66
	v_pk_fma_f16 v41, v60, v42, v41
	v_mul_u32_u24_sdwa v42, v43, s34 dst_sel:DWORD dst_unused:UNUSED_PAD src0_sel:WORD_0 src1_sel:DWORD
	v_mul_u32_u24_sdwa v43, v43, s34 dst_sel:DWORD dst_unused:UNUSED_PAD src0_sel:WORD_1 src1_sel:DWORD
	s_waitcnt lgkmcnt(0)
	v_pk_fma_f16 v59, v61, v42, v67
	v_pk_fma_f16 v57, v61, v43, v57
	v_pk_fma_f16 v58, v62, v42, v58
	v_pk_fma_f16 v60, v62, v43, v41
	v_mul_u32_u24_sdwa v61, v44, s34 dst_sel:DWORD dst_unused:UNUSED_PAD src0_sel:WORD_0 src1_sel:DWORD
	v_mul_u32_u24_sdwa v62, v44, s34 dst_sel:DWORD dst_unused:UNUSED_PAD src0_sel:WORD_1 src1_sel:DWORD
	ds_read2_b64 v[41:44], v65 offset0:128 offset1:160
	v_pk_fma_f16 v59, v63, v61, v59
	v_pk_fma_f16 v57, v63, v62, v57
	v_pk_fma_f16 v58, v64, v61, v58
	v_pk_fma_f16 v60, v64, v62, v60
	v_mul_u32_u24_sdwa v61, v45, s34 dst_sel:DWORD dst_unused:UNUSED_PAD src0_sel:WORD_0 src1_sel:DWORD
	v_mul_u32_u24_sdwa v45, v45, s34 dst_sel:DWORD dst_unused:UNUSED_PAD src0_sel:WORD_1 src1_sel:DWORD
	s_waitcnt lgkmcnt(0)
	v_pk_fma_f16 v59, v41, v61, v59
	v_pk_fma_f16 v41, v41, v45, v57
	v_pk_fma_f16 v61, v42, v61, v58
	v_pk_fma_f16 v42, v42, v45, v60
	v_mul_u32_u24_sdwa v45, v46, s34 dst_sel:DWORD dst_unused:UNUSED_PAD src0_sel:WORD_0 src1_sel:DWORD
	v_pk_fma_f16 v62, v43, v45, v59
	ds_read2_b64 v[57:60], v65 offset0:192 offset1:224
	v_mul_u32_u24_sdwa v46, v46, s34 dst_sel:DWORD dst_unused:UNUSED_PAD src0_sel:WORD_1 src1_sel:DWORD
	v_pk_fma_f16 v41, v43, v46, v41
	v_pk_fma_f16 v43, v44, v45, v61
	v_pk_fma_f16 v42, v44, v46, v42
	v_mul_u32_u24_sdwa v44, v47, s34 dst_sel:DWORD dst_unused:UNUSED_PAD src0_sel:WORD_0 src1_sel:DWORD
	v_mul_u32_u24_sdwa v45, v47, s34 dst_sel:DWORD dst_unused:UNUSED_PAD src0_sel:WORD_1 src1_sel:DWORD
	s_waitcnt lgkmcnt(0)
	v_pk_fma_f16 v46, v57, v44, v62
	v_pk_fma_f16 v41, v57, v45, v41
	v_pk_fma_f16 v43, v58, v44, v43
	v_pk_fma_f16 v57, v58, v45, v42
	v_mul_u32_u24_sdwa v42, v48, s34 dst_sel:DWORD dst_unused:UNUSED_PAD src0_sel:WORD_0 src1_sel:DWORD
	v_mul_u32_u24_sdwa v58, v48, s34 dst_sel:DWORD dst_unused:UNUSED_PAD src0_sel:WORD_1 src1_sel:DWORD
	v_pk_fma_f16 v61, v59, v42, v46
	v_pk_fma_f16 v62, v59, v58, v41
	v_pk_fma_f16 v63, v60, v42, v43
	ds_read_b128 v[41:44], v1 offset:160
	v_add_u32_e32 v65, 0x2800, v24
	ds_read2_b64 v[45:48], v65 offset1:32
	v_pk_fma_f16 v64, v60, v58, v57
	ds_read_b128 v[57:60], v1 offset:176
	s_waitcnt lgkmcnt(2)
	v_mul_u32_u24_sdwa v66, v41, s34 dst_sel:DWORD dst_unused:UNUSED_PAD src0_sel:WORD_0 src1_sel:DWORD
	v_mul_u32_u24_sdwa v41, v41, s34 dst_sel:DWORD dst_unused:UNUSED_PAD src0_sel:WORD_1 src1_sel:DWORD
	s_waitcnt lgkmcnt(1)
	v_pk_fma_f16 v61, v45, v66, v61
	v_pk_fma_f16 v45, v45, v41, v62
	v_pk_fma_f16 v66, v46, v66, v63
	v_pk_fma_f16 v41, v46, v41, v64
	v_mul_u32_u24_sdwa v46, v42, s34 dst_sel:DWORD dst_unused:UNUSED_PAD src0_sel:WORD_0 src1_sel:DWORD
	v_pk_fma_f16 v67, v47, v46, v61
	ds_read2_b64 v[61:64], v65 offset0:64 offset1:96
	v_mul_u32_u24_sdwa v42, v42, s34 dst_sel:DWORD dst_unused:UNUSED_PAD src0_sel:WORD_1 src1_sel:DWORD
	v_pk_fma_f16 v45, v47, v42, v45
	v_pk_fma_f16 v46, v48, v46, v66
	v_pk_fma_f16 v41, v48, v42, v41
	v_mul_u32_u24_sdwa v42, v43, s34 dst_sel:DWORD dst_unused:UNUSED_PAD src0_sel:WORD_0 src1_sel:DWORD
	v_mul_u32_u24_sdwa v43, v43, s34 dst_sel:DWORD dst_unused:UNUSED_PAD src0_sel:WORD_1 src1_sel:DWORD
	s_waitcnt lgkmcnt(0)
	v_pk_fma_f16 v47, v61, v42, v67
	v_pk_fma_f16 v45, v61, v43, v45
	v_pk_fma_f16 v46, v62, v42, v46
	v_pk_fma_f16 v48, v62, v43, v41
	v_mul_u32_u24_sdwa v61, v44, s34 dst_sel:DWORD dst_unused:UNUSED_PAD src0_sel:WORD_0 src1_sel:DWORD
	v_mul_u32_u24_sdwa v62, v44, s34 dst_sel:DWORD dst_unused:UNUSED_PAD src0_sel:WORD_1 src1_sel:DWORD
	ds_read2_b64 v[41:44], v65 offset0:128 offset1:160
	v_pk_fma_f16 v47, v63, v61, v47
	v_pk_fma_f16 v45, v63, v62, v45
	v_pk_fma_f16 v46, v64, v61, v46
	v_pk_fma_f16 v48, v64, v62, v48
	v_mul_u32_u24_sdwa v61, v57, s34 dst_sel:DWORD dst_unused:UNUSED_PAD src0_sel:WORD_0 src1_sel:DWORD
	v_mul_u32_u24_sdwa v57, v57, s34 dst_sel:DWORD dst_unused:UNUSED_PAD src0_sel:WORD_1 src1_sel:DWORD
	s_waitcnt lgkmcnt(0)
	v_pk_fma_f16 v47, v41, v61, v47
	v_pk_fma_f16 v41, v41, v57, v45
	v_pk_fma_f16 v61, v42, v61, v46
	v_pk_fma_f16 v42, v42, v57, v48
	v_mul_u32_u24_sdwa v57, v58, s34 dst_sel:DWORD dst_unused:UNUSED_PAD src0_sel:WORD_0 src1_sel:DWORD
	v_pk_fma_f16 v62, v43, v57, v47
	ds_read2_b64 v[45:48], v65 offset0:192 offset1:224
	v_mul_u32_u24_sdwa v58, v58, s34 dst_sel:DWORD dst_unused:UNUSED_PAD src0_sel:WORD_1 src1_sel:DWORD
	v_pk_fma_f16 v41, v43, v58, v41
	v_pk_fma_f16 v43, v44, v57, v61
	v_pk_fma_f16 v42, v44, v58, v42
	v_mul_u32_u24_sdwa v44, v59, s34 dst_sel:DWORD dst_unused:UNUSED_PAD src0_sel:WORD_0 src1_sel:DWORD
	v_mul_u32_u24_sdwa v57, v59, s34 dst_sel:DWORD dst_unused:UNUSED_PAD src0_sel:WORD_1 src1_sel:DWORD
	s_waitcnt lgkmcnt(0)
	v_pk_fma_f16 v58, v45, v44, v62
	v_pk_fma_f16 v41, v45, v57, v41
	v_pk_fma_f16 v43, v46, v44, v43
	v_pk_fma_f16 v45, v46, v57, v42
	v_mul_u32_u24_sdwa v42, v60, s34 dst_sel:DWORD dst_unused:UNUSED_PAD src0_sel:WORD_0 src1_sel:DWORD
	v_mul_u32_u24_sdwa v46, v60, s34 dst_sel:DWORD dst_unused:UNUSED_PAD src0_sel:WORD_1 src1_sel:DWORD
	v_pk_fma_f16 v61, v47, v42, v58
	v_pk_fma_f16 v62, v47, v46, v41
	v_pk_fma_f16 v63, v48, v42, v43
	ds_read_b128 v[41:44], v1 offset:192
	v_add_u32_e32 v65, 0x3000, v24
	ds_read2_b64 v[57:60], v65 offset1:32
	v_pk_fma_f16 v64, v48, v46, v45
	ds_read_b128 v[45:48], v1 offset:208
	s_waitcnt lgkmcnt(2)
	v_mul_u32_u24_sdwa v66, v41, s34 dst_sel:DWORD dst_unused:UNUSED_PAD src0_sel:WORD_0 src1_sel:DWORD
	v_mul_u32_u24_sdwa v41, v41, s34 dst_sel:DWORD dst_unused:UNUSED_PAD src0_sel:WORD_1 src1_sel:DWORD
	s_waitcnt lgkmcnt(1)
	v_pk_fma_f16 v61, v57, v66, v61
	v_pk_fma_f16 v57, v57, v41, v62
	v_pk_fma_f16 v66, v58, v66, v63
	v_pk_fma_f16 v41, v58, v41, v64
	v_mul_u32_u24_sdwa v58, v42, s34 dst_sel:DWORD dst_unused:UNUSED_PAD src0_sel:WORD_0 src1_sel:DWORD
	v_pk_fma_f16 v67, v59, v58, v61
	ds_read2_b64 v[61:64], v65 offset0:64 offset1:96
	v_mul_u32_u24_sdwa v42, v42, s34 dst_sel:DWORD dst_unused:UNUSED_PAD src0_sel:WORD_1 src1_sel:DWORD
	v_pk_fma_f16 v57, v59, v42, v57
	v_pk_fma_f16 v58, v60, v58, v66
	v_pk_fma_f16 v41, v60, v42, v41
	v_mul_u32_u24_sdwa v42, v43, s34 dst_sel:DWORD dst_unused:UNUSED_PAD src0_sel:WORD_0 src1_sel:DWORD
	v_mul_u32_u24_sdwa v43, v43, s34 dst_sel:DWORD dst_unused:UNUSED_PAD src0_sel:WORD_1 src1_sel:DWORD
	s_waitcnt lgkmcnt(0)
	v_pk_fma_f16 v59, v61, v42, v67
	v_pk_fma_f16 v57, v61, v43, v57
	v_pk_fma_f16 v58, v62, v42, v58
	v_pk_fma_f16 v60, v62, v43, v41
	v_mul_u32_u24_sdwa v61, v44, s34 dst_sel:DWORD dst_unused:UNUSED_PAD src0_sel:WORD_0 src1_sel:DWORD
	v_mul_u32_u24_sdwa v62, v44, s34 dst_sel:DWORD dst_unused:UNUSED_PAD src0_sel:WORD_1 src1_sel:DWORD
	ds_read2_b64 v[41:44], v65 offset0:128 offset1:160
	v_pk_fma_f16 v59, v63, v61, v59
	v_pk_fma_f16 v57, v63, v62, v57
	v_pk_fma_f16 v58, v64, v61, v58
	v_pk_fma_f16 v60, v64, v62, v60
	v_mul_u32_u24_sdwa v61, v45, s34 dst_sel:DWORD dst_unused:UNUSED_PAD src0_sel:WORD_0 src1_sel:DWORD
	v_mul_u32_u24_sdwa v45, v45, s34 dst_sel:DWORD dst_unused:UNUSED_PAD src0_sel:WORD_1 src1_sel:DWORD
	s_waitcnt lgkmcnt(0)
	v_pk_fma_f16 v59, v41, v61, v59
	v_pk_fma_f16 v41, v41, v45, v57
	v_pk_fma_f16 v61, v42, v61, v58
	v_pk_fma_f16 v42, v42, v45, v60
	v_mul_u32_u24_sdwa v45, v46, s34 dst_sel:DWORD dst_unused:UNUSED_PAD src0_sel:WORD_0 src1_sel:DWORD
	v_pk_fma_f16 v62, v43, v45, v59
	ds_read2_b64 v[57:60], v65 offset0:192 offset1:224
	v_mul_u32_u24_sdwa v46, v46, s34 dst_sel:DWORD dst_unused:UNUSED_PAD src0_sel:WORD_1 src1_sel:DWORD
	v_pk_fma_f16 v41, v43, v46, v41
	v_pk_fma_f16 v43, v44, v45, v61
	v_pk_fma_f16 v42, v44, v46, v42
	v_mul_u32_u24_sdwa v44, v47, s34 dst_sel:DWORD dst_unused:UNUSED_PAD src0_sel:WORD_0 src1_sel:DWORD
	v_mul_u32_u24_sdwa v45, v47, s34 dst_sel:DWORD dst_unused:UNUSED_PAD src0_sel:WORD_1 src1_sel:DWORD
	s_waitcnt lgkmcnt(0)
	v_pk_fma_f16 v46, v57, v44, v62
	v_pk_fma_f16 v41, v57, v45, v41
	v_pk_fma_f16 v43, v58, v44, v43
	v_pk_fma_f16 v57, v58, v45, v42
	v_mul_u32_u24_sdwa v42, v48, s34 dst_sel:DWORD dst_unused:UNUSED_PAD src0_sel:WORD_0 src1_sel:DWORD
	v_mul_u32_u24_sdwa v58, v48, s34 dst_sel:DWORD dst_unused:UNUSED_PAD src0_sel:WORD_1 src1_sel:DWORD
	v_pk_fma_f16 v61, v59, v42, v46
	v_pk_fma_f16 v62, v59, v58, v41
	v_pk_fma_f16 v63, v60, v42, v43
	ds_read_b128 v[41:44], v1 offset:224
	v_add_u32_e32 v65, 0x3800, v24
	ds_read2_b64 v[45:48], v65 offset1:32
	v_pk_fma_f16 v64, v60, v58, v57
	ds_read_b128 v[57:60], v1 offset:240
	s_waitcnt lgkmcnt(2)
	v_mul_u32_u24_sdwa v66, v41, s34 dst_sel:DWORD dst_unused:UNUSED_PAD src0_sel:WORD_0 src1_sel:DWORD
	v_mul_u32_u24_sdwa v41, v41, s34 dst_sel:DWORD dst_unused:UNUSED_PAD src0_sel:WORD_1 src1_sel:DWORD
	s_waitcnt lgkmcnt(1)
	v_pk_fma_f16 v61, v45, v66, v61
	v_pk_fma_f16 v45, v45, v41, v62
	;; [unrolled: 1-line block ×4, first 2 shown]
	v_mul_u32_u24_sdwa v46, v42, s34 dst_sel:DWORD dst_unused:UNUSED_PAD src0_sel:WORD_0 src1_sel:DWORD
	v_pk_fma_f16 v67, v47, v46, v61
	ds_read2_b64 v[61:64], v65 offset0:64 offset1:96
	v_mul_u32_u24_sdwa v42, v42, s34 dst_sel:DWORD dst_unused:UNUSED_PAD src0_sel:WORD_1 src1_sel:DWORD
	v_pk_fma_f16 v45, v47, v42, v45
	v_pk_fma_f16 v46, v48, v46, v66
	;; [unrolled: 1-line block ×3, first 2 shown]
	v_mul_u32_u24_sdwa v42, v43, s34 dst_sel:DWORD dst_unused:UNUSED_PAD src0_sel:WORD_0 src1_sel:DWORD
	v_mul_u32_u24_sdwa v43, v43, s34 dst_sel:DWORD dst_unused:UNUSED_PAD src0_sel:WORD_1 src1_sel:DWORD
	s_waitcnt lgkmcnt(0)
	v_pk_fma_f16 v47, v61, v42, v67
	v_pk_fma_f16 v45, v61, v43, v45
	;; [unrolled: 1-line block ×4, first 2 shown]
	v_mul_u32_u24_sdwa v61, v44, s34 dst_sel:DWORD dst_unused:UNUSED_PAD src0_sel:WORD_0 src1_sel:DWORD
	v_mul_u32_u24_sdwa v62, v44, s34 dst_sel:DWORD dst_unused:UNUSED_PAD src0_sel:WORD_1 src1_sel:DWORD
	ds_read2_b64 v[41:44], v65 offset0:128 offset1:160
	v_pk_fma_f16 v47, v63, v61, v47
	v_pk_fma_f16 v45, v63, v62, v45
	;; [unrolled: 1-line block ×4, first 2 shown]
	v_mul_u32_u24_sdwa v61, v57, s34 dst_sel:DWORD dst_unused:UNUSED_PAD src0_sel:WORD_0 src1_sel:DWORD
	v_mul_u32_u24_sdwa v57, v57, s34 dst_sel:DWORD dst_unused:UNUSED_PAD src0_sel:WORD_1 src1_sel:DWORD
	s_waitcnt lgkmcnt(0)
	v_pk_fma_f16 v47, v41, v61, v47
	v_pk_fma_f16 v41, v41, v57, v45
	v_pk_fma_f16 v61, v42, v61, v46
	v_pk_fma_f16 v42, v42, v57, v48
	v_mul_u32_u24_sdwa v57, v58, s34 dst_sel:DWORD dst_unused:UNUSED_PAD src0_sel:WORD_0 src1_sel:DWORD
	v_pk_fma_f16 v62, v43, v57, v47
	ds_read2_b64 v[45:48], v65 offset0:192 offset1:224
	s_waitcnt lgkmcnt(0)
	s_barrier
	s_load_dword s8, s[0:1], 0x4
	v_mul_u32_u24_sdwa v58, v58, s34 dst_sel:DWORD dst_unused:UNUSED_PAD src0_sel:WORD_1 src1_sel:DWORD
	v_pk_fma_f16 v41, v43, v58, v41
	v_pk_fma_f16 v43, v44, v57, v61
	;; [unrolled: 1-line block ×3, first 2 shown]
	v_mul_u32_u24_sdwa v44, v59, s34 dst_sel:DWORD dst_unused:UNUSED_PAD src0_sel:WORD_0 src1_sel:DWORD
	v_mul_u32_u24_sdwa v57, v59, s34 dst_sel:DWORD dst_unused:UNUSED_PAD src0_sel:WORD_1 src1_sel:DWORD
	s_waitcnt lgkmcnt(0)
	s_lshl_b32 s8, s8, 6
	v_pk_fma_f16 v58, v45, v44, v62
	v_pk_fma_f16 v41, v45, v57, v41
	;; [unrolled: 1-line block ×4, first 2 shown]
	v_mul_u32_u24_sdwa v46, v60, s34 dst_sel:DWORD dst_unused:UNUSED_PAD src0_sel:WORD_0 src1_sel:DWORD
	v_mul_u32_u24_sdwa v57, v60, s34 dst_sel:DWORD dst_unused:UNUSED_PAD src0_sel:WORD_1 src1_sel:DWORD
	s_add_i32 s6, s8, s6
	v_pk_fma_f16 v43, v47, v46, v58
	v_pk_fma_f16 v42, v47, v57, v41
	;; [unrolled: 1-line block ×3, first 2 shown]
	s_cmp_ge_i32 s6, s28
	v_pk_fma_f16 v41, v48, v57, v45
	s_cbranch_scc1 .LBB73_7
; %bb.29:                               ;   in Loop: Header=BB73_12 Depth=1
	v_mov_b32_e32 v48, v19
	v_mov_b32_e32 v46, v20
	v_mov_b32_e32 v47, v49
	v_mov_b32_e32 v45, v50
	s_branch .LBB73_12
.LBB73_30:
	v_mov_b32_e32 v4, v2
	v_mov_b32_e32 v3, v1
	v_cmp_gt_i32_e32 vcc, s2, v21
	s_and_saveexec_b64 s[0:1], vcc
	s_cbranch_execz .LBB73_9
.LBB73_31:
	s_load_dword s6, s[4:5], 0xd4
	v_mov_b32_e32 v5, 1.0
	s_waitcnt lgkmcnt(0)
	s_cmp_lg_u32 s6, 1
	s_cselect_b64 s[0:1], -1, 0
	s_cmp_eq_u32 s6, 1
	s_cselect_b64 s[4:5], -1, 0
	s_and_b64 vcc, exec, s[0:1]
	s_cbranch_vccnz .LBB73_33
; %bb.32:
	v_div_scale_f32 v5, s[8:9], v1, v1, 1.0
	v_div_scale_f32 v6, vcc, 1.0, v1, 1.0
	v_rcp_f32_e32 v7, v5
	v_fma_f32 v8, -v5, v7, 1.0
	v_fmac_f32_e32 v7, v8, v7
	v_mul_f32_e32 v8, v6, v7
	v_fma_f32 v9, -v5, v8, v6
	v_fmac_f32_e32 v8, v9, v7
	v_fma_f32 v5, -v5, v8, v6
	v_div_fmas_f32 v5, v5, v7, v8
	v_div_fixup_f32 v5, v5, v1, 1.0
.LBB73_33:
	s_mul_i32 s33, s33, s2
	v_add_u32_e32 v1, s33, v21
	v_mul_lo_u32 v1, v1, s3
	v_cmp_eq_u32_e32 vcc, 0, v0
	v_mov_b32_e32 v11, 0
	v_cvt_f32_f16_e32 v6, v43
	v_add3_u32 v0, s29, v22, v1
	v_mul_lo_u32 v0, s6, v0
	v_cvt_f32_f16_sdwa v1, v43 dst_sel:DWORD dst_unused:UNUSED_PAD src0_sel:WORD_1
	v_cvt_f32_f16_e32 v8, v44
	v_cvt_f32_f16_sdwa v9, v44 dst_sel:DWORD dst_unused:UNUSED_PAD src0_sel:WORD_1
	v_add_u32_e32 v0, s7, v0
	v_lshl_add_u32 v10, v0, 7, v23
	v_lshlrev_b64 v[10:11], 2, v[10:11]
	s_and_b64 s[0:1], vcc, s[0:1]
	v_mul_f32_e32 v7, v5, v1
	v_mov_b32_e32 v1, s21
	v_add_co_u32_e32 v10, vcc, s20, v10
	v_mul_f32_e32 v6, v5, v6
	v_mul_f32_e32 v8, v5, v8
	;; [unrolled: 1-line block ×3, first 2 shown]
	v_addc_co_u32_e32 v11, vcc, v1, v11, vcc
	global_store_dwordx4 v[10:11], v[6:9], off
	s_and_saveexec_b64 s[2:3], s[0:1]
	s_cbranch_execz .LBB73_35
; %bb.34:
	v_ashrrev_i32_e32 v1, 31, v0
	v_lshlrev_b64 v[5:6], 3, v[0:1]
	v_mov_b32_e32 v1, s23
	v_add_co_u32_e32 v5, vcc, s22, v5
	v_addc_co_u32_e32 v6, vcc, v1, v6, vcc
	v_mov_b32_e32 v7, v19
	v_mov_b32_e32 v8, v3
	global_store_dwordx2 v[5:6], v[7:8], off
.LBB73_35:
	s_or_b64 exec, exec, s[2:3]
	s_andn2_b64 vcc, exec, s[4:5]
	v_mov_b32_e32 v1, 1.0
	s_cbranch_vccnz .LBB73_37
; %bb.36:
	v_div_scale_f32 v1, s[2:3], v2, v2, 1.0
	v_div_scale_f32 v3, vcc, 1.0, v2, 1.0
	v_rcp_f32_e32 v5, v1
	v_fma_f32 v6, -v1, v5, 1.0
	v_fmac_f32_e32 v5, v6, v5
	v_mul_f32_e32 v6, v3, v5
	v_fma_f32 v7, -v1, v6, v3
	v_fmac_f32_e32 v6, v7, v5
	v_fma_f32 v1, -v1, v6, v3
	v_div_fmas_f32 v1, v1, v5, v6
	v_div_fixup_f32 v1, v1, v2, 1.0
.LBB73_37:
	v_cvt_f32_f16_e32 v5, v42
	v_cvt_f32_f16_sdwa v6, v42 dst_sel:DWORD dst_unused:UNUSED_PAD src0_sel:WORD_1
	v_cvt_f32_f16_e32 v7, v41
	v_cvt_f32_f16_sdwa v8, v41 dst_sel:DWORD dst_unused:UNUSED_PAD src0_sel:WORD_1
	v_add_u32_e32 v0, s6, v0
	v_lshl_add_u32 v2, v0, 7, v23
	v_mov_b32_e32 v3, 0
	v_mul_f32_e32 v5, v1, v5
	v_mul_f32_e32 v6, v1, v6
	;; [unrolled: 1-line block ×4, first 2 shown]
	v_lshlrev_b64 v[1:2], 2, v[2:3]
	v_mov_b32_e32 v3, s21
	v_add_co_u32_e32 v1, vcc, s20, v1
	v_addc_co_u32_e32 v2, vcc, v3, v2, vcc
	global_store_dwordx4 v[1:2], v[5:8], off
	s_and_b64 exec, exec, s[0:1]
	s_cbranch_execz .LBB73_9
; %bb.38:
	v_ashrrev_i32_e32 v1, 31, v0
	v_lshlrev_b64 v[0:1], 3, v[0:1]
	v_mov_b32_e32 v2, s23
	v_add_co_u32_e32 v0, vcc, s22, v0
	v_addc_co_u32_e32 v1, vcc, v2, v1, vcc
	v_mov_b32_e32 v3, v20
	global_store_dwordx2 v[0:1], v[3:4], off
	s_endpgm
	.section	.rodata,"a",@progbits
	.p2align	6, 0x0
	.amdhsa_kernel _ZL15flash_attn_tileILi128ELi128ELi2ELi8ELb1EEvPKcS1_S1_S1_S1_PKiPfP15HIP_vector_typeIfLj2EEffffjfiS5_IjLj3EEiiiiiiiiiiiliiliiiiil
		.amdhsa_group_segment_fixed_size 23552
		.amdhsa_private_segment_fixed_size 0
		.amdhsa_kernarg_size 464
		.amdhsa_user_sgpr_count 6
		.amdhsa_user_sgpr_private_segment_buffer 1
		.amdhsa_user_sgpr_dispatch_ptr 0
		.amdhsa_user_sgpr_queue_ptr 0
		.amdhsa_user_sgpr_kernarg_segment_ptr 1
		.amdhsa_user_sgpr_dispatch_id 0
		.amdhsa_user_sgpr_flat_scratch_init 0
		.amdhsa_user_sgpr_private_segment_size 0
		.amdhsa_uses_dynamic_stack 0
		.amdhsa_system_sgpr_private_segment_wavefront_offset 0
		.amdhsa_system_sgpr_workgroup_id_x 1
		.amdhsa_system_sgpr_workgroup_id_y 1
		.amdhsa_system_sgpr_workgroup_id_z 1
		.amdhsa_system_sgpr_workgroup_info 0
		.amdhsa_system_vgpr_workitem_id 1
		.amdhsa_next_free_vgpr 85
		.amdhsa_next_free_sgpr 98
		.amdhsa_reserve_vcc 1
		.amdhsa_reserve_flat_scratch 0
		.amdhsa_float_round_mode_32 0
		.amdhsa_float_round_mode_16_64 0
		.amdhsa_float_denorm_mode_32 3
		.amdhsa_float_denorm_mode_16_64 3
		.amdhsa_dx10_clamp 1
		.amdhsa_ieee_mode 1
		.amdhsa_fp16_overflow 0
		.amdhsa_exception_fp_ieee_invalid_op 0
		.amdhsa_exception_fp_denorm_src 0
		.amdhsa_exception_fp_ieee_div_zero 0
		.amdhsa_exception_fp_ieee_overflow 0
		.amdhsa_exception_fp_ieee_underflow 0
		.amdhsa_exception_fp_ieee_inexact 0
		.amdhsa_exception_int_div_zero 0
	.end_amdhsa_kernel
	.section	.text._ZL15flash_attn_tileILi128ELi128ELi2ELi8ELb1EEvPKcS1_S1_S1_S1_PKiPfP15HIP_vector_typeIfLj2EEffffjfiS5_IjLj3EEiiiiiiiiiiiliiliiiiil,"axG",@progbits,_ZL15flash_attn_tileILi128ELi128ELi2ELi8ELb1EEvPKcS1_S1_S1_S1_PKiPfP15HIP_vector_typeIfLj2EEffffjfiS5_IjLj3EEiiiiiiiiiiiliiliiiiil,comdat
.Lfunc_end73:
	.size	_ZL15flash_attn_tileILi128ELi128ELi2ELi8ELb1EEvPKcS1_S1_S1_S1_PKiPfP15HIP_vector_typeIfLj2EEffffjfiS5_IjLj3EEiiiiiiiiiiiliiliiiiil, .Lfunc_end73-_ZL15flash_attn_tileILi128ELi128ELi2ELi8ELb1EEvPKcS1_S1_S1_S1_PKiPfP15HIP_vector_typeIfLj2EEffffjfiS5_IjLj3EEiiiiiiiiiiiliiliiiiil
                                        ; -- End function
	.set _ZL15flash_attn_tileILi128ELi128ELi2ELi8ELb1EEvPKcS1_S1_S1_S1_PKiPfP15HIP_vector_typeIfLj2EEffffjfiS5_IjLj3EEiiiiiiiiiiiliiliiiiil.num_vgpr, 80
	.set _ZL15flash_attn_tileILi128ELi128ELi2ELi8ELb1EEvPKcS1_S1_S1_S1_PKiPfP15HIP_vector_typeIfLj2EEffffjfiS5_IjLj3EEiiiiiiiiiiiliiliiiiil.num_agpr, 0
	.set _ZL15flash_attn_tileILi128ELi128ELi2ELi8ELb1EEvPKcS1_S1_S1_S1_PKiPfP15HIP_vector_typeIfLj2EEffffjfiS5_IjLj3EEiiiiiiiiiiiliiliiiiil.numbered_sgpr, 44
	.set _ZL15flash_attn_tileILi128ELi128ELi2ELi8ELb1EEvPKcS1_S1_S1_S1_PKiPfP15HIP_vector_typeIfLj2EEffffjfiS5_IjLj3EEiiiiiiiiiiiliiliiiiil.num_named_barrier, 0
	.set _ZL15flash_attn_tileILi128ELi128ELi2ELi8ELb1EEvPKcS1_S1_S1_S1_PKiPfP15HIP_vector_typeIfLj2EEffffjfiS5_IjLj3EEiiiiiiiiiiiliiliiiiil.private_seg_size, 0
	.set _ZL15flash_attn_tileILi128ELi128ELi2ELi8ELb1EEvPKcS1_S1_S1_S1_PKiPfP15HIP_vector_typeIfLj2EEffffjfiS5_IjLj3EEiiiiiiiiiiiliiliiiiil.uses_vcc, 1
	.set _ZL15flash_attn_tileILi128ELi128ELi2ELi8ELb1EEvPKcS1_S1_S1_S1_PKiPfP15HIP_vector_typeIfLj2EEffffjfiS5_IjLj3EEiiiiiiiiiiiliiliiiiil.uses_flat_scratch, 0
	.set _ZL15flash_attn_tileILi128ELi128ELi2ELi8ELb1EEvPKcS1_S1_S1_S1_PKiPfP15HIP_vector_typeIfLj2EEffffjfiS5_IjLj3EEiiiiiiiiiiiliiliiiiil.has_dyn_sized_stack, 0
	.set _ZL15flash_attn_tileILi128ELi128ELi2ELi8ELb1EEvPKcS1_S1_S1_S1_PKiPfP15HIP_vector_typeIfLj2EEffffjfiS5_IjLj3EEiiiiiiiiiiiliiliiiiil.has_recursion, 0
	.set _ZL15flash_attn_tileILi128ELi128ELi2ELi8ELb1EEvPKcS1_S1_S1_S1_PKiPfP15HIP_vector_typeIfLj2EEffffjfiS5_IjLj3EEiiiiiiiiiiiliiliiiiil.has_indirect_call, 0
	.section	.AMDGPU.csdata,"",@progbits
; Kernel info:
; codeLenInByte = 11544
; TotalNumSgprs: 48
; NumVgprs: 80
; ScratchSize: 0
; MemoryBound: 0
; FloatMode: 240
; IeeeMode: 1
; LDSByteSize: 23552 bytes/workgroup (compile time only)
; SGPRBlocks: 12
; VGPRBlocks: 21
; NumSGPRsForWavesPerEU: 102
; NumVGPRsForWavesPerEU: 85
; Occupancy: 2
; WaveLimiterHint : 1
; COMPUTE_PGM_RSRC2:SCRATCH_EN: 0
; COMPUTE_PGM_RSRC2:USER_SGPR: 6
; COMPUTE_PGM_RSRC2:TRAP_HANDLER: 0
; COMPUTE_PGM_RSRC2:TGID_X_EN: 1
; COMPUTE_PGM_RSRC2:TGID_Y_EN: 1
; COMPUTE_PGM_RSRC2:TGID_Z_EN: 1
; COMPUTE_PGM_RSRC2:TIDIG_COMP_CNT: 1
	.section	.text._ZL15flash_attn_tileILi128ELi128ELi1ELi8ELb1EEvPKcS1_S1_S1_S1_PKiPfP15HIP_vector_typeIfLj2EEffffjfiS5_IjLj3EEiiiiiiiiiiiliiliiiiil,"axG",@progbits,_ZL15flash_attn_tileILi128ELi128ELi1ELi8ELb1EEvPKcS1_S1_S1_S1_PKiPfP15HIP_vector_typeIfLj2EEffffjfiS5_IjLj3EEiiiiiiiiiiiliiliiiiil,comdat
	.globl	_ZL15flash_attn_tileILi128ELi128ELi1ELi8ELb1EEvPKcS1_S1_S1_S1_PKiPfP15HIP_vector_typeIfLj2EEffffjfiS5_IjLj3EEiiiiiiiiiiiliiliiiiil ; -- Begin function _ZL15flash_attn_tileILi128ELi128ELi1ELi8ELb1EEvPKcS1_S1_S1_S1_PKiPfP15HIP_vector_typeIfLj2EEffffjfiS5_IjLj3EEiiiiiiiiiiiliiliiiiil
	.p2align	8
	.type	_ZL15flash_attn_tileILi128ELi128ELi1ELi8ELb1EEvPKcS1_S1_S1_S1_PKiPfP15HIP_vector_typeIfLj2EEffffjfiS5_IjLj3EEiiiiiiiiiiiliiliiiiil,@function
_ZL15flash_attn_tileILi128ELi128ELi1ELi8ELb1EEvPKcS1_S1_S1_S1_PKiPfP15HIP_vector_typeIfLj2EEffffjfiS5_IjLj3EEiiiiiiiiiiiliiliiiiil: ; @_ZL15flash_attn_tileILi128ELi128ELi1ELi8ELb1EEvPKcS1_S1_S1_S1_PKiPfP15HIP_vector_typeIfLj2EEffffjfiS5_IjLj3EEiiiiiiiiiiiliiliiiiil
; %bb.0:
	s_load_dwordx4 s[0:3], s[4:5], 0x5c
	s_load_dwordx2 s[28:29], s[4:5], 0x80
	s_load_dwordx2 s[34:35], s[4:5], 0xb8
	s_mov_b64 s[30:31], 0
	s_waitcnt lgkmcnt(0)
	s_ashr_i32 s9, s3, 31
	s_lshr_b32 s9, s9, 29
	s_add_i32 s9, s3, s9
	s_ashr_i32 s9, s9, 3
	v_cvt_f32_u32_e32 v2, s9
	s_sub_i32 s10, 0, s9
	v_rcp_iflag_f32_e32 v2, v2
	v_mul_f32_e32 v2, 0x4f7ffffe, v2
	v_cvt_u32_f32_e32 v2, v2
	v_readfirstlane_b32 s11, v2
	s_mul_i32 s10, s10, s11
	s_mul_hi_u32 s10, s11, s10
	s_add_i32 s11, s11, s10
	s_mul_hi_u32 s10, s8, s11
	s_mul_i32 s11, s10, s9
	s_sub_i32 s11, s8, s11
	s_add_i32 s12, s10, 1
	s_sub_i32 s13, s11, s9
	s_cmp_ge_u32 s11, s9
	s_cselect_b32 s10, s12, s10
	s_cselect_b32 s11, s13, s11
	s_add_i32 s12, s10, 1
	s_cmp_ge_u32 s11, s9
	s_cselect_b32 s33, s12, s10
	s_abs_i32 s9, s29
	v_cvt_f32_u32_e32 v2, s9
	s_lshl_b32 s8, s8, 3
	s_mul_i32 s12, s33, s3
	s_xor_b32 s10, s3, s29
	v_rcp_iflag_f32_e32 v2, v2
	s_sub_i32 s13, 0, s9
	s_sub_i32 s29, s8, s12
	s_abs_i32 s11, s3
	v_mul_f32_e32 v2, 0x4f7ffffe, v2
	v_cvt_u32_f32_e32 v2, v2
	s_ashr_i32 s10, s10, 31
	v_readfirstlane_b32 s8, v2
	s_mul_i32 s13, s13, s8
	s_mul_hi_u32 s12, s8, s13
	s_add_i32 s8, s8, s12
	s_mul_hi_u32 s8, s11, s8
	s_mul_i32 s12, s8, s9
	s_sub_i32 s11, s11, s12
	s_add_i32 s13, s8, 1
	s_sub_i32 s12, s11, s9
	s_cmp_ge_u32 s11, s9
	s_cselect_b32 s8, s13, s8
	s_cselect_b32 s11, s12, s11
	s_add_i32 s12, s8, 1
	s_cmp_ge_u32 s11, s9
	s_cselect_b32 s8, s12, s8
	s_xor_b32 s8, s8, s10
	s_sub_i32 s37, s8, s10
	s_abs_i32 s36, s37
	v_cvt_f32_u32_e32 v2, s36
	s_load_dwordx16 s[8:23], s[4:5], 0x0
	v_rcp_iflag_f32_e32 v2, v2
	s_waitcnt lgkmcnt(0)
	s_cmp_eq_u64 s[14:15], 0
	v_mul_f32_e32 v2, 0x4f7ffffe, v2
	v_cvt_u32_f32_e32 v2, v2
	v_readfirstlane_b32 s38, v2
	s_cbranch_scc1 .LBB74_2
; %bb.1:
	s_abs_i32 s26, s34
	v_cvt_f32_u32_e32 v2, s26
	s_sub_i32 s31, 0, s26
	s_abs_i32 s30, s33
	s_ashr_i32 s27, s33, 31
	v_rcp_iflag_f32_e32 v2, v2
	s_load_dwordx2 s[24:25], s[4:5], 0xc8
	v_mul_f32_e32 v2, 0x4f7ffffe, v2
	v_cvt_u32_f32_e32 v2, v2
	v_readfirstlane_b32 s34, v2
	s_mul_i32 s31, s31, s34
	s_mul_hi_u32 s31, s34, s31
	s_add_i32 s34, s34, s31
	s_mul_hi_u32 s31, s30, s34
	s_mul_i32 s31, s31, s26
	s_sub_i32 s30, s30, s31
	s_sub_i32 s31, s30, s26
	s_cmp_ge_u32 s30, s26
	s_cselect_b32 s30, s31, s30
	s_sub_i32 s31, s30, s26
	s_cmp_ge_u32 s30, s26
	s_cselect_b32 s26, s31, s30
	s_xor_b32 s26, s26, s27
	s_sub_i32 s26, s26, s27
	s_ashr_i32 s27, s26, 31
	s_waitcnt lgkmcnt(0)
	s_mul_hi_u32 s30, s24, s26
	s_mul_i32 s27, s24, s27
	s_mul_i32 s25, s25, s26
	s_add_i32 s27, s30, s27
	s_add_i32 s27, s27, s25
	s_mul_i32 s24, s24, s26
	s_add_u32 s30, s14, s24
	s_addc_u32 s31, s15, s27
.LBB74_2:
	v_lshrrev_b32_e32 v2, 3, v1
	s_load_dwordx4 s[24:27], s[4:5], 0x70
	v_add_u32_e32 v21, s6, v2
	v_mul_hi_u32 v2, s0, v21
	v_and_b32_e32 v22, 7, v1
	v_lshlrev_b32_e32 v24, 3, v0
	s_waitcnt lgkmcnt(0)
	s_mul_i32 s14, s33, s26
	v_add_u32_e32 v2, v21, v2
	s_ashr_i32 s26, s14, 31
	v_lshrrev_b32_e32 v2, s1, v2
	s_mul_i32 s15, s29, s25
	s_add_u32 s8, s8, s14
	v_mul_lo_u32 v2, v2, s2
	s_addc_u32 s9, s9, s26
	s_ashr_i32 s14, s15, 31
	s_add_u32 s26, s8, s15
	s_addc_u32 s27, s9, s14
	s_ashr_i32 s9, s25, 31
	s_mov_b32 s8, s25
	s_ashr_i32 s25, s24, 31
	s_lshr_b64 s[14:15], s[8:9], 2
	v_sub_u32_e32 v2, v21, v2
	s_lshr_b64 s[0:1], s[24:25], 2
	v_mad_u64_u32 v[3:4], s[14:15], s14, v22, 0
	v_mad_u64_u32 v[5:6], s[0:1], s0, v2, 0
	s_lshr_b32 s0, s9, 2
	v_mad_u64_u32 v[7:8], s[0:1], s0, v22, v[4:5]
	v_mov_b32_e32 v4, v6
	s_lshr_b32 s0, s25, 2
	v_mad_u64_u32 v[8:9], s[0:1], s0, v2, v[4:5]
	v_mov_b32_e32 v4, v7
	v_lshlrev_b64 v[3:4], 2, v[3:4]
	v_mov_b32_e32 v6, v8
	v_mov_b32_e32 v7, s27
	v_add_co_u32_e32 v8, vcc, s26, v3
	v_addc_co_u32_e32 v7, vcc, v7, v4, vcc
	v_lshlrev_b64 v[3:4], 2, v[5:6]
	v_lshlrev_b32_e32 v5, 4, v0
	v_add_co_u32_e32 v3, vcc, v8, v3
	v_addc_co_u32_e32 v4, vcc, v7, v4, vcc
	v_add_co_u32_e32 v3, vcc, v3, v5
	v_addc_co_u32_e32 v4, vcc, 0, v4, vcc
	global_load_dwordx4 v[3:6], v[3:4], off
	s_load_dword s0, s[4:5], 0x40
	v_mov_b32_e32 v7, 0x4400
	v_lshl_add_u32 v25, v1, 8, v7
	v_add_u32_e32 v7, v25, v24
	s_cmp_eq_u64 s[18:19], 0
	s_waitcnt vmcnt(0) lgkmcnt(0)
	v_fma_mixlo_f16 v3, s0, v3, 0
	v_fma_mixlo_f16 v4, s0, v4, 0
	;; [unrolled: 1-line block ×4, first 2 shown]
	v_lshlrev_b32_e32 v4, 16, v4
	v_and_b32_e32 v3, 0xffff, v3
	v_lshlrev_b32_e32 v6, 16, v6
	v_and_b32_e32 v5, 0xffff, v5
	v_or_b32_e32 v3, v4, v3
	v_or3_b32 v4, v6, v5, 0
	v_or3_b32 v3, 0, 0, v3
	ds_write_b64 v7, v[3:4]
	s_waitcnt lgkmcnt(0)
	s_barrier
	s_cbranch_scc1 .LBB74_4
; %bb.3:
	s_load_dword s0, s[4:5], 0xd0
	s_mov_b32 s1, 0
	s_waitcnt lgkmcnt(0)
	s_mul_i32 s0, s0, s33
	s_add_i32 s0, s0, s6
	s_lshl_b64 s[0:1], s[0:1], 2
	s_add_u32 s0, s18, s0
	s_addc_u32 s1, s19, s1
	s_load_dword s28, s[0:1], 0x0
.LBB74_4:
	s_lshl_b32 s6, s7, 6
	s_waitcnt lgkmcnt(0)
	s_cmp_lt_i32 s6, s28
	v_mbcnt_lo_u32_b32 v44, -1, 0
	s_cbranch_scc1 .LBB74_12
; %bb.5:
	v_mbcnt_hi_u32_b32 v26, -1, v44
	v_and_b32_e32 v3, 0x60, v26
	v_add_u32_e32 v48, 32, v3
	v_xor_b32_e32 v47, 16, v26
	v_xor_b32_e32 v20, 8, v26
	;; [unrolled: 1-line block ×5, first 2 shown]
	v_lshlrev_b32_e32 v23, 2, v0
	s_cbranch_execz .LBB74_13
; %bb.6:
	v_mov_b32_e32 v44, 0
	v_mov_b32_e32 v51, 0
	;; [unrolled: 1-line block ×4, first 2 shown]
.LBB74_7:
	v_cmp_lt_i32_e32 vcc, v47, v48
	v_cndmask_b32_e32 v2, v26, v47, vcc
	v_lshlrev_b32_e32 v2, 2, v2
	ds_bpermute_b32 v2, v2, v51
	v_cmp_lt_i32_e32 vcc, v20, v48
	v_cndmask_b32_e32 v3, v26, v20, vcc
	v_lshlrev_b32_e32 v3, 2, v3
	v_cmp_lt_i32_e32 vcc, v19, v48
	s_waitcnt lgkmcnt(0)
	v_add_f32_e32 v2, v51, v2
	ds_bpermute_b32 v3, v3, v2
	v_cndmask_b32_e32 v4, v26, v19, vcc
	v_lshlrev_b32_e32 v4, 2, v4
	v_cmp_lt_i32_e32 vcc, v49, v48
	s_cmp_lg_u64 s[16:17], 0
	s_waitcnt lgkmcnt(0)
	v_add_f32_e32 v2, v2, v3
	ds_bpermute_b32 v3, v4, v2
	v_cndmask_b32_e32 v4, v26, v49, vcc
	v_lshlrev_b32_e32 v4, 2, v4
	v_cmp_lt_i32_e32 vcc, v50, v48
	v_cndmask_b32_e32 v5, v26, v50, vcc
	s_waitcnt lgkmcnt(0)
	v_add_f32_e32 v2, v2, v3
	ds_bpermute_b32 v4, v4, v2
	v_lshlrev_b32_e32 v5, 2, v5
	s_cselect_b64 s[0:1], -1, 0
	s_cmp_eq_u32 s7, 0
	s_cselect_b64 s[8:9], -1, 0
	s_waitcnt lgkmcnt(0)
	v_add_f32_e32 v2, v2, v4
	ds_bpermute_b32 v4, v5, v2
	s_and_b64 s[0:1], s[8:9], s[0:1]
	v_add_u32_e32 v3, s29, v22
	s_and_b64 vcc, exec, s[0:1]
	s_waitcnt lgkmcnt(0)
	v_add_f32_e32 v2, v2, v4
	s_cbranch_vccz .LBB74_9
; %bb.8:
	v_ashrrev_i32_e32 v4, 31, v3
	v_lshlrev_b64 v[4:5], 2, v[3:4]
	v_mov_b32_e32 v6, s17
	v_add_co_u32_e32 v4, vcc, s16, v4
	v_addc_co_u32_e32 v5, vcc, v6, v5, vcc
	global_load_dword v4, v[4:5], off
	v_max_f32_e32 v5, v1, v1
	s_mov_b32 s0, 0x3fb8aa3b
	s_mov_b32 s1, 0xc2ce8ed0
	s_waitcnt vmcnt(0)
	v_max_f32_e32 v6, v4, v4
	v_max_f32_e32 v5, v5, v6
	v_sub_f32_e32 v1, v1, v5
	v_sub_f32_e32 v4, v4, v5
	v_mul_f32_e32 v6, 0x3fb8aa3b, v1
	v_mul_f32_e32 v7, 0x3fb8aa3b, v4
	v_fma_f32 v8, v1, s0, -v6
	v_rndne_f32_e32 v9, v6
	v_fma_f32 v10, v4, s0, -v7
	v_rndne_f32_e32 v11, v7
	v_fmac_f32_e32 v8, 0x32a5705f, v1
	v_sub_f32_e32 v6, v6, v9
	v_fmac_f32_e32 v10, 0x32a5705f, v4
	v_sub_f32_e32 v7, v7, v11
	v_add_f32_e32 v6, v6, v8
	v_cvt_i32_f32_e32 v9, v9
	v_add_f32_e32 v7, v7, v10
	v_exp_f32_e32 v6, v6
	v_cvt_i32_f32_e32 v11, v11
	v_exp_f32_e32 v7, v7
	v_cmp_ngt_f32_e32 vcc, s1, v1
	v_ldexp_f32 v6, v6, v9
	s_mov_b32 s0, 0x42b17218
	v_ldexp_f32 v7, v7, v11
	v_cndmask_b32_e32 v6, 0, v6, vcc
	v_cmp_ngt_f32_e32 vcc, s1, v4
	v_mov_b32_e32 v8, 0x7f800000
	v_cndmask_b32_e32 v7, 0, v7, vcc
	v_cmp_nlt_f32_e32 vcc, s0, v1
	v_cndmask_b32_e32 v1, v8, v6, vcc
	v_cvt_f16_f32_e32 v6, v1
	v_cmp_nlt_f32_e32 vcc, s0, v4
	v_cndmask_b32_e32 v4, v8, v7, vcc
	v_fmac_f32_e32 v4, v2, v1
	v_mul_u32_u24_e32 v1, 0x10001, v6
	v_mov_b32_e32 v2, v4
	v_pk_mul_f16 v43, v43, v1
	v_pk_mul_f16 v44, v44, v1
	v_mov_b32_e32 v1, v5
.LBB74_9:
	v_div_scale_f32 v4, s[0:1], v2, v2, 1.0
	v_div_scale_f32 v6, vcc, 1.0, v2, 1.0
	s_mul_i32 s33, s33, s2
	s_load_dword s4, s[4:5], 0xd4
	v_cmp_eq_u32_e64 s[0:1], 0, v0
	v_add_u32_e32 v0, s33, v21
	v_mov_b32_e32 v5, 0
	v_cvt_f32_f16_e32 v10, v44
	v_cvt_f32_f16_sdwa v11, v44 dst_sel:DWORD dst_unused:UNUSED_PAD src0_sel:WORD_1
	s_waitcnt lgkmcnt(0)
	s_cmp_lg_u32 s4, 1
	v_rcp_f32_e32 v7, v4
	v_fma_f32 v8, -v4, v7, 1.0
	v_fmac_f32_e32 v7, v8, v7
	v_mul_f32_e32 v8, v6, v7
	v_fma_f32 v9, -v4, v8, v6
	v_fmac_f32_e32 v8, v9, v7
	v_fma_f32 v4, -v4, v8, v6
	v_div_fmas_f32 v6, v4, v7, v8
	v_mad_u64_u32 v[3:4], s[2:3], v0, s3, v[3:4]
	v_cvt_f32_f16_e32 v0, v43
	v_cvt_f32_f16_sdwa v7, v43 dst_sel:DWORD dst_unused:UNUSED_PAD src0_sel:WORD_1
	v_mul_lo_u32 v3, s4, v3
	s_cselect_b64 s[2:3], -1, 0
	v_mov_b32_e32 v9, s21
	s_and_b64 s[0:1], s[0:1], s[2:3]
	v_add_u32_e32 v3, s7, v3
	v_lshl_add_u32 v4, v3, 7, v23
	v_lshlrev_b64 v[4:5], 2, v[4:5]
	v_add_co_u32_e32 v8, vcc, s20, v4
	v_addc_co_u32_e32 v9, vcc, v9, v5, vcc
	v_div_fixup_f32 v4, v6, v2, 1.0
	v_cndmask_b32_e64 v12, v4, 1.0, s[2:3]
	v_mul_f32_e32 v4, v12, v0
	v_mul_f32_e32 v5, v12, v7
	;; [unrolled: 1-line block ×4, first 2 shown]
	global_store_dwordx4 v[8:9], v[4:7], off
	s_and_saveexec_b64 s[2:3], s[0:1]
	s_cbranch_execz .LBB74_11
; %bb.10:
	v_ashrrev_i32_e32 v4, 31, v3
	v_lshlrev_b64 v[3:4], 3, v[3:4]
	v_mov_b32_e32 v0, s23
	v_add_co_u32_e32 v3, vcc, s22, v3
	v_addc_co_u32_e32 v4, vcc, v0, v4, vcc
	global_store_dwordx2 v[3:4], v[1:2], off
.LBB74_11:
	s_endpgm
.LBB74_12:
                                        ; implicit-def: $vgpr26
                                        ; implicit-def: $vgpr48
                                        ; implicit-def: $vgpr47
                                        ; implicit-def: $vgpr20
                                        ; implicit-def: $vgpr19
                                        ; implicit-def: $vgpr49
                                        ; implicit-def: $vgpr50
	v_lshlrev_b32_e32 v23, 2, v0
.LBB74_13:
	s_sub_i32 s0, 0, s36
	s_mul_i32 s0, s0, s38
	s_mul_hi_u32 s0, s38, s0
	s_add_i32 s38, s38, s0
	s_load_dwordx4 s[24:27], s[4:5], 0x98
	s_load_dword s14, s[4:5], 0x54
	s_load_dwordx2 s[0:1], s[4:5], 0x8c
	s_abs_i32 s19, s29
	s_mul_hi_u32 s34, s19, s38
	s_waitcnt lgkmcnt(0)
	s_ashr_i32 s15, s26, 2
	s_ashr_i32 s26, s35, 1
	;; [unrolled: 1-line block ×4, first 2 shown]
	s_mul_hi_u32 s35, s24, s33
	s_mul_i32 s39, s24, s0
	s_add_i32 s35, s35, s39
	s_mul_i32 s25, s25, s33
	s_ashr_i32 s38, s29, 31
	s_ashr_i32 s37, s37, 31
	s_add_i32 s35, s35, s25
	s_mul_i32 s24, s24, s33
	s_add_u32 s10, s10, s24
	s_mul_i32 s25, s34, s36
	s_addc_u32 s11, s11, s35
	s_sub_i32 s19, s19, s25
	s_xor_b32 s24, s38, s37
	s_add_i32 s25, s34, 1
	s_sub_i32 s35, s19, s36
	s_cmp_ge_u32 s19, s36
	s_cselect_b32 s25, s25, s34
	s_cselect_b32 s19, s35, s19
	s_add_i32 s34, s25, 1
	s_cmp_ge_u32 s19, s36
	s_load_dwordx2 s[8:9], s[4:5], 0xa8
	s_cselect_b32 s19, s34, s25
	s_xor_b32 s19, s19, s24
	s_sub_i32 s19, s19, s24
	s_mul_i32 s1, s19, s1
	s_ashr_i32 s24, s1, 31
	s_add_u32 s10, s10, s1
	s_waitcnt lgkmcnt(0)
	s_mul_hi_u32 s1, s8, s33
	s_mul_i32 s0, s8, s0
	s_addc_u32 s11, s11, s24
	s_add_i32 s0, s1, s0
	s_mul_i32 s1, s9, s33
	s_add_i32 s0, s0, s1
	s_mul_i32 s1, s8, s33
	v_lshrrev_b32_e32 v3, 4, v0
	s_add_u32 s1, s12, s1
	s_mul_i32 s19, s19, s27
	v_lshl_add_u32 v13, v1, 1, v3
	s_addc_u32 s0, s13, s0
	s_ashr_i32 s8, s19, 31
	v_mul_lo_u32 v4, s18, v13
	s_add_u32 s12, s1, s19
	v_and_b32_e32 v20, 60, v23
	s_addc_u32 s13, s0, s8
	v_lshlrev_b32_e32 v14, 2, v20
	s_movk_i32 s0, 0x110
	v_mad_u32_u24 v27, v13, s0, v14
	s_lshl_b32 s0, s18, 4
	v_add_u32_e32 v6, s0, v4
	v_mul_lo_u32 v12, s15, v13
	v_add_u32_e32 v8, s0, v6
	v_add_u32_e32 v10, s0, v8
	v_mad_u64_u32 v[2:3], s[0:1], v2, s26, v[0:1]
	s_lshl_b32 s0, s15, 4
	v_lshl_or_b32 v34, v13, 8, v14
	v_add_u32_e32 v14, s0, v12
	v_add_u32_e32 v16, s0, v14
	;; [unrolled: 1-line block ×3, first 2 shown]
	v_ashrrev_i32_e32 v5, 31, v4
	v_ashrrev_i32_e32 v7, 31, v6
	;; [unrolled: 1-line block ×4, first 2 shown]
	v_mov_b32_e32 v3, 0x4c00
	v_ashrrev_i32_e32 v13, 31, v12
	v_ashrrev_i32_e32 v15, 31, v14
	;; [unrolled: 1-line block ×4, first 2 shown]
	v_lshl_add_u32 v32, v1, 7, v3
	s_add_u32 s0, s4, 0xd0
	v_lshlrev_b64 v[3:4], 2, v[4:5]
	v_lshlrev_b64 v[5:6], 2, v[6:7]
	;; [unrolled: 1-line block ×8, first 2 shown]
	v_mov_b32_e32 v43, 0
	v_add_u32_e32 v28, 0x1100, v27
	v_add_u32_e32 v29, 0x2200, v27
	;; [unrolled: 1-line block ×3, first 2 shown]
	v_mul_u32_u24_e32 v31, 0x110, v0
	v_lshl_add_u32 v33, v0, 1, v32
	v_add_u32_e32 v35, 0x1000, v34
	v_add_u32_e32 v36, 0x2000, v34
	v_add_u32_e32 v37, 0x3000, v34
	s_addc_u32 s1, s5, 0
	v_mov_b32_e32 v46, 0xfeffffff
	v_lshlrev_b32_e32 v38, 2, v20
	s_mov_b32 s19, 0x3f200000
	s_mov_b32 s24, 0x3fb8aa3b
	;; [unrolled: 1-line block ×4, first 2 shown]
	v_mov_b32_e32 v39, 0xbd5c1c4e
	v_mov_b32_e32 v40, 0x3e088382
	;; [unrolled: 1-line block ×3, first 2 shown]
	s_brev_b32 s27, -2
	s_mov_b32 s34, 0x10001
	v_mov_b32_e32 v42, 0x7f800000
	v_mbcnt_hi_u32_b32 v26, -1, v44
	v_mov_b32_e32 v44, 0
	v_mov_b32_e32 v45, 0
.LBB74_14:                              ; =>This Inner Loop Header: Depth=1
	s_mul_hi_i32 s9, s6, s18
	s_mul_i32 s8, s6, s18
	s_lshl_b64 s[8:9], s[8:9], 2
	s_add_u32 s8, s10, s8
	s_addc_u32 s9, s11, s9
	v_mov_b32_e32 v1, s9
	v_add_co_u32_e32 v19, vcc, s8, v3
	v_addc_co_u32_e32 v1, vcc, v1, v4, vcc
	v_add_co_u32_e32 v19, vcc, v19, v38
	v_addc_co_u32_e32 v20, vcc, 0, v1, vcc
	v_mov_b32_e32 v1, s9
	v_add_co_u32_e32 v47, vcc, s8, v5
	v_addc_co_u32_e32 v1, vcc, v1, v6, vcc
	v_add_co_u32_e32 v55, vcc, v47, v38
	v_addc_co_u32_e32 v56, vcc, 0, v1, vcc
	global_load_dwordx4 v[47:50], v[19:20], off
	global_load_dwordx4 v[51:54], v[55:56], off
	v_mov_b32_e32 v1, s9
	v_add_co_u32_e32 v19, vcc, s8, v7
	v_addc_co_u32_e32 v1, vcc, v1, v8, vcc
	v_add_co_u32_e32 v19, vcc, v19, v38
	v_addc_co_u32_e32 v20, vcc, 0, v1, vcc
	v_mov_b32_e32 v1, s9
	v_add_co_u32_e32 v55, vcc, s8, v9
	v_addc_co_u32_e32 v1, vcc, v1, v10, vcc
	v_add_co_u32_e32 v63, vcc, v55, v38
	v_addc_co_u32_e32 v64, vcc, 0, v1, vcc
	global_load_dwordx4 v[55:58], v[19:20], off
	global_load_dwordx4 v[59:62], v[63:64], off
	v_mov_b32_e32 v1, 0
	s_waitcnt vmcnt(3)
	ds_write_b128 v27, v[47:50]
	s_waitcnt vmcnt(2)
	ds_write_b128 v28, v[51:54]
	;; [unrolled: 2-line block ×4, first 2 shown]
	s_waitcnt lgkmcnt(0)
	s_barrier
	ds_read_b128 v[49:52], v31
	ds_read_b128 v[53:56], v25
	ds_read_b128 v[57:60], v31 offset:8704
	s_waitcnt lgkmcnt(1)
	;;#ASMSTART
	v_dot2_f32_f16 v1, v49, v53, v1
	;;#ASMEND
	;;#ASMSTART
	v_dot2_f32_f16 v1, v50, v54, v1
	;;#ASMEND
	v_mov_b32_e32 v48, 0
	;;#ASMSTART
	v_dot2_f32_f16 v1, v51, v55, v1
	;;#ASMEND
	;;#ASMSTART
	v_dot2_f32_f16 v1, v52, v56, v1
	;;#ASMEND
	s_waitcnt lgkmcnt(0)
	;;#ASMSTART
	v_dot2_f32_f16 v48, v57, v53, v48
	;;#ASMEND
	;;#ASMSTART
	v_dot2_f32_f16 v48, v58, v54, v48
	;;#ASMEND
	;;#ASMSTART
	v_dot2_f32_f16 v48, v59, v55, v48
	;;#ASMEND
	;;#ASMSTART
	v_dot2_f32_f16 v48, v60, v56, v48
	;;#ASMEND
	ds_read_b128 v[49:52], v31 offset:16
	ds_read_b128 v[53:56], v25 offset:16
	ds_read_b128 v[57:60], v31 offset:8720
	s_waitcnt lgkmcnt(1)
	;;#ASMSTART
	v_dot2_f32_f16 v1, v49, v53, v1
	;;#ASMEND
	;;#ASMSTART
	v_dot2_f32_f16 v1, v50, v54, v1
	;;#ASMEND
	;;#ASMSTART
	v_dot2_f32_f16 v1, v51, v55, v1
	;;#ASMEND
	;;#ASMSTART
	v_dot2_f32_f16 v1, v52, v56, v1
	;;#ASMEND
	s_waitcnt lgkmcnt(0)
	;;#ASMSTART
	v_dot2_f32_f16 v48, v57, v53, v48
	;;#ASMEND
	;;#ASMSTART
	v_dot2_f32_f16 v48, v58, v54, v48
	;;#ASMEND
	;;#ASMSTART
	v_dot2_f32_f16 v48, v59, v55, v48
	;;#ASMEND
	;;#ASMSTART
	v_dot2_f32_f16 v48, v60, v56, v48
	;;#ASMEND
	ds_read_b128 v[49:52], v31 offset:32
	ds_read_b128 v[53:56], v25 offset:32
	ds_read_b128 v[57:60], v31 offset:8736
	s_waitcnt lgkmcnt(1)
	;;#ASMSTART
	v_dot2_f32_f16 v1, v49, v53, v1
	;;#ASMEND
	;;#ASMSTART
	v_dot2_f32_f16 v1, v50, v54, v1
	;;#ASMEND
	;;#ASMSTART
	v_dot2_f32_f16 v1, v51, v55, v1
	;;#ASMEND
	;;#ASMSTART
	v_dot2_f32_f16 v1, v52, v56, v1
	;;#ASMEND
	s_waitcnt lgkmcnt(0)
	;;#ASMSTART
	v_dot2_f32_f16 v48, v57, v53, v48
	;;#ASMEND
	;;#ASMSTART
	v_dot2_f32_f16 v48, v58, v54, v48
	;;#ASMEND
	;;#ASMSTART
	v_dot2_f32_f16 v48, v59, v55, v48
	;;#ASMEND
	;;#ASMSTART
	v_dot2_f32_f16 v48, v60, v56, v48
	;;#ASMEND
	ds_read_b128 v[49:52], v31 offset:48
	ds_read_b128 v[53:56], v25 offset:48
	ds_read_b128 v[57:60], v31 offset:8752
	s_waitcnt lgkmcnt(1)
	;;#ASMSTART
	v_dot2_f32_f16 v1, v49, v53, v1
	;;#ASMEND
	;;#ASMSTART
	v_dot2_f32_f16 v1, v50, v54, v1
	;;#ASMEND
	;;#ASMSTART
	v_dot2_f32_f16 v1, v51, v55, v1
	;;#ASMEND
	;;#ASMSTART
	v_dot2_f32_f16 v1, v52, v56, v1
	;;#ASMEND
	s_waitcnt lgkmcnt(0)
	;;#ASMSTART
	v_dot2_f32_f16 v48, v57, v53, v48
	;;#ASMEND
	;;#ASMSTART
	v_dot2_f32_f16 v48, v58, v54, v48
	;;#ASMEND
	;;#ASMSTART
	v_dot2_f32_f16 v48, v59, v55, v48
	;;#ASMEND
	;;#ASMSTART
	v_dot2_f32_f16 v48, v60, v56, v48
	;;#ASMEND
	ds_read_b128 v[49:52], v31 offset:64
	ds_read_b128 v[53:56], v25 offset:64
	ds_read_b128 v[57:60], v31 offset:8768
	s_waitcnt lgkmcnt(1)
	;;#ASMSTART
	v_dot2_f32_f16 v1, v49, v53, v1
	;;#ASMEND
	;;#ASMSTART
	v_dot2_f32_f16 v1, v50, v54, v1
	;;#ASMEND
	;;#ASMSTART
	v_dot2_f32_f16 v1, v51, v55, v1
	;;#ASMEND
	;;#ASMSTART
	v_dot2_f32_f16 v1, v52, v56, v1
	;;#ASMEND
	s_waitcnt lgkmcnt(0)
	;;#ASMSTART
	v_dot2_f32_f16 v48, v57, v53, v48
	;;#ASMEND
	;;#ASMSTART
	v_dot2_f32_f16 v48, v58, v54, v48
	;;#ASMEND
	;;#ASMSTART
	v_dot2_f32_f16 v48, v59, v55, v48
	;;#ASMEND
	;;#ASMSTART
	v_dot2_f32_f16 v48, v60, v56, v48
	;;#ASMEND
	ds_read_b128 v[49:52], v31 offset:80
	ds_read_b128 v[53:56], v25 offset:80
	ds_read_b128 v[57:60], v31 offset:8784
	s_waitcnt lgkmcnt(1)
	;;#ASMSTART
	v_dot2_f32_f16 v1, v49, v53, v1
	;;#ASMEND
	;;#ASMSTART
	v_dot2_f32_f16 v1, v50, v54, v1
	;;#ASMEND
	;;#ASMSTART
	v_dot2_f32_f16 v1, v51, v55, v1
	;;#ASMEND
	;;#ASMSTART
	v_dot2_f32_f16 v1, v52, v56, v1
	;;#ASMEND
	s_waitcnt lgkmcnt(0)
	;;#ASMSTART
	v_dot2_f32_f16 v48, v57, v53, v48
	;;#ASMEND
	;;#ASMSTART
	v_dot2_f32_f16 v48, v58, v54, v48
	;;#ASMEND
	;;#ASMSTART
	v_dot2_f32_f16 v48, v59, v55, v48
	;;#ASMEND
	;;#ASMSTART
	v_dot2_f32_f16 v48, v60, v56, v48
	;;#ASMEND
	ds_read_b128 v[49:52], v31 offset:96
	ds_read_b128 v[53:56], v25 offset:96
	ds_read_b128 v[57:60], v31 offset:8800
	s_waitcnt lgkmcnt(1)
	;;#ASMSTART
	v_dot2_f32_f16 v1, v49, v53, v1
	;;#ASMEND
	;;#ASMSTART
	v_dot2_f32_f16 v1, v50, v54, v1
	;;#ASMEND
	;;#ASMSTART
	v_dot2_f32_f16 v1, v51, v55, v1
	;;#ASMEND
	;;#ASMSTART
	v_dot2_f32_f16 v1, v52, v56, v1
	;;#ASMEND
	s_waitcnt lgkmcnt(0)
	;;#ASMSTART
	v_dot2_f32_f16 v48, v57, v53, v48
	;;#ASMEND
	;;#ASMSTART
	v_dot2_f32_f16 v48, v58, v54, v48
	;;#ASMEND
	;;#ASMSTART
	v_dot2_f32_f16 v48, v59, v55, v48
	;;#ASMEND
	;;#ASMSTART
	v_dot2_f32_f16 v48, v60, v56, v48
	;;#ASMEND
	ds_read_b128 v[49:52], v31 offset:112
	ds_read_b128 v[53:56], v25 offset:112
	ds_read_b128 v[57:60], v31 offset:8816
	s_waitcnt lgkmcnt(1)
	;;#ASMSTART
	v_dot2_f32_f16 v1, v49, v53, v1
	;;#ASMEND
	;;#ASMSTART
	v_dot2_f32_f16 v1, v50, v54, v1
	;;#ASMEND
	;;#ASMSTART
	v_dot2_f32_f16 v1, v51, v55, v1
	;;#ASMEND
	;;#ASMSTART
	v_dot2_f32_f16 v1, v52, v56, v1
	;;#ASMEND
	s_waitcnt lgkmcnt(0)
	;;#ASMSTART
	v_dot2_f32_f16 v48, v57, v53, v48
	;;#ASMEND
	;;#ASMSTART
	v_dot2_f32_f16 v48, v58, v54, v48
	;;#ASMEND
	;;#ASMSTART
	v_dot2_f32_f16 v48, v59, v55, v48
	;;#ASMEND
	;;#ASMSTART
	v_dot2_f32_f16 v48, v60, v56, v48
	;;#ASMEND
	ds_read_b128 v[49:52], v31 offset:128
	ds_read_b128 v[53:56], v25 offset:128
	ds_read_b128 v[57:60], v31 offset:8832
	s_waitcnt lgkmcnt(1)
	;;#ASMSTART
	v_dot2_f32_f16 v1, v49, v53, v1
	;;#ASMEND
	;;#ASMSTART
	v_dot2_f32_f16 v1, v50, v54, v1
	;;#ASMEND
	;;#ASMSTART
	v_dot2_f32_f16 v1, v51, v55, v1
	;;#ASMEND
	;;#ASMSTART
	v_dot2_f32_f16 v1, v52, v56, v1
	;;#ASMEND
	s_waitcnt lgkmcnt(0)
	;;#ASMSTART
	v_dot2_f32_f16 v48, v57, v53, v48
	;;#ASMEND
	;;#ASMSTART
	v_dot2_f32_f16 v48, v58, v54, v48
	;;#ASMEND
	;;#ASMSTART
	v_dot2_f32_f16 v48, v59, v55, v48
	;;#ASMEND
	;;#ASMSTART
	v_dot2_f32_f16 v48, v60, v56, v48
	;;#ASMEND
	ds_read_b128 v[49:52], v31 offset:144
	ds_read_b128 v[53:56], v25 offset:144
	ds_read_b128 v[57:60], v31 offset:8848
	s_waitcnt lgkmcnt(1)
	;;#ASMSTART
	v_dot2_f32_f16 v1, v49, v53, v1
	;;#ASMEND
	;;#ASMSTART
	v_dot2_f32_f16 v1, v50, v54, v1
	;;#ASMEND
	;;#ASMSTART
	v_dot2_f32_f16 v1, v51, v55, v1
	;;#ASMEND
	;;#ASMSTART
	v_dot2_f32_f16 v1, v52, v56, v1
	;;#ASMEND
	s_waitcnt lgkmcnt(0)
	;;#ASMSTART
	v_dot2_f32_f16 v48, v57, v53, v48
	;;#ASMEND
	;;#ASMSTART
	v_dot2_f32_f16 v48, v58, v54, v48
	;;#ASMEND
	;;#ASMSTART
	v_dot2_f32_f16 v48, v59, v55, v48
	;;#ASMEND
	;;#ASMSTART
	v_dot2_f32_f16 v48, v60, v56, v48
	;;#ASMEND
	ds_read_b128 v[49:52], v31 offset:160
	ds_read_b128 v[53:56], v25 offset:160
	ds_read_b128 v[57:60], v31 offset:8864
	s_waitcnt lgkmcnt(1)
	;;#ASMSTART
	v_dot2_f32_f16 v1, v49, v53, v1
	;;#ASMEND
	;;#ASMSTART
	v_dot2_f32_f16 v1, v50, v54, v1
	;;#ASMEND
	;;#ASMSTART
	v_dot2_f32_f16 v1, v51, v55, v1
	;;#ASMEND
	;;#ASMSTART
	v_dot2_f32_f16 v1, v52, v56, v1
	;;#ASMEND
	s_waitcnt lgkmcnt(0)
	;;#ASMSTART
	v_dot2_f32_f16 v48, v57, v53, v48
	;;#ASMEND
	;;#ASMSTART
	v_dot2_f32_f16 v48, v58, v54, v48
	;;#ASMEND
	;;#ASMSTART
	v_dot2_f32_f16 v48, v59, v55, v48
	;;#ASMEND
	;;#ASMSTART
	v_dot2_f32_f16 v48, v60, v56, v48
	;;#ASMEND
	ds_read_b128 v[49:52], v31 offset:176
	ds_read_b128 v[53:56], v25 offset:176
	ds_read_b128 v[57:60], v31 offset:8880
	s_waitcnt lgkmcnt(1)
	;;#ASMSTART
	v_dot2_f32_f16 v1, v49, v53, v1
	;;#ASMEND
	;;#ASMSTART
	v_dot2_f32_f16 v1, v50, v54, v1
	;;#ASMEND
	;;#ASMSTART
	v_dot2_f32_f16 v1, v51, v55, v1
	;;#ASMEND
	;;#ASMSTART
	v_dot2_f32_f16 v1, v52, v56, v1
	;;#ASMEND
	s_waitcnt lgkmcnt(0)
	;;#ASMSTART
	v_dot2_f32_f16 v48, v57, v53, v48
	;;#ASMEND
	;;#ASMSTART
	v_dot2_f32_f16 v48, v58, v54, v48
	;;#ASMEND
	;;#ASMSTART
	v_dot2_f32_f16 v48, v59, v55, v48
	;;#ASMEND
	;;#ASMSTART
	v_dot2_f32_f16 v48, v60, v56, v48
	;;#ASMEND
	ds_read_b128 v[49:52], v31 offset:192
	ds_read_b128 v[53:56], v25 offset:192
	ds_read_b128 v[57:60], v31 offset:8896
	s_waitcnt lgkmcnt(1)
	;;#ASMSTART
	v_dot2_f32_f16 v1, v49, v53, v1
	;;#ASMEND
	;;#ASMSTART
	v_dot2_f32_f16 v1, v50, v54, v1
	;;#ASMEND
	;;#ASMSTART
	v_dot2_f32_f16 v1, v51, v55, v1
	;;#ASMEND
	;;#ASMSTART
	v_dot2_f32_f16 v1, v52, v56, v1
	;;#ASMEND
	s_waitcnt lgkmcnt(0)
	;;#ASMSTART
	v_dot2_f32_f16 v48, v57, v53, v48
	;;#ASMEND
	;;#ASMSTART
	v_dot2_f32_f16 v48, v58, v54, v48
	;;#ASMEND
	;;#ASMSTART
	v_dot2_f32_f16 v48, v59, v55, v48
	;;#ASMEND
	;;#ASMSTART
	v_dot2_f32_f16 v48, v60, v56, v48
	;;#ASMEND
	ds_read_b128 v[49:52], v31 offset:208
	ds_read_b128 v[53:56], v25 offset:208
	ds_read_b128 v[57:60], v31 offset:8912
	s_waitcnt lgkmcnt(1)
	;;#ASMSTART
	v_dot2_f32_f16 v1, v49, v53, v1
	;;#ASMEND
	;;#ASMSTART
	v_dot2_f32_f16 v1, v50, v54, v1
	;;#ASMEND
	;;#ASMSTART
	v_dot2_f32_f16 v1, v51, v55, v1
	;;#ASMEND
	;;#ASMSTART
	v_dot2_f32_f16 v1, v52, v56, v1
	;;#ASMEND
	s_waitcnt lgkmcnt(0)
	;;#ASMSTART
	v_dot2_f32_f16 v48, v57, v53, v48
	;;#ASMEND
	;;#ASMSTART
	v_dot2_f32_f16 v48, v58, v54, v48
	;;#ASMEND
	;;#ASMSTART
	v_dot2_f32_f16 v48, v59, v55, v48
	;;#ASMEND
	;;#ASMSTART
	v_dot2_f32_f16 v48, v60, v56, v48
	;;#ASMEND
	ds_read_b128 v[49:52], v31 offset:224
	ds_read_b128 v[53:56], v25 offset:224
	ds_read_b128 v[57:60], v31 offset:8928
	s_waitcnt lgkmcnt(1)
	;;#ASMSTART
	v_dot2_f32_f16 v1, v49, v53, v1
	;;#ASMEND
	;;#ASMSTART
	v_dot2_f32_f16 v1, v50, v54, v1
	;;#ASMEND
	;;#ASMSTART
	v_dot2_f32_f16 v1, v51, v55, v1
	;;#ASMEND
	;;#ASMSTART
	v_dot2_f32_f16 v1, v52, v56, v1
	;;#ASMEND
	s_waitcnt lgkmcnt(0)
	;;#ASMSTART
	v_dot2_f32_f16 v48, v57, v53, v48
	;;#ASMEND
	;;#ASMSTART
	v_dot2_f32_f16 v48, v58, v54, v48
	;;#ASMEND
	;;#ASMSTART
	v_dot2_f32_f16 v48, v59, v55, v48
	;;#ASMEND
	;;#ASMSTART
	v_dot2_f32_f16 v48, v60, v56, v48
	;;#ASMEND
	ds_read_b128 v[49:52], v31 offset:240
	ds_read_b128 v[53:56], v25 offset:240
	ds_read_b128 v[57:60], v31 offset:8944
	s_waitcnt lgkmcnt(1)
	;;#ASMSTART
	v_dot2_f32_f16 v1, v49, v53, v1
	;;#ASMEND
	;;#ASMSTART
	v_dot2_f32_f16 v1, v50, v54, v1
	;;#ASMEND
	;;#ASMSTART
	v_dot2_f32_f16 v1, v51, v55, v1
	;;#ASMEND
	;;#ASMSTART
	v_dot2_f32_f16 v1, v52, v56, v1
	;;#ASMEND
	s_waitcnt lgkmcnt(0)
	;;#ASMSTART
	v_dot2_f32_f16 v48, v57, v53, v48
	;;#ASMEND
	;;#ASMSTART
	v_dot2_f32_f16 v48, v58, v54, v48
	;;#ASMEND
	;; [unrolled: 3-line block ×3, first 2 shown]
	v_cmp_nlt_f32_e64 s[8:9], |v1|, s19
	;;#ASMSTART
	v_dot2_f32_f16 v48, v60, v56, v48
	;;#ASMEND
                                        ; implicit-def: $vgpr47
	s_and_saveexec_b64 s[36:37], s[8:9]
	s_xor_b64 s[8:9], exec, s[36:37]
	s_cbranch_execz .LBB74_16
; %bb.15:                               ;   in Loop: Header=BB74_14 Depth=1
	v_add_f32_e64 v19, |v1|, |v1|
	v_mul_f32_e32 v20, 0x3fb8aa3b, v19
	v_rndne_f32_e32 v47, v20
	v_sub_f32_e32 v49, v20, v47
	v_fma_f32 v20, v19, s24, -v20
	v_fmac_f32_e32 v20, 0x32a5705f, v19
	v_add_f32_e32 v20, v49, v20
	v_cvt_i32_f32_e32 v47, v47
	v_exp_f32_e32 v20, v20
	v_cmp_ngt_f32_e32 vcc, s25, v19
	v_ldexp_f32 v20, v20, v47
	v_cndmask_b32_e32 v20, 0, v20, vcc
	v_cmp_nlt_f32_e32 vcc, s26, v19
	v_cndmask_b32_e32 v19, v42, v20, vcc
	v_add_f32_e32 v19, 1.0, v19
	v_rcp_f32_e32 v19, v19
	v_fma_f32 v47, v19, -2.0, 1.0
.LBB74_16:                              ;   in Loop: Header=BB74_14 Depth=1
	s_andn2_saveexec_b64 s[8:9], s[8:9]
; %bb.17:                               ;   in Loop: Header=BB74_14 Depth=1
	v_mul_f32_e32 v19, v1, v1
	v_mov_b32_e32 v20, 0x3ca908c9
	v_fmac_f32_e32 v20, 0xbbbac73d, v19
	v_fma_f32 v20, v19, v20, v39
	v_fma_f32 v20, v19, v20, v40
	;; [unrolled: 1-line block ×3, first 2 shown]
	v_mul_f32_e64 v20, |v1|, v20
	v_fma_f32 v47, v19, v20, |v1|
; %bb.18:                               ;   in Loop: Header=BB74_14 Depth=1
	s_or_b64 exec, exec, s[8:9]
	v_add_u32_e32 v19, s6, v2
	v_ashrrev_i32_e32 v20, 31, v19
	v_lshlrev_b64 v[19:20], 1, v[19:20]
	v_mov_b32_e32 v49, s31
	v_add_co_u32_e32 v19, vcc, s30, v19
	v_addc_co_u32_e32 v20, vcc, v49, v20, vcc
	global_load_ushort v49, v[19:20], off
	v_cmp_nlt_f32_e64 s[8:9], |v48|, s19
                                        ; implicit-def: $vgpr50
	s_and_saveexec_b64 s[36:37], s[8:9]
	s_xor_b64 s[8:9], exec, s[36:37]
	s_cbranch_execz .LBB74_20
; %bb.19:                               ;   in Loop: Header=BB74_14 Depth=1
	v_add_f32_e64 v50, |v48|, |v48|
	v_mul_f32_e32 v51, 0x3fb8aa3b, v50
	v_rndne_f32_e32 v52, v51
	v_sub_f32_e32 v53, v51, v52
	v_fma_f32 v51, v50, s24, -v51
	v_fmac_f32_e32 v51, 0x32a5705f, v50
	v_add_f32_e32 v51, v53, v51
	v_cvt_i32_f32_e32 v52, v52
	v_exp_f32_e32 v51, v51
	v_cmp_ngt_f32_e32 vcc, s25, v50
	v_ldexp_f32 v51, v51, v52
	v_cndmask_b32_e32 v51, 0, v51, vcc
	v_cmp_nlt_f32_e32 vcc, s26, v50
	v_cndmask_b32_e32 v50, v42, v51, vcc
	v_add_f32_e32 v50, 1.0, v50
	v_rcp_f32_e32 v50, v50
	v_fma_f32 v50, v50, -2.0, 1.0
.LBB74_20:                              ;   in Loop: Header=BB74_14 Depth=1
	s_andn2_saveexec_b64 s[8:9], s[8:9]
; %bb.21:                               ;   in Loop: Header=BB74_14 Depth=1
	v_mul_f32_e32 v50, v48, v48
	v_mov_b32_e32 v51, 0x3ca908c9
	v_fmac_f32_e32 v51, 0xbbbac73d, v50
	v_fma_f32 v51, v50, v51, v39
	v_fma_f32 v51, v50, v51, v40
	;; [unrolled: 1-line block ×3, first 2 shown]
	v_mul_f32_e64 v51, |v48|, v51
	v_fma_f32 v50, v50, v51, |v48|
; %bb.22:                               ;   in Loop: Header=BB74_14 Depth=1
	s_or_b64 exec, exec, s[8:9]
	global_load_ushort v51, v[19:20], off offset:64
	v_and_b32_e32 v52, 0x60, v26
	s_mul_hi_i32 s9, s6, s15
	s_mul_i32 s8, s6, s15
	v_xor_b32_e32 v20, 8, v26
	v_bfi_b32 v53, s27, v50, v48
	v_add_u32_e32 v48, 32, v52
	s_lshl_b64 s[8:9], s[8:9], 2
	v_bfi_b32 v1, s27, v47, v1
	v_xor_b32_e32 v47, 16, v26
	v_cmp_lt_i32_e32 vcc, v20, v48
	s_add_u32 s8, s12, s8
	s_waitcnt vmcnt(1)
	v_fma_mix_f32 v68, s14, v1, v49 op_sel_hi:[0,0,1]
	v_cndmask_b32_e32 v49, v26, v20, vcc
	v_cmp_lt_i32_e32 vcc, v47, v48
	s_addc_u32 s9, s13, s9
	v_cndmask_b32_e32 v50, v26, v47, vcc
	v_lshlrev_b32_e32 v62, 2, v49
	v_mov_b32_e32 v49, s9
	v_add_co_u32_e32 v56, vcc, s8, v11
	v_addc_co_u32_e32 v57, vcc, v49, v12, vcc
	v_lshlrev_b32_e32 v52, 2, v50
	v_mov_b32_e32 v50, s9
	v_add_co_u32_e32 v58, vcc, s8, v13
	v_addc_co_u32_e32 v59, vcc, v50, v14, vcc
	v_mov_b32_e32 v54, s9
	v_add_co_u32_e32 v60, vcc, s8, v15
	v_addc_co_u32_e32 v54, vcc, v54, v16, vcc
	;; [unrolled: 3-line block ×3, first 2 shown]
	v_add_f32_e32 v1, 0x40051340, v68
	v_add_co_u32_e32 v49, vcc, v56, v38
	v_addc_co_u32_e32 v50, vcc, 0, v57, vcc
	v_add_co_u32_e32 v56, vcc, v58, v38
	v_addc_co_u32_e32 v57, vcc, 0, v59, vcc
	;; [unrolled: 2-line block ×3, first 2 shown]
	v_add_co_u32_e32 v64, vcc, v63, v38
	s_waitcnt vmcnt(0)
	s_barrier
	v_addc_co_u32_e32 v65, vcc, 0, v55, vcc
	v_xor_b32_e32 v19, 4, v26
	v_cmp_lt_i32_e32 vcc, v19, v48
	v_fma_mix_f32 v51, s14, v53, v51 op_sel_hi:[0,0,1]
	v_add_f32_e32 v53, 0x40051340, v51
	v_max3_f32 v1, v46, v1, v53
	ds_bpermute_b32 v66, v52, v1
	global_load_dwordx4 v[52:55], v[49:50], off
	s_nop 0
	global_load_dwordx4 v[56:59], v[56:57], off
	v_cndmask_b32_e32 v50, v26, v19, vcc
	v_lshlrev_b32_e32 v50, 2, v50
	s_waitcnt lgkmcnt(0)
	v_max_f32_e32 v49, v66, v66
	v_max_f32_e32 v1, v1, v49
	ds_bpermute_b32 v49, v62, v1
	global_load_dwordx4 v[60:63], v[60:61], off
	s_nop 0
	global_load_dwordx4 v[64:67], v[64:65], off
	s_waitcnt lgkmcnt(0)
	v_max_f32_e32 v49, v49, v49
	v_max_f32_e32 v1, v1, v49
	ds_bpermute_b32 v50, v50, v1
	v_xor_b32_e32 v49, 2, v26
	v_cmp_lt_i32_e32 vcc, v49, v48
	v_cndmask_b32_e32 v69, v26, v49, vcc
	v_lshlrev_b32_e32 v69, 2, v69
	s_waitcnt lgkmcnt(0)
	v_max_f32_e32 v50, v50, v50
	v_max_f32_e32 v1, v1, v50
	ds_bpermute_b32 v69, v69, v1
	v_xor_b32_e32 v50, 1, v26
	v_cmp_lt_i32_e32 vcc, v50, v48
	v_cndmask_b32_e32 v70, v26, v50, vcc
	v_lshlrev_b32_e32 v70, 2, v70
	s_waitcnt lgkmcnt(0)
	v_max_f32_e32 v69, v69, v69
	v_max_f32_e32 v1, v1, v69
	ds_bpermute_b32 v69, v70, v1
	s_waitcnt lgkmcnt(0)
	v_max_f32_e32 v69, v69, v69
	v_max_f32_e32 v1, v1, v69
	v_sub_f32_e32 v68, v68, v1
	v_sub_f32_e32 v51, v51, v1
	v_mul_f32_e32 v69, 0x3fb8aa3b, v68
	v_mul_f32_e32 v70, 0x3fb8aa3b, v51
	v_fma_f32 v72, v68, s24, -v69
	v_rndne_f32_e32 v73, v69
	v_fma_f32 v74, v51, s24, -v70
	v_rndne_f32_e32 v75, v70
	v_fmac_f32_e32 v72, 0x32a5705f, v68
	v_sub_f32_e32 v69, v69, v73
	v_sub_f32_e32 v46, v46, v1
	v_fmac_f32_e32 v74, 0x32a5705f, v51
	v_sub_f32_e32 v70, v70, v75
	v_add_f32_e32 v69, v69, v72
	v_mul_f32_e32 v71, 0x3fb8aa3b, v46
	v_cvt_i32_f32_e32 v73, v73
	v_add_f32_e32 v70, v70, v74
	v_exp_f32_e32 v69, v69
	v_fma_f32 v76, v46, s24, -v71
	v_rndne_f32_e32 v77, v71
	v_cvt_i32_f32_e32 v75, v75
	v_exp_f32_e32 v70, v70
	v_fmac_f32_e32 v76, 0x32a5705f, v46
	v_sub_f32_e32 v71, v71, v77
	v_add_f32_e32 v71, v71, v76
	v_cvt_i32_f32_e32 v77, v77
	v_exp_f32_e32 v71, v71
	v_ldexp_f32 v69, v69, v73
	v_cmp_ngt_f32_e32 vcc, s25, v68
	v_ldexp_f32 v70, v70, v75
	v_cndmask_b32_e32 v69, 0, v69, vcc
	v_cmp_ngt_f32_e32 vcc, s25, v51
	v_cndmask_b32_e32 v70, 0, v70, vcc
	v_cmp_nlt_f32_e32 vcc, s26, v68
	v_cndmask_b32_e32 v68, v42, v69, vcc
	v_cmp_nlt_f32_e32 vcc, s26, v51
	v_cndmask_b32_e32 v69, v42, v70, vcc
	v_ldexp_f32 v51, v71, v77
	v_cmp_ngt_f32_e32 vcc, s25, v46
	v_cndmask_b32_e32 v51, 0, v51, vcc
	v_cmp_nlt_f32_e32 vcc, s26, v46
	v_cndmask_b32_e32 v46, v42, v51, vcc
	v_cvt_f16_f32_e32 v70, v68
	v_cvt_f16_f32_e32 v71, v46
	v_add_f32_e32 v51, v68, v69
	v_cvt_f16_f32_e32 v68, v69
	v_fmac_f32_e32 v51, v45, v46
	v_mul_u32_u24_e32 v45, 0x10001, v71
	v_add_u32_e32 v72, 0x800, v24
	ds_write_b16 v33, v70
	ds_write_b16 v33, v68 offset:64
	s_waitcnt vmcnt(3)
	ds_write_b128 v34, v[52:55]
	s_waitcnt vmcnt(2)
	ds_write_b128 v35, v[56:59]
	s_waitcnt vmcnt(1)
	ds_write_b128 v36, v[60:63]
	s_waitcnt vmcnt(0)
	ds_write_b128 v37, v[64:67]
	s_waitcnt lgkmcnt(0)
	s_barrier
	ds_read_b128 v[52:55], v32
	ds_read2_b64 v[56:59], v24 offset1:32
	ds_read_b128 v[60:63], v32 offset:16
	ds_read_b128 v[64:67], v32 offset:32
	;; [unrolled: 1-line block ×3, first 2 shown]
	s_waitcnt lgkmcnt(4)
	v_mul_u32_u24_sdwa v46, v52, s34 dst_sel:DWORD dst_unused:UNUSED_PAD src0_sel:WORD_0 src1_sel:DWORD
	s_waitcnt lgkmcnt(3)
	v_pk_mul_f16 v56, v56, v46
	v_pk_fma_f16 v56, v43, v45, v56
	v_pk_mul_f16 v43, v57, v46
	v_pk_fma_f16 v57, v44, v45, v43
	ds_read2_b64 v[43:46], v24 offset0:64 offset1:96
	v_mul_u32_u24_sdwa v52, v52, s34 dst_sel:DWORD dst_unused:UNUSED_PAD src0_sel:WORD_1 src1_sel:DWORD
	v_pk_fma_f16 v56, v58, v52, v56
	v_pk_fma_f16 v52, v59, v52, v57
	v_mul_u32_u24_sdwa v57, v53, s34 dst_sel:DWORD dst_unused:UNUSED_PAD src0_sel:WORD_0 src1_sel:DWORD
	s_waitcnt lgkmcnt(0)
	v_pk_fma_f16 v43, v43, v57, v56
	v_pk_fma_f16 v44, v44, v57, v52
	ds_read2_b64 v[56:59], v24 offset0:128 offset1:160
	v_mul_u32_u24_sdwa v52, v53, s34 dst_sel:DWORD dst_unused:UNUSED_PAD src0_sel:WORD_1 src1_sel:DWORD
	v_pk_fma_f16 v43, v45, v52, v43
	v_pk_fma_f16 v44, v46, v52, v44
	v_mul_u32_u24_sdwa v45, v54, s34 dst_sel:DWORD dst_unused:UNUSED_PAD src0_sel:WORD_0 src1_sel:DWORD
	s_waitcnt lgkmcnt(0)
	v_pk_fma_f16 v52, v56, v45, v43
	v_pk_fma_f16 v53, v57, v45, v44
	ds_read2_b64 v[43:46], v24 offset0:192 offset1:224
	v_mul_u32_u24_sdwa v54, v54, s34 dst_sel:DWORD dst_unused:UNUSED_PAD src0_sel:WORD_1 src1_sel:DWORD
	v_pk_fma_f16 v52, v58, v54, v52
	v_pk_fma_f16 v53, v59, v54, v53
	ds_read2_b64 v[56:59], v72 offset1:32
	v_mul_u32_u24_sdwa v54, v55, s34 dst_sel:DWORD dst_unused:UNUSED_PAD src0_sel:WORD_0 src1_sel:DWORD
	s_waitcnt lgkmcnt(1)
	v_pk_fma_f16 v43, v43, v54, v52
	v_pk_fma_f16 v44, v44, v54, v53
	v_mul_u32_u24_sdwa v52, v55, s34 dst_sel:DWORD dst_unused:UNUSED_PAD src0_sel:WORD_1 src1_sel:DWORD
	v_pk_fma_f16 v43, v45, v52, v43
	v_pk_fma_f16 v44, v46, v52, v44
	v_mul_u32_u24_sdwa v45, v60, s34 dst_sel:DWORD dst_unused:UNUSED_PAD src0_sel:WORD_0 src1_sel:DWORD
	s_waitcnt lgkmcnt(0)
	v_pk_fma_f16 v52, v56, v45, v43
	v_pk_fma_f16 v53, v57, v45, v44
	ds_read2_b64 v[43:46], v72 offset0:64 offset1:96
	v_mul_u32_u24_sdwa v54, v60, s34 dst_sel:DWORD dst_unused:UNUSED_PAD src0_sel:WORD_1 src1_sel:DWORD
	v_pk_fma_f16 v52, v58, v54, v52
	v_pk_fma_f16 v53, v59, v54, v53
	v_mul_u32_u24_sdwa v54, v61, s34 dst_sel:DWORD dst_unused:UNUSED_PAD src0_sel:WORD_0 src1_sel:DWORD
	s_waitcnt lgkmcnt(0)
	v_pk_fma_f16 v43, v43, v54, v52
	v_pk_fma_f16 v44, v44, v54, v53
	ds_read2_b64 v[52:55], v72 offset0:128 offset1:160
	;; [unrolled: 8-line block ×3, first 2 shown]
	v_mul_u32_u24_sdwa v56, v62, s34 dst_sel:DWORD dst_unused:UNUSED_PAD src0_sel:WORD_1 src1_sel:DWORD
	v_pk_fma_f16 v52, v54, v56, v52
	v_pk_fma_f16 v53, v55, v56, v53
	v_mul_u32_u24_sdwa v54, v63, s34 dst_sel:DWORD dst_unused:UNUSED_PAD src0_sel:WORD_0 src1_sel:DWORD
	v_add_u32_e32 v56, 0x1000, v24
	s_waitcnt lgkmcnt(0)
	v_pk_fma_f16 v43, v43, v54, v52
	v_pk_fma_f16 v44, v44, v54, v53
	ds_read2_b64 v[52:55], v56 offset1:32
	v_mul_u32_u24_sdwa v57, v63, s34 dst_sel:DWORD dst_unused:UNUSED_PAD src0_sel:WORD_1 src1_sel:DWORD
	v_pk_fma_f16 v43, v45, v57, v43
	v_pk_fma_f16 v44, v46, v57, v44
	v_mul_u32_u24_sdwa v45, v64, s34 dst_sel:DWORD dst_unused:UNUSED_PAD src0_sel:WORD_0 src1_sel:DWORD
	s_waitcnt lgkmcnt(0)
	v_pk_fma_f16 v52, v52, v45, v43
	v_pk_fma_f16 v53, v53, v45, v44
	ds_read2_b64 v[43:46], v56 offset0:64 offset1:96
	v_mul_u32_u24_sdwa v57, v64, s34 dst_sel:DWORD dst_unused:UNUSED_PAD src0_sel:WORD_1 src1_sel:DWORD
	v_pk_fma_f16 v52, v54, v57, v52
	v_pk_fma_f16 v53, v55, v57, v53
	v_mul_u32_u24_sdwa v54, v65, s34 dst_sel:DWORD dst_unused:UNUSED_PAD src0_sel:WORD_0 src1_sel:DWORD
	s_waitcnt lgkmcnt(0)
	v_pk_fma_f16 v43, v43, v54, v52
	v_pk_fma_f16 v44, v44, v54, v53
	ds_read2_b64 v[52:55], v56 offset0:128 offset1:160
	;; [unrolled: 8-line block ×3, first 2 shown]
	v_mul_u32_u24_sdwa v56, v66, s34 dst_sel:DWORD dst_unused:UNUSED_PAD src0_sel:WORD_1 src1_sel:DWORD
	v_pk_fma_f16 v52, v54, v56, v52
	v_pk_fma_f16 v53, v55, v56, v53
	v_mul_u32_u24_sdwa v54, v67, s34 dst_sel:DWORD dst_unused:UNUSED_PAD src0_sel:WORD_0 src1_sel:DWORD
	v_add_u32_e32 v56, 0x1800, v24
	s_waitcnt lgkmcnt(0)
	v_pk_fma_f16 v43, v43, v54, v52
	v_pk_fma_f16 v44, v44, v54, v53
	ds_read2_b64 v[52:55], v56 offset1:32
	v_mul_u32_u24_sdwa v57, v67, s34 dst_sel:DWORD dst_unused:UNUSED_PAD src0_sel:WORD_1 src1_sel:DWORD
	v_pk_fma_f16 v43, v45, v57, v43
	v_pk_fma_f16 v44, v46, v57, v44
	v_mul_u32_u24_sdwa v45, v68, s34 dst_sel:DWORD dst_unused:UNUSED_PAD src0_sel:WORD_0 src1_sel:DWORD
	s_waitcnt lgkmcnt(0)
	v_pk_fma_f16 v52, v52, v45, v43
	v_pk_fma_f16 v53, v53, v45, v44
	ds_read2_b64 v[43:46], v56 offset0:64 offset1:96
	v_mul_u32_u24_sdwa v57, v68, s34 dst_sel:DWORD dst_unused:UNUSED_PAD src0_sel:WORD_1 src1_sel:DWORD
	v_pk_fma_f16 v52, v54, v57, v52
	v_pk_fma_f16 v53, v55, v57, v53
	v_mul_u32_u24_sdwa v54, v69, s34 dst_sel:DWORD dst_unused:UNUSED_PAD src0_sel:WORD_0 src1_sel:DWORD
	s_waitcnt lgkmcnt(0)
	v_pk_fma_f16 v43, v43, v54, v52
	v_pk_fma_f16 v44, v44, v54, v53
	ds_read2_b64 v[52:55], v56 offset0:128 offset1:160
	;; [unrolled: 8-line block ×3, first 2 shown]
	v_mul_u32_u24_sdwa v56, v70, s34 dst_sel:DWORD dst_unused:UNUSED_PAD src0_sel:WORD_1 src1_sel:DWORD
	v_pk_fma_f16 v52, v54, v56, v52
	v_pk_fma_f16 v53, v55, v56, v53
	v_mul_u32_u24_sdwa v54, v71, s34 dst_sel:DWORD dst_unused:UNUSED_PAD src0_sel:WORD_0 src1_sel:DWORD
	s_waitcnt lgkmcnt(0)
	v_pk_fma_f16 v43, v43, v54, v52
	v_pk_fma_f16 v44, v44, v54, v53
	v_add_u32_e32 v64, 0x2000, v24
	ds_read_b128 v[52:55], v32 offset:64
	ds_read2_b64 v[56:59], v64 offset1:32
	v_mul_u32_u24_sdwa v60, v71, s34 dst_sel:DWORD dst_unused:UNUSED_PAD src0_sel:WORD_1 src1_sel:DWORD
	v_pk_fma_f16 v61, v45, v60, v43
	v_pk_fma_f16 v60, v46, v60, v44
	s_waitcnt lgkmcnt(1)
	v_mul_u32_u24_sdwa v62, v52, s34 dst_sel:DWORD dst_unused:UNUSED_PAD src0_sel:WORD_0 src1_sel:DWORD
	s_waitcnt lgkmcnt(0)
	v_pk_fma_f16 v56, v56, v62, v61
	v_pk_fma_f16 v57, v57, v62, v60
	ds_read2_b64 v[60:63], v64 offset0:64 offset1:96
	v_mul_u32_u24_sdwa v52, v52, s34 dst_sel:DWORD dst_unused:UNUSED_PAD src0_sel:WORD_1 src1_sel:DWORD
	v_pk_fma_f16 v56, v58, v52, v56
	v_pk_fma_f16 v52, v59, v52, v57
	v_mul_u32_u24_sdwa v57, v53, s34 dst_sel:DWORD dst_unused:UNUSED_PAD src0_sel:WORD_0 src1_sel:DWORD
	s_waitcnt lgkmcnt(0)
	v_pk_fma_f16 v60, v60, v57, v56
	v_pk_fma_f16 v52, v61, v57, v52
	ds_read2_b64 v[56:59], v64 offset0:128 offset1:160
	v_mul_u32_u24_sdwa v53, v53, s34 dst_sel:DWORD dst_unused:UNUSED_PAD src0_sel:WORD_1 src1_sel:DWORD
	v_pk_fma_f16 v60, v62, v53, v60
	v_pk_fma_f16 v52, v63, v53, v52
	v_mul_u32_u24_sdwa v53, v54, s34 dst_sel:DWORD dst_unused:UNUSED_PAD src0_sel:WORD_0 src1_sel:DWORD
	s_waitcnt lgkmcnt(0)
	v_pk_fma_f16 v56, v56, v53, v60
	ds_read2_b64 v[60:63], v64 offset0:192 offset1:224
	v_pk_fma_f16 v52, v57, v53, v52
	v_mul_u32_u24_sdwa v53, v54, s34 dst_sel:DWORD dst_unused:UNUSED_PAD src0_sel:WORD_1 src1_sel:DWORD
	v_pk_fma_f16 v54, v58, v53, v56
	v_pk_fma_f16 v52, v59, v53, v52
	v_mul_u32_u24_sdwa v53, v55, s34 dst_sel:DWORD dst_unused:UNUSED_PAD src0_sel:WORD_0 src1_sel:DWORD
	ds_read_b128 v[43:46], v32 offset:80
	s_waitcnt lgkmcnt(1)
	v_pk_fma_f16 v54, v60, v53, v54
	v_add_u32_e32 v60, 0x2800, v24
	ds_read2_b64 v[56:59], v60 offset1:32
	v_pk_fma_f16 v52, v61, v53, v52
	v_mul_u32_u24_sdwa v53, v55, s34 dst_sel:DWORD dst_unused:UNUSED_PAD src0_sel:WORD_1 src1_sel:DWORD
	v_pk_fma_f16 v54, v62, v53, v54
	v_pk_fma_f16 v52, v63, v53, v52
	s_waitcnt lgkmcnt(1)
	v_mul_u32_u24_sdwa v53, v43, s34 dst_sel:DWORD dst_unused:UNUSED_PAD src0_sel:WORD_0 src1_sel:DWORD
	s_waitcnt lgkmcnt(0)
	v_pk_fma_f16 v56, v56, v53, v54
	v_pk_fma_f16 v57, v57, v53, v52
	ds_read2_b64 v[52:55], v60 offset0:64 offset1:96
	v_mul_u32_u24_sdwa v43, v43, s34 dst_sel:DWORD dst_unused:UNUSED_PAD src0_sel:WORD_1 src1_sel:DWORD
	v_pk_fma_f16 v56, v58, v43, v56
	v_pk_fma_f16 v43, v59, v43, v57
	v_mul_u32_u24_sdwa v57, v44, s34 dst_sel:DWORD dst_unused:UNUSED_PAD src0_sel:WORD_0 src1_sel:DWORD
	s_waitcnt lgkmcnt(0)
	v_pk_fma_f16 v52, v52, v57, v56
	v_pk_fma_f16 v43, v53, v57, v43
	ds_read2_b64 v[56:59], v60 offset0:128 offset1:160
	v_mul_u32_u24_sdwa v44, v44, s34 dst_sel:DWORD dst_unused:UNUSED_PAD src0_sel:WORD_1 src1_sel:DWORD
	v_pk_fma_f16 v52, v54, v44, v52
	v_pk_fma_f16 v43, v55, v44, v43
	v_mul_u32_u24_sdwa v44, v45, s34 dst_sel:DWORD dst_unused:UNUSED_PAD src0_sel:WORD_0 src1_sel:DWORD
	s_waitcnt lgkmcnt(0)
	v_pk_fma_f16 v56, v56, v44, v52
	ds_read2_b64 v[52:55], v60 offset0:192 offset1:224
	v_pk_fma_f16 v43, v57, v44, v43
	v_mul_u32_u24_sdwa v44, v45, s34 dst_sel:DWORD dst_unused:UNUSED_PAD src0_sel:WORD_1 src1_sel:DWORD
	v_pk_fma_f16 v45, v58, v44, v56
	v_pk_fma_f16 v43, v59, v44, v43
	v_mul_u32_u24_sdwa v44, v46, s34 dst_sel:DWORD dst_unused:UNUSED_PAD src0_sel:WORD_0 src1_sel:DWORD
	s_waitcnt lgkmcnt(0)
	v_pk_fma_f16 v52, v52, v44, v45
	v_pk_fma_f16 v53, v53, v44, v43
	v_mul_u32_u24_sdwa v60, v46, s34 dst_sel:DWORD dst_unused:UNUSED_PAD src0_sel:WORD_1 src1_sel:DWORD
	v_add_u32_e32 v64, 0x3000, v24
	ds_read_b128 v[43:46], v32 offset:96
	ds_read2_b64 v[56:59], v64 offset1:32
	v_pk_fma_f16 v61, v54, v60, v52
	v_pk_fma_f16 v60, v55, v60, v53
	ds_read_b128 v[52:55], v32 offset:112
	s_waitcnt lgkmcnt(2)
	v_mul_u32_u24_sdwa v62, v43, s34 dst_sel:DWORD dst_unused:UNUSED_PAD src0_sel:WORD_0 src1_sel:DWORD
	s_waitcnt lgkmcnt(1)
	v_pk_fma_f16 v56, v56, v62, v61
	v_pk_fma_f16 v57, v57, v62, v60
	ds_read2_b64 v[60:63], v64 offset0:64 offset1:96
	v_mul_u32_u24_sdwa v43, v43, s34 dst_sel:DWORD dst_unused:UNUSED_PAD src0_sel:WORD_1 src1_sel:DWORD
	v_pk_fma_f16 v56, v58, v43, v56
	v_pk_fma_f16 v43, v59, v43, v57
	v_mul_u32_u24_sdwa v57, v44, s34 dst_sel:DWORD dst_unused:UNUSED_PAD src0_sel:WORD_0 src1_sel:DWORD
	s_waitcnt lgkmcnt(0)
	v_pk_fma_f16 v60, v60, v57, v56
	v_pk_fma_f16 v43, v61, v57, v43
	ds_read2_b64 v[56:59], v64 offset0:128 offset1:160
	v_mul_u32_u24_sdwa v44, v44, s34 dst_sel:DWORD dst_unused:UNUSED_PAD src0_sel:WORD_1 src1_sel:DWORD
	v_pk_fma_f16 v60, v62, v44, v60
	v_pk_fma_f16 v43, v63, v44, v43
	v_mul_u32_u24_sdwa v44, v45, s34 dst_sel:DWORD dst_unused:UNUSED_PAD src0_sel:WORD_0 src1_sel:DWORD
	s_waitcnt lgkmcnt(0)
	v_pk_fma_f16 v56, v56, v44, v60
	ds_read2_b64 v[60:63], v64 offset0:192 offset1:224
	v_pk_fma_f16 v43, v57, v44, v43
	v_mul_u32_u24_sdwa v44, v45, s34 dst_sel:DWORD dst_unused:UNUSED_PAD src0_sel:WORD_1 src1_sel:DWORD
	v_pk_fma_f16 v45, v58, v44, v56
	v_pk_fma_f16 v43, v59, v44, v43
	v_mul_u32_u24_sdwa v44, v46, s34 dst_sel:DWORD dst_unused:UNUSED_PAD src0_sel:WORD_0 src1_sel:DWORD
	s_waitcnt lgkmcnt(0)
	v_pk_fma_f16 v45, v60, v44, v45
	v_add_u32_e32 v60, 0x3800, v24
	ds_read2_b64 v[56:59], v60 offset1:32
	v_pk_fma_f16 v43, v61, v44, v43
	v_mul_u32_u24_sdwa v44, v46, s34 dst_sel:DWORD dst_unused:UNUSED_PAD src0_sel:WORD_1 src1_sel:DWORD
	v_pk_fma_f16 v45, v62, v44, v45
	v_pk_fma_f16 v43, v63, v44, v43
	v_mul_u32_u24_sdwa v44, v52, s34 dst_sel:DWORD dst_unused:UNUSED_PAD src0_sel:WORD_0 src1_sel:DWORD
	s_waitcnt lgkmcnt(0)
	v_pk_fma_f16 v56, v56, v44, v45
	v_pk_fma_f16 v57, v57, v44, v43
	ds_read2_b64 v[43:46], v60 offset0:64 offset1:96
	v_mul_u32_u24_sdwa v52, v52, s34 dst_sel:DWORD dst_unused:UNUSED_PAD src0_sel:WORD_1 src1_sel:DWORD
	v_pk_fma_f16 v56, v58, v52, v56
	v_pk_fma_f16 v52, v59, v52, v57
	v_mul_u32_u24_sdwa v57, v53, s34 dst_sel:DWORD dst_unused:UNUSED_PAD src0_sel:WORD_0 src1_sel:DWORD
	s_waitcnt lgkmcnt(0)
	v_pk_fma_f16 v43, v43, v57, v56
	v_pk_fma_f16 v44, v44, v57, v52
	ds_read2_b64 v[56:59], v60 offset0:128 offset1:160
	v_mul_u32_u24_sdwa v52, v53, s34 dst_sel:DWORD dst_unused:UNUSED_PAD src0_sel:WORD_1 src1_sel:DWORD
	v_pk_fma_f16 v43, v45, v52, v43
	v_pk_fma_f16 v44, v46, v52, v44
	v_mul_u32_u24_sdwa v45, v54, s34 dst_sel:DWORD dst_unused:UNUSED_PAD src0_sel:WORD_0 src1_sel:DWORD
	s_waitcnt lgkmcnt(0)
	v_pk_fma_f16 v43, v56, v45, v43
	v_pk_fma_f16 v44, v57, v45, v44
	v_mul_u32_u24_sdwa v45, v54, s34 dst_sel:DWORD dst_unused:UNUSED_PAD src0_sel:WORD_1 src1_sel:DWORD
	v_pk_fma_f16 v52, v58, v45, v43
	v_pk_fma_f16 v53, v59, v45, v44
	ds_read2_b64 v[43:46], v60 offset0:192 offset1:224
	s_waitcnt lgkmcnt(0)
	s_barrier
	s_load_dword s8, s[0:1], 0x4
	v_mul_u32_u24_sdwa v54, v55, s34 dst_sel:DWORD dst_unused:UNUSED_PAD src0_sel:WORD_0 src1_sel:DWORD
	v_pk_fma_f16 v43, v43, v54, v52
	v_pk_fma_f16 v44, v44, v54, v53
	v_mul_u32_u24_sdwa v52, v55, s34 dst_sel:DWORD dst_unused:UNUSED_PAD src0_sel:WORD_1 src1_sel:DWORD
	s_waitcnt lgkmcnt(0)
	s_lshl_b32 s8, s8, 6
	s_add_i32 s6, s8, s6
	v_pk_fma_f16 v43, v45, v52, v43
	s_cmp_ge_i32 s6, s28
	v_pk_fma_f16 v44, v46, v52, v44
	s_cbranch_scc1 .LBB74_7
; %bb.23:                               ;   in Loop: Header=BB74_14 Depth=1
	v_mov_b32_e32 v46, v1
	v_mov_b32_e32 v45, v51
	s_branch .LBB74_14
	.section	.rodata,"a",@progbits
	.p2align	6, 0x0
	.amdhsa_kernel _ZL15flash_attn_tileILi128ELi128ELi1ELi8ELb1EEvPKcS1_S1_S1_S1_PKiPfP15HIP_vector_typeIfLj2EEffffjfiS5_IjLj3EEiiiiiiiiiiiliiliiiiil
		.amdhsa_group_segment_fixed_size 20480
		.amdhsa_private_segment_fixed_size 0
		.amdhsa_kernarg_size 464
		.amdhsa_user_sgpr_count 6
		.amdhsa_user_sgpr_private_segment_buffer 1
		.amdhsa_user_sgpr_dispatch_ptr 0
		.amdhsa_user_sgpr_queue_ptr 0
		.amdhsa_user_sgpr_kernarg_segment_ptr 1
		.amdhsa_user_sgpr_dispatch_id 0
		.amdhsa_user_sgpr_flat_scratch_init 0
		.amdhsa_user_sgpr_private_segment_size 0
		.amdhsa_uses_dynamic_stack 0
		.amdhsa_system_sgpr_private_segment_wavefront_offset 0
		.amdhsa_system_sgpr_workgroup_id_x 1
		.amdhsa_system_sgpr_workgroup_id_y 1
		.amdhsa_system_sgpr_workgroup_id_z 1
		.amdhsa_system_sgpr_workgroup_info 0
		.amdhsa_system_vgpr_workitem_id 1
		.amdhsa_next_free_vgpr 78
		.amdhsa_next_free_sgpr 98
		.amdhsa_reserve_vcc 1
		.amdhsa_reserve_flat_scratch 0
		.amdhsa_float_round_mode_32 0
		.amdhsa_float_round_mode_16_64 0
		.amdhsa_float_denorm_mode_32 3
		.amdhsa_float_denorm_mode_16_64 3
		.amdhsa_dx10_clamp 1
		.amdhsa_ieee_mode 1
		.amdhsa_fp16_overflow 0
		.amdhsa_exception_fp_ieee_invalid_op 0
		.amdhsa_exception_fp_denorm_src 0
		.amdhsa_exception_fp_ieee_div_zero 0
		.amdhsa_exception_fp_ieee_overflow 0
		.amdhsa_exception_fp_ieee_underflow 0
		.amdhsa_exception_fp_ieee_inexact 0
		.amdhsa_exception_int_div_zero 0
	.end_amdhsa_kernel
	.section	.text._ZL15flash_attn_tileILi128ELi128ELi1ELi8ELb1EEvPKcS1_S1_S1_S1_PKiPfP15HIP_vector_typeIfLj2EEffffjfiS5_IjLj3EEiiiiiiiiiiiliiliiiiil,"axG",@progbits,_ZL15flash_attn_tileILi128ELi128ELi1ELi8ELb1EEvPKcS1_S1_S1_S1_PKiPfP15HIP_vector_typeIfLj2EEffffjfiS5_IjLj3EEiiiiiiiiiiiliiliiiiil,comdat
.Lfunc_end74:
	.size	_ZL15flash_attn_tileILi128ELi128ELi1ELi8ELb1EEvPKcS1_S1_S1_S1_PKiPfP15HIP_vector_typeIfLj2EEffffjfiS5_IjLj3EEiiiiiiiiiiiliiliiiiil, .Lfunc_end74-_ZL15flash_attn_tileILi128ELi128ELi1ELi8ELb1EEvPKcS1_S1_S1_S1_PKiPfP15HIP_vector_typeIfLj2EEffffjfiS5_IjLj3EEiiiiiiiiiiiliiliiiiil
                                        ; -- End function
	.set _ZL15flash_attn_tileILi128ELi128ELi1ELi8ELb1EEvPKcS1_S1_S1_S1_PKiPfP15HIP_vector_typeIfLj2EEffffjfiS5_IjLj3EEiiiiiiiiiiiliiliiiiil.num_vgpr, 78
	.set _ZL15flash_attn_tileILi128ELi128ELi1ELi8ELb1EEvPKcS1_S1_S1_S1_PKiPfP15HIP_vector_typeIfLj2EEffffjfiS5_IjLj3EEiiiiiiiiiiiliiliiiiil.num_agpr, 0
	.set _ZL15flash_attn_tileILi128ELi128ELi1ELi8ELb1EEvPKcS1_S1_S1_S1_PKiPfP15HIP_vector_typeIfLj2EEffffjfiS5_IjLj3EEiiiiiiiiiiiliiliiiiil.numbered_sgpr, 40
	.set _ZL15flash_attn_tileILi128ELi128ELi1ELi8ELb1EEvPKcS1_S1_S1_S1_PKiPfP15HIP_vector_typeIfLj2EEffffjfiS5_IjLj3EEiiiiiiiiiiiliiliiiiil.num_named_barrier, 0
	.set _ZL15flash_attn_tileILi128ELi128ELi1ELi8ELb1EEvPKcS1_S1_S1_S1_PKiPfP15HIP_vector_typeIfLj2EEffffjfiS5_IjLj3EEiiiiiiiiiiiliiliiiiil.private_seg_size, 0
	.set _ZL15flash_attn_tileILi128ELi128ELi1ELi8ELb1EEvPKcS1_S1_S1_S1_PKiPfP15HIP_vector_typeIfLj2EEffffjfiS5_IjLj3EEiiiiiiiiiiiliiliiiiil.uses_vcc, 1
	.set _ZL15flash_attn_tileILi128ELi128ELi1ELi8ELb1EEvPKcS1_S1_S1_S1_PKiPfP15HIP_vector_typeIfLj2EEffffjfiS5_IjLj3EEiiiiiiiiiiiliiliiiiil.uses_flat_scratch, 0
	.set _ZL15flash_attn_tileILi128ELi128ELi1ELi8ELb1EEvPKcS1_S1_S1_S1_PKiPfP15HIP_vector_typeIfLj2EEffffjfiS5_IjLj3EEiiiiiiiiiiiliiliiiiil.has_dyn_sized_stack, 0
	.set _ZL15flash_attn_tileILi128ELi128ELi1ELi8ELb1EEvPKcS1_S1_S1_S1_PKiPfP15HIP_vector_typeIfLj2EEffffjfiS5_IjLj3EEiiiiiiiiiiiliiliiiiil.has_recursion, 0
	.set _ZL15flash_attn_tileILi128ELi128ELi1ELi8ELb1EEvPKcS1_S1_S1_S1_PKiPfP15HIP_vector_typeIfLj2EEffffjfiS5_IjLj3EEiiiiiiiiiiiliiliiiiil.has_indirect_call, 0
	.section	.AMDGPU.csdata,"",@progbits
; Kernel info:
; codeLenInByte = 7228
; TotalNumSgprs: 44
; NumVgprs: 78
; ScratchSize: 0
; MemoryBound: 0
; FloatMode: 240
; IeeeMode: 1
; LDSByteSize: 20480 bytes/workgroup (compile time only)
; SGPRBlocks: 12
; VGPRBlocks: 19
; NumSGPRsForWavesPerEU: 102
; NumVGPRsForWavesPerEU: 78
; Occupancy: 3
; WaveLimiterHint : 1
; COMPUTE_PGM_RSRC2:SCRATCH_EN: 0
; COMPUTE_PGM_RSRC2:USER_SGPR: 6
; COMPUTE_PGM_RSRC2:TRAP_HANDLER: 0
; COMPUTE_PGM_RSRC2:TGID_X_EN: 1
; COMPUTE_PGM_RSRC2:TGID_Y_EN: 1
; COMPUTE_PGM_RSRC2:TGID_Z_EN: 1
; COMPUTE_PGM_RSRC2:TIDIG_COMP_CNT: 1
	.section	.text._ZL15flash_attn_tileILi128ELi128ELi16ELi4ELb1EEvPKcS1_S1_S1_S1_PKiPfP15HIP_vector_typeIfLj2EEffffjfiS5_IjLj3EEiiiiiiiiiiiliiliiiiil,"axG",@progbits,_ZL15flash_attn_tileILi128ELi128ELi16ELi4ELb1EEvPKcS1_S1_S1_S1_PKiPfP15HIP_vector_typeIfLj2EEffffjfiS5_IjLj3EEiiiiiiiiiiiliiliiiiil,comdat
	.globl	_ZL15flash_attn_tileILi128ELi128ELi16ELi4ELb1EEvPKcS1_S1_S1_S1_PKiPfP15HIP_vector_typeIfLj2EEffffjfiS5_IjLj3EEiiiiiiiiiiiliiliiiiil ; -- Begin function _ZL15flash_attn_tileILi128ELi128ELi16ELi4ELb1EEvPKcS1_S1_S1_S1_PKiPfP15HIP_vector_typeIfLj2EEffffjfiS5_IjLj3EEiiiiiiiiiiiliiliiiiil
	.p2align	8
	.type	_ZL15flash_attn_tileILi128ELi128ELi16ELi4ELb1EEvPKcS1_S1_S1_S1_PKiPfP15HIP_vector_typeIfLj2EEffffjfiS5_IjLj3EEiiiiiiiiiiiliiliiiiil,@function
_ZL15flash_attn_tileILi128ELi128ELi16ELi4ELb1EEvPKcS1_S1_S1_S1_PKiPfP15HIP_vector_typeIfLj2EEffffjfiS5_IjLj3EEiiiiiiiiiiiliiliiiiil: ; @_ZL15flash_attn_tileILi128ELi128ELi16ELi4ELb1EEvPKcS1_S1_S1_S1_PKiPfP15HIP_vector_typeIfLj2EEffffjfiS5_IjLj3EEiiiiiiiiiiiliiliiiiil
; %bb.0:
	s_load_dwordx4 s[0:3], s[4:5], 0x5c
	s_load_dwordx2 s[30:31], s[4:5], 0x80
	s_load_dwordx2 s[36:37], s[4:5], 0xb8
	s_mov_b64 s[34:35], 0
	s_waitcnt lgkmcnt(0)
	s_ashr_i32 s9, s3, 31
	s_lshr_b32 s9, s9, 30
	s_add_i32 s9, s3, s9
	s_ashr_i32 s9, s9, 2
	v_cvt_f32_u32_e32 v2, s9
	s_sub_i32 s10, 0, s9
	v_rcp_iflag_f32_e32 v2, v2
	v_mul_f32_e32 v2, 0x4f7ffffe, v2
	v_cvt_u32_f32_e32 v2, v2
	v_readfirstlane_b32 s11, v2
	s_mul_i32 s10, s10, s11
	s_mul_hi_u32 s10, s11, s10
	s_add_i32 s11, s11, s10
	s_mul_hi_u32 s10, s8, s11
	s_mul_i32 s11, s10, s9
	s_sub_i32 s11, s8, s11
	s_add_i32 s12, s10, 1
	s_sub_i32 s13, s11, s9
	s_cmp_ge_u32 s11, s9
	s_cselect_b32 s10, s12, s10
	s_cselect_b32 s11, s13, s11
	s_add_i32 s12, s10, 1
	s_cmp_ge_u32 s11, s9
	s_cselect_b32 s33, s12, s10
	s_abs_i32 s9, s31
	v_cvt_f32_u32_e32 v2, s9
	s_lshl_b32 s8, s8, 2
	s_mul_i32 s12, s33, s3
	s_sub_i32 s13, 0, s9
	v_rcp_iflag_f32_e32 v2, v2
	s_sub_i32 s28, s8, s12
	s_abs_i32 s11, s3
	s_xor_b32 s10, s3, s31
	v_mul_f32_e32 v2, 0x4f7ffffe, v2
	v_cvt_u32_f32_e32 v2, v2
	s_ashr_i32 s10, s10, 31
	v_readfirstlane_b32 s8, v2
	s_mul_i32 s13, s13, s8
	s_mul_hi_u32 s12, s8, s13
	s_add_i32 s8, s8, s12
	s_mul_hi_u32 s8, s11, s8
	s_mul_i32 s12, s8, s9
	s_sub_i32 s11, s11, s12
	s_add_i32 s13, s8, 1
	s_sub_i32 s12, s11, s9
	s_cmp_ge_u32 s11, s9
	s_cselect_b32 s8, s13, s8
	s_cselect_b32 s11, s12, s11
	s_add_i32 s12, s8, 1
	s_cmp_ge_u32 s11, s9
	s_cselect_b32 s8, s12, s8
	s_xor_b32 s8, s8, s10
	s_sub_i32 s31, s8, s10
	s_abs_i32 s29, s31
	v_cvt_f32_u32_e32 v2, s29
	s_load_dwordx16 s[8:23], s[4:5], 0x0
	v_rcp_iflag_f32_e32 v2, v2
	s_waitcnt lgkmcnt(0)
	s_cmp_eq_u64 s[14:15], 0
	v_mul_f32_e32 v2, 0x4f7ffffe, v2
	v_cvt_u32_f32_e32 v2, v2
	v_readfirstlane_b32 s38, v2
	s_cbranch_scc1 .LBB75_2
; %bb.1:
	s_abs_i32 s26, s36
	v_cvt_f32_u32_e32 v2, s26
	s_sub_i32 s35, 0, s26
	s_abs_i32 s34, s33
	s_ashr_i32 s27, s33, 31
	v_rcp_iflag_f32_e32 v2, v2
	s_load_dwordx2 s[24:25], s[4:5], 0xc8
	v_mul_f32_e32 v2, 0x4f7ffffe, v2
	v_cvt_u32_f32_e32 v2, v2
	v_readfirstlane_b32 s36, v2
	s_mul_i32 s35, s35, s36
	s_mul_hi_u32 s35, s36, s35
	s_add_i32 s36, s36, s35
	s_mul_hi_u32 s35, s34, s36
	s_mul_i32 s35, s35, s26
	s_sub_i32 s34, s34, s35
	s_sub_i32 s35, s34, s26
	s_cmp_ge_u32 s34, s26
	s_cselect_b32 s34, s35, s34
	s_sub_i32 s35, s34, s26
	s_cmp_ge_u32 s34, s26
	s_cselect_b32 s26, s35, s34
	s_xor_b32 s26, s26, s27
	s_sub_i32 s26, s26, s27
	s_ashr_i32 s27, s26, 31
	s_waitcnt lgkmcnt(0)
	s_mul_hi_u32 s34, s24, s26
	s_mul_i32 s27, s24, s27
	s_mul_i32 s25, s25, s26
	s_add_i32 s27, s34, s27
	s_add_i32 s27, s27, s25
	s_mul_i32 s24, s24, s26
	s_add_u32 s34, s14, s24
	s_addc_u32 s35, s15, s27
.LBB75_2:
	s_lshl_b32 s14, s6, 4
	v_lshlrev_b32_e32 v42, 1, v1
	s_load_dwordx4 s[24:27], s[4:5], 0x70
	v_add_u32_e32 v43, s14, v42
	v_mul_hi_u32 v2, v43, s0
	v_lshlrev_b32_e32 v6, 4, v0
	v_lshlrev_b32_e32 v11, 3, v1
	s_waitcnt lgkmcnt(0)
	s_mul_i32 s15, s33, s26
	v_add_u32_e32 v2, v43, v2
	s_ashr_i32 s27, s15, 31
	v_lshrrev_b32_e32 v2, s1, v2
	s_mul_i32 s26, s28, s25
	s_add_u32 s8, s8, s15
	v_mul_lo_u32 v2, v2, s2
	s_addc_u32 s9, s9, s27
	s_ashr_i32 s15, s26, 31
	s_add_u32 s26, s8, s26
	s_addc_u32 s27, s9, s15
	s_ashr_i32 s41, s24, 31
	s_mov_b32 s40, s24
	s_lshr_b64 s[8:9], s[40:41], 2
	v_sub_u32_e32 v8, v43, v2
	v_mad_u64_u32 v[2:3], s[42:43], s8, v8, 0
	s_lshr_b32 s15, s41, 2
	v_or_b32_e32 v10, 4, v11
	v_mad_u64_u32 v[3:4], s[40:41], s15, v8, v[3:4]
	v_lshrrev_b32_e32 v39, 2, v10
	v_add_u32_e32 v40, s14, v39
	v_lshlrev_b64 v[12:13], 2, v[2:3]
	v_mov_b32_e32 v2, s27
	v_add_co_u32_e32 v3, vcc, s26, v12
	v_addc_co_u32_e32 v4, vcc, v2, v13, vcc
	v_add_co_u32_e32 v2, vcc, v3, v6
	v_addc_co_u32_e32 v3, vcc, 0, v4, vcc
	global_load_dwordx4 v[2:5], v[2:3], off
	v_mul_hi_u32 v14, v40, s0
	s_mov_b32 s40, s25
	s_ashr_i32 s41, s25, 31
	s_and_b32 s36, s25, -4
	v_add_u32_e32 v14, v40, v14
	v_lshrrev_b32_e32 v14, s1, v14
	s_lshr_b64 s[24:25], s[40:41], 2
	v_mul_lo_u32 v14, v14, s2
	s_add_u32 s36, s26, s36
	s_mul_i32 s39, s41, 12
	s_mul_hi_u32 s40, s24, 12
	s_mul_i32 s42, s24, 12
	s_addc_u32 s41, s27, s41
	s_lshl_b64 s[24:25], s[24:25], 3
	s_load_dword s9, s[4:5], 0x40
	v_mov_b32_e32 v15, s41
	s_add_u32 s43, s26, s24
	v_add_co_u32_e32 v17, vcc, s36, v12
	v_or_b32_e32 v41, 5, v11
	s_addc_u32 s44, s27, s25
	s_add_i32 s40, s40, s39
	v_addc_co_u32_e32 v15, vcc, v15, v13, vcc
	v_lshrrev_b32_e32 v35, 2, v41
	v_sub_u32_e32 v33, v40, v14
	v_mov_b32_e32 v14, s44
	s_add_u32 s39, s26, s42
	v_add_co_u32_e32 v18, vcc, s43, v12
	v_add_u32_e32 v37, s14, v35
	v_mad_u64_u32 v[24:25], s[24:25], s8, v33, 0
	s_addc_u32 s40, s27, s40
	v_addc_co_u32_e32 v14, vcc, v14, v13, vcc
	v_mul_hi_u32 v32, v37, s0
	v_mov_b32_e32 v16, s40
	v_add_co_u32_e32 v12, vcc, s39, v12
	v_addc_co_u32_e32 v13, vcc, v16, v13, vcc
	v_add_co_u32_e32 v26, vcc, v17, v6
	v_addc_co_u32_e32 v27, vcc, 0, v15, vcc
	;; [unrolled: 2-line block ×4, first 2 shown]
	global_load_dwordx4 v[12:15], v[26:27], off
	global_load_dwordx4 v[16:19], v[28:29], off
	;; [unrolled: 1-line block ×3, first 2 shown]
	v_or_b32_e32 v52, 6, v11
	v_lshrrev_b32_e32 v36, 2, v52
	v_add_u32_e32 v38, s14, v36
	v_lshlrev_b32_e32 v7, 3, v0
	v_lshlrev_b32_e32 v9, 11, v1
	v_or_b32_e32 v54, v7, v9
	v_lshl_add_u32 v10, v10, 8, v7
	s_cmp_eq_u64 s[18:19], 0
	s_waitcnt vmcnt(3) lgkmcnt(0)
	v_fma_mixlo_f16 v2, s9, v2, 0
	v_fma_mixlo_f16 v3, s9, v3, 0
	v_lshlrev_b32_e32 v3, 16, v3
	v_and_b32_e32 v2, 0xffff, v2
	v_or_b32_e32 v51, v3, v2
	v_mad_u64_u32 v[2:3], s[24:25], s15, v33, v[25:26]
	v_add_u32_e32 v3, v37, v32
	v_lshrrev_b32_e32 v3, s1, v3
	v_fma_mixlo_f16 v50, s9, v4, 0
	v_mul_lo_u32 v4, v3, s2
	v_mov_b32_e32 v25, v2
	v_lshlrev_b64 v[2:3], 2, v[24:25]
	v_mov_b32_e32 v26, s27
	v_sub_u32_e32 v4, v37, v4
	v_mad_u64_u32 v[24:25], s[24:25], s8, v4, 0
	v_add_co_u32_e32 v27, vcc, s26, v2
	v_mov_b32_e32 v2, v25
	v_addc_co_u32_e32 v26, vcc, v26, v3, vcc
	v_mad_u64_u32 v[2:3], s[24:25], s15, v4, v[2:3]
	v_add_co_u32_e32 v3, vcc, v27, v6
	v_addc_co_u32_e32 v4, vcc, 0, v26, vcc
	v_mov_b32_e32 v25, v2
	v_mul_hi_u32 v26, v38, s0
	v_lshlrev_b64 v[24:25], 2, v[24:25]
	v_mov_b32_e32 v2, s41
	v_add_co_u32_e32 v24, vcc, s36, v24
	v_addc_co_u32_e32 v2, vcc, v2, v25, vcc
	v_add_u32_e32 v25, v38, v26
	v_lshrrev_b32_e32 v25, s1, v25
	v_mul_lo_u32 v34, v25, s2
	v_add_co_u32_e32 v32, vcc, v24, v6
	v_addc_co_u32_e32 v33, vcc, 0, v2, vcc
	global_load_dwordx4 v[24:27], v[3:4], off
	global_load_dwordx4 v[28:31], v[32:33], off
	v_or_b32_e32 v32, 7, v11
	v_sub_u32_e32 v4, v38, v34
	v_lshrrev_b32_e32 v33, 2, v32
	v_mad_u64_u32 v[2:3], s[24:25], s8, v4, 0
	v_add_u32_e32 v34, s14, v33
	v_mul_hi_u32 v44, v34, s0
	v_mad_u64_u32 v[3:4], s[24:25], s15, v4, v[3:4]
	v_fma_mixlo_f16 v53, s9, v5, 0
	v_add_u32_e32 v4, v34, v44
	v_lshrrev_b32_e32 v4, s1, v4
	v_mul_lo_u32 v4, v4, s2
	v_lshlrev_b64 v[2:3], 2, v[2:3]
	v_mov_b32_e32 v44, s44
	v_add_co_u32_e32 v45, vcc, s43, v2
	v_sub_u32_e32 v4, v34, v4
	v_mad_u64_u32 v[48:49], s[24:25], s8, v4, 0
	v_addc_co_u32_e32 v44, vcc, v44, v3, vcc
	v_mov_b32_e32 v2, v49
	v_mad_u64_u32 v[2:3], s[24:25], s15, v4, v[2:3]
	v_add_co_u32_e32 v3, vcc, v45, v6
	v_addc_co_u32_e32 v4, vcc, 0, v44, vcc
	v_mov_b32_e32 v49, v2
	global_load_dwordx4 v[44:47], v[3:4], off
	v_lshlrev_b64 v[2:3], 2, v[48:49]
	v_mov_b32_e32 v4, s40
	v_add_co_u32_e32 v2, vcc, s39, v2
	v_addc_co_u32_e32 v3, vcc, v4, v3, vcc
	v_add_co_u32_e32 v2, vcc, v2, v6
	v_addc_co_u32_e32 v3, vcc, 0, v3, vcc
	global_load_dwordx4 v[2:5], v[2:3], off
	s_waitcnt vmcnt(6)
	v_fma_mixlo_f16 v12, s9, v12, 0
	v_fma_mixlo_f16 v13, s9, v13, 0
	v_lshlrev_b32_e32 v13, 16, v13
	v_and_b32_e32 v12, 0xffff, v12
	v_or_b32_e32 v12, v13, v12
	v_fma_mixlo_f16 v13, s9, v14, 0
	v_fma_mixlo_f16 v14, s9, v15, 0
	v_lshlrev_b32_e32 v48, 16, v53
	v_and_b32_e32 v49, 0xffff, v50
	v_lshlrev_b32_e32 v14, 16, v14
	v_and_b32_e32 v13, 0xffff, v13
	v_or3_b32 v49, v48, v49, 0
	v_or3_b32 v48, 0, 0, v51
	v_or3_b32 v13, v14, v13, 0
	v_or3_b32 v12, 0, 0, v12
	ds_write2_b64 v54, v[48:49], v[12:13] offset1:32
	s_waitcnt vmcnt(5)
	v_fma_mixlo_f16 v12, s9, v16, 0
	v_fma_mixlo_f16 v13, s9, v17, 0
	v_lshlrev_b32_e32 v13, 16, v13
	v_and_b32_e32 v12, 0xffff, v12
	v_or_b32_e32 v12, v13, v12
	v_fma_mixlo_f16 v13, s9, v18, 0
	v_fma_mixlo_f16 v14, s9, v19, 0
	v_lshlrev_b32_e32 v14, 16, v14
	v_and_b32_e32 v13, 0xffff, v13
	v_or3_b32 v13, v14, v13, 0
	s_waitcnt vmcnt(4)
	v_fma_mixlo_f16 v14, s9, v20, 0
	v_fma_mixlo_f16 v15, s9, v21, 0
	v_lshlrev_b32_e32 v15, 16, v15
	v_and_b32_e32 v14, 0xffff, v14
	v_or_b32_e32 v14, v15, v14
	v_fma_mixlo_f16 v15, s9, v22, 0
	v_fma_mixlo_f16 v16, s9, v23, 0
	v_lshlrev_b32_e32 v16, 16, v16
	v_and_b32_e32 v15, 0xffff, v15
	v_or3_b32 v12, 0, 0, v12
	v_or3_b32 v15, v16, v15, 0
	;; [unrolled: 1-line block ×3, first 2 shown]
	ds_write2_b64 v54, v[12:13], v[14:15] offset0:64 offset1:96
	s_waitcnt vmcnt(3)
	v_fma_mixlo_f16 v12, s9, v24, 0
	v_fma_mixlo_f16 v13, s9, v25, 0
	v_lshlrev_b32_e32 v13, 16, v13
	v_and_b32_e32 v12, 0xffff, v12
	v_or_b32_e32 v12, v13, v12
	v_fma_mixlo_f16 v13, s9, v26, 0
	v_fma_mixlo_f16 v14, s9, v27, 0
	v_lshlrev_b32_e32 v14, 16, v14
	v_and_b32_e32 v13, 0xffff, v13
	v_or3_b32 v13, v14, v13, 0
	v_or3_b32 v12, 0, 0, v12
	ds_write_b64 v10, v[12:13]
	s_waitcnt vmcnt(2)
	v_fma_mixlo_f16 v10, s9, v28, 0
	v_fma_mixlo_f16 v12, s9, v29, 0
	v_lshlrev_b32_e32 v12, 16, v12
	v_and_b32_e32 v10, 0xffff, v10
	v_or_b32_e32 v10, v12, v10
	v_fma_mixlo_f16 v12, s9, v30, 0
	v_fma_mixlo_f16 v13, s9, v31, 0
	v_lshlrev_b32_e32 v13, 16, v13
	v_and_b32_e32 v12, 0xffff, v12
	v_lshl_add_u32 v14, v41, 8, v7
	v_or3_b32 v13, v13, v12, 0
	v_or3_b32 v12, 0, 0, v10
	ds_write_b64 v14, v[12:13]
	v_lshl_add_u32 v14, v52, 8, v7
	s_waitcnt vmcnt(1)
	v_fma_mixlo_f16 v10, s9, v44, 0
	v_fma_mixlo_f16 v12, s9, v45, 0
	v_lshlrev_b32_e32 v12, 16, v12
	v_and_b32_e32 v10, 0xffff, v10
	v_or_b32_e32 v10, v12, v10
	v_fma_mixlo_f16 v12, s9, v46, 0
	v_fma_mixlo_f16 v13, s9, v47, 0
	v_lshlrev_b32_e32 v13, 16, v13
	v_and_b32_e32 v12, 0xffff, v12
	v_or3_b32 v13, v13, v12, 0
	v_or3_b32 v12, 0, 0, v10
	s_waitcnt vmcnt(0)
	v_fma_mixlo_f16 v2, s9, v2, 0
	v_fma_mixlo_f16 v3, s9, v3, 0
	v_lshlrev_b32_e32 v3, 16, v3
	v_and_b32_e32 v2, 0xffff, v2
	v_or_b32_e32 v2, v3, v2
	v_fma_mixlo_f16 v3, s9, v4, 0
	v_fma_mixlo_f16 v4, s9, v5, 0
	v_lshlrev_b32_e32 v4, 16, v4
	v_and_b32_e32 v3, 0xffff, v3
	v_lshl_add_u32 v5, v32, 8, v7
	v_or3_b32 v3, v4, v3, 0
	v_or3_b32 v2, 0, 0, v2
	ds_write_b64 v14, v[12:13]
	ds_write_b64 v5, v[2:3]
	s_waitcnt lgkmcnt(0)
	s_barrier
	s_cbranch_scc1 .LBB75_4
; %bb.3:
	s_load_dword s8, s[4:5], 0xd0
	s_mov_b32 s9, 0
	s_waitcnt lgkmcnt(0)
	s_mul_i32 s8, s8, s33
	s_add_i32 s8, s8, s6
	s_lshl_b64 s[8:9], s[8:9], 2
	s_add_u32 s8, s18, s8
	s_addc_u32 s9, s19, s9
	s_load_dword s30, s[8:9], 0x0
.LBB75_4:
	s_lshl_b32 s6, s7, 6
	s_waitcnt lgkmcnt(0)
	s_cmp_lt_i32 s6, s30
	v_mbcnt_lo_u32_b32 v2, -1, 0
	s_cbranch_scc1 .LBB75_10
; %bb.5:
	v_mbcnt_hi_u32_b32 v10, -1, v2
	v_and_b32_e32 v3, 0x60, v10
	v_add_u32_e32 v82, 32, v3
	v_xor_b32_e32 v84, 16, v10
	v_xor_b32_e32 v86, 8, v10
	;; [unrolled: 1-line block ×5, first 2 shown]
	v_lshlrev_b32_e32 v41, 2, v0
	s_cbranch_execz .LBB75_11
; %bb.6:
	v_mov_b32_e32 v58, 0
	v_mov_b32_e32 v77, 0
	;; [unrolled: 1-line block ×32, first 2 shown]
.LBB75_7:
	v_cmp_lt_i32_e32 vcc, v84, v82
	v_cndmask_b32_e32 v9, v10, v84, vcc
	v_cmp_lt_i32_e32 vcc, v86, v82
	v_lshlrev_b32_e32 v12, 2, v9
	v_cndmask_b32_e32 v9, v10, v86, vcc
	v_lshlrev_b32_e32 v13, 2, v9
	ds_bpermute_b32 v9, v12, v70
	v_cmp_lt_i32_e32 vcc, v83, v82
	v_cndmask_b32_e32 v11, v10, v83, vcc
	v_lshlrev_b32_e32 v14, 2, v11
	v_cmp_lt_i32_e32 vcc, v87, v82
	s_waitcnt lgkmcnt(0)
	v_add_f32_e32 v9, v70, v9
	ds_bpermute_b32 v15, v13, v9
	v_cndmask_b32_e32 v11, v10, v87, vcc
	v_lshlrev_b32_e32 v16, 2, v11
	ds_bpermute_b32 v11, v12, v71
	v_cmp_lt_i32_e32 vcc, v85, v82
	s_waitcnt lgkmcnt(1)
	v_add_f32_e32 v9, v9, v15
	ds_bpermute_b32 v15, v14, v9
	v_cndmask_b32_e32 v10, v10, v85, vcc
	s_waitcnt lgkmcnt(1)
	v_add_f32_e32 v11, v71, v11
	v_lshlrev_b32_e32 v18, 2, v10
	ds_bpermute_b32 v10, v12, v72
	s_waitcnt lgkmcnt(1)
	v_add_f32_e32 v9, v9, v15
	ds_bpermute_b32 v15, v16, v9
	ds_bpermute_b32 v17, v13, v11
	;; [unrolled: 1-line block ×3, first 2 shown]
	s_waitcnt lgkmcnt(3)
	v_add_f32_e32 v10, v72, v10
	ds_bpermute_b32 v19, v13, v10
	s_waitcnt lgkmcnt(3)
	v_add_f32_e32 v9, v9, v15
	ds_bpermute_b32 v15, v18, v9
	;; [unrolled: 3-line block ×6, first 2 shown]
	s_waitcnt lgkmcnt(2)
	v_add_f32_e32 v10, v10, v19
	s_cmp_lg_u64 s[16:17], 0
	s_waitcnt lgkmcnt(1)
	v_add_f32_e32 v15, v74, v15
	ds_bpermute_b32 v21, v13, v15
	s_waitcnt lgkmcnt(1)
	v_add_f32_e32 v11, v11, v17
	v_add_f32_e32 v17, v73, v20
	ds_bpermute_b32 v20, v16, v10
	ds_bpermute_b32 v22, v18, v11
	s_waitcnt lgkmcnt(2)
	v_add_f32_e32 v15, v15, v21
	ds_bpermute_b32 v21, v14, v15
	ds_bpermute_b32 v19, v13, v17
	s_waitcnt lgkmcnt(3)
	v_add_f32_e32 v20, v10, v20
	ds_bpermute_b32 v23, v18, v20
	s_waitcnt lgkmcnt(3)
	v_add_f32_e32 v10, v11, v22
	s_waitcnt lgkmcnt(2)
	v_add_f32_e32 v15, v15, v21
	ds_bpermute_b32 v21, v16, v15
	s_waitcnt lgkmcnt(2)
	v_add_f32_e32 v17, v17, v19
	s_waitcnt lgkmcnt(1)
	v_add_f32_e32 v11, v20, v23
	ds_bpermute_b32 v20, v12, v75
	ds_bpermute_b32 v19, v14, v17
	s_waitcnt lgkmcnt(2)
	v_add_f32_e32 v15, v15, v21
	ds_bpermute_b32 v21, v12, v76
	ds_bpermute_b32 v12, v12, v77
	s_waitcnt lgkmcnt(3)
	v_add_f32_e32 v20, v75, v20
	ds_bpermute_b32 v23, v13, v20
	s_waitcnt lgkmcnt(3)
	v_add_f32_e32 v17, v17, v19
	s_waitcnt lgkmcnt(2)
	v_add_f32_e32 v21, v76, v21
	;; [unrolled: 2-line block ×3, first 2 shown]
	ds_bpermute_b32 v24, v13, v21
	ds_bpermute_b32 v13, v13, v12
	s_waitcnt lgkmcnt(2)
	v_add_f32_e32 v20, v20, v23
	ds_bpermute_b32 v23, v14, v20
	ds_bpermute_b32 v19, v16, v17
	s_waitcnt lgkmcnt(3)
	v_add_f32_e32 v21, v21, v24
	s_waitcnt lgkmcnt(2)
	v_add_f32_e32 v12, v12, v13
	ds_bpermute_b32 v24, v14, v21
	ds_bpermute_b32 v13, v14, v12
	s_waitcnt lgkmcnt(3)
	v_add_f32_e32 v14, v20, v23
	ds_bpermute_b32 v20, v16, v14
	s_waitcnt lgkmcnt(3)
	v_add_f32_e32 v17, v17, v19
	s_waitcnt lgkmcnt(2)
	v_add_f32_e32 v21, v21, v24
	;; [unrolled: 2-line block ×3, first 2 shown]
	ds_bpermute_b32 v23, v16, v21
	ds_bpermute_b32 v13, v16, v12
	s_waitcnt lgkmcnt(2)
	v_add_f32_e32 v14, v14, v20
	ds_bpermute_b32 v19, v18, v17
	ds_bpermute_b32 v22, v18, v15
	s_waitcnt lgkmcnt(3)
	v_add_f32_e32 v20, v21, v23
	s_waitcnt lgkmcnt(2)
	v_add_f32_e32 v23, v12, v13
	ds_bpermute_b32 v16, v18, v14
	ds_bpermute_b32 v21, v18, v20
	;; [unrolled: 1-line block ×3, first 2 shown]
	s_cselect_b64 s[0:1], -1, 0
	s_cmp_eq_u32 s7, 0
	s_cselect_b64 s[8:9], -1, 0
	s_and_b64 s[0:1], s[8:9], s[0:1]
	s_waitcnt lgkmcnt(4)
	v_add_f32_e32 v12, v17, v19
	s_waitcnt lgkmcnt(3)
	v_add_f32_e32 v13, v15, v22
	;; [unrolled: 2-line block ×5, first 2 shown]
	s_and_b64 vcc, exec, s[0:1]
	s_cbranch_vccz .LBB75_78
; %bb.8:
	s_ashr_i32 s29, s28, 31
	s_lshl_b64 s[0:1], s[28:29], 2
	s_add_u32 s0, s16, s0
	s_addc_u32 s1, s17, s1
	v_mov_b32_e32 v17, 0
	global_load_dwordx4 v[21:24], v17, s[0:1]
	v_max_f32_e32 v17, v1, v1
	v_max_f32_e32 v18, v2, v2
	s_mov_b32 s6, 0x3fb8aa3b
	s_mov_b32 s1, 0xc2ce8ed0
	v_max_f32_e32 v19, v3, v3
	s_mov_b32 s0, 0x42b17218
	v_mov_b32_e32 v60, 0x7f800000
	s_waitcnt vmcnt(0)
	v_max_f32_e32 v29, v21, v21
	v_max_f32_e32 v25, v17, v29
	;; [unrolled: 1-line block ×3, first 2 shown]
	v_sub_f32_e32 v1, v1, v25
	v_max_f32_e32 v26, v18, v30
	v_sub_f32_e32 v17, v21, v25
	v_mul_f32_e32 v20, 0x3fb8aa3b, v1
	v_sub_f32_e32 v2, v2, v26
	v_mul_f32_e32 v28, 0x3fb8aa3b, v17
	v_fma_f32 v64, v1, s6, -v20
	v_rndne_f32_e32 v65, v20
	v_sub_f32_e32 v18, v22, v26
	v_mul_f32_e32 v32, 0x3fb8aa3b, v2
	v_fma_f32 v66, v17, s6, -v28
	v_rndne_f32_e32 v67, v28
	v_fmac_f32_e32 v64, 0x32a5705f, v1
	v_sub_f32_e32 v20, v20, v65
	v_mul_f32_e32 v61, 0x3fb8aa3b, v18
	v_fma_f32 v68, v2, s6, -v32
	v_rndne_f32_e32 v69, v32
	v_fmac_f32_e32 v66, 0x32a5705f, v17
	v_sub_f32_e32 v28, v28, v67
	v_add_f32_e32 v20, v20, v64
	v_fma_f32 v70, v18, s6, -v61
	v_rndne_f32_e32 v71, v61
	v_cvt_i32_f32_e32 v65, v65
	v_fmac_f32_e32 v68, 0x32a5705f, v2
	v_sub_f32_e32 v32, v32, v69
	v_add_f32_e32 v28, v28, v66
	v_exp_f32_e32 v20, v20
	v_cvt_i32_f32_e32 v67, v67
	v_fmac_f32_e32 v70, 0x32a5705f, v18
	v_sub_f32_e32 v61, v61, v71
	v_add_f32_e32 v32, v32, v68
	v_exp_f32_e32 v28, v28
	v_cvt_i32_f32_e32 v69, v69
	v_add_f32_e32 v61, v61, v70
	v_exp_f32_e32 v32, v32
	v_cvt_i32_f32_e32 v71, v71
	v_exp_f32_e32 v61, v61
	v_max_f32_e32 v31, v23, v23
	v_ldexp_f32 v20, v20, v65
	v_cmp_ngt_f32_e32 vcc, s1, v1
	v_max_f32_e32 v27, v19, v31
	v_ldexp_f32 v28, v28, v67
	v_cndmask_b32_e32 v20, 0, v20, vcc
	v_cmp_ngt_f32_e32 vcc, s1, v17
	v_sub_f32_e32 v3, v3, v27
	v_ldexp_f32 v32, v32, v69
	v_cndmask_b32_e32 v28, 0, v28, vcc
	v_cmp_ngt_f32_e32 vcc, s1, v2
	v_mul_f32_e32 v62, 0x3fb8aa3b, v3
	v_ldexp_f32 v61, v61, v71
	v_cndmask_b32_e32 v32, 0, v32, vcc
	v_cmp_ngt_f32_e32 vcc, s1, v18
	v_sub_f32_e32 v19, v23, v27
	v_fma_f32 v72, v3, s6, -v62
	v_rndne_f32_e32 v73, v62
	v_cndmask_b32_e32 v61, 0, v61, vcc
	v_cmp_nlt_f32_e32 vcc, s0, v1
	v_mul_f32_e32 v63, 0x3fb8aa3b, v19
	v_fmac_f32_e32 v72, 0x32a5705f, v3
	v_sub_f32_e32 v62, v62, v73
	v_cndmask_b32_e32 v1, v60, v20, vcc
	v_cmp_nlt_f32_e32 vcc, s0, v17
	v_fma_f32 v74, v19, s6, -v63
	v_rndne_f32_e32 v75, v63
	v_add_f32_e32 v62, v62, v72
	v_cndmask_b32_e32 v17, v60, v28, vcc
	v_cmp_nlt_f32_e32 vcc, s0, v2
	v_cvt_i32_f32_e32 v73, v73
	v_fmac_f32_e32 v74, 0x32a5705f, v19
	v_sub_f32_e32 v63, v63, v75
	v_exp_f32_e32 v62, v62
	v_cndmask_b32_e32 v2, v60, v32, vcc
	v_cvt_f16_f32_e32 v20, v1
	v_add_f32_e32 v63, v63, v74
	v_cvt_f16_f32_e32 v28, v2
	v_cvt_i32_f32_e32 v75, v75
	v_exp_f32_e32 v63, v63
	v_cmp_nlt_f32_e32 vcc, s0, v18
	v_ldexp_f32 v62, v62, v73
	v_cndmask_b32_e32 v18, v60, v61, vcc
	v_fmac_f32_e32 v17, v9, v1
	v_mul_u32_u24_e32 v1, 0x10001, v20
	v_cmp_ngt_f32_e32 vcc, s1, v3
	v_fmac_f32_e32 v18, v10, v2
	v_mul_u32_u24_e32 v2, 0x10001, v28
	v_pk_mul_f16 v58, v58, v1
	v_pk_mul_f16 v59, v59, v1
	v_cndmask_b32_e32 v1, 0, v62, vcc
	v_cmp_nlt_f32_e32 vcc, s0, v3
	v_pk_mul_f16 v56, v56, v2
	v_pk_mul_f16 v57, v57, v2
	v_cndmask_b32_e32 v1, v60, v1, vcc
	v_ldexp_f32 v2, v63, v75
	v_cmp_ngt_f32_e32 vcc, s1, v19
	v_cndmask_b32_e32 v2, 0, v2, vcc
	v_cmp_nlt_f32_e32 vcc, s0, v19
	v_cndmask_b32_e32 v19, v60, v2, vcc
	v_max_f32_e32 v2, v24, v24
	v_max_f32_e32 v3, v4, v4
	;; [unrolled: 1-line block ×3, first 2 shown]
	v_sub_f32_e32 v3, v4, v28
	v_mul_f32_e32 v4, 0x3fb8aa3b, v3
	v_fma_f32 v9, v3, s6, -v4
	v_rndne_f32_e32 v10, v4
	v_fmac_f32_e32 v9, 0x32a5705f, v3
	v_sub_f32_e32 v4, v4, v10
	v_fmac_f32_e32 v19, v11, v1
	v_cvt_f16_f32_e32 v1, v1
	v_add_f32_e32 v4, v4, v9
	v_exp_f32_e32 v4, v4
	v_cvt_i32_f32_e32 v9, v10
	v_mul_u32_u24_e32 v1, 0x10001, v1
	v_pk_mul_f16 v54, v54, v1
	v_pk_mul_f16 v55, v55, v1
	v_ldexp_f32 v1, v4, v9
	v_sub_f32_e32 v4, v24, v28
	v_mul_f32_e32 v9, 0x3fb8aa3b, v4
	v_fma_f32 v10, v4, s6, -v9
	v_rndne_f32_e32 v11, v9
	v_fmac_f32_e32 v10, 0x32a5705f, v4
	v_sub_f32_e32 v9, v9, v11
	v_add_f32_e32 v9, v9, v10
	v_exp_f32_e32 v9, v9
	v_cvt_i32_f32_e32 v10, v11
	v_cmp_ngt_f32_e32 vcc, s1, v3
	v_cndmask_b32_e32 v1, 0, v1, vcc
	v_cmp_nlt_f32_e32 vcc, s0, v3
	v_cndmask_b32_e32 v1, v60, v1, vcc
	v_ldexp_f32 v3, v9, v10
	v_cmp_ngt_f32_e32 vcc, s1, v4
	v_cndmask_b32_e32 v3, 0, v3, vcc
	v_cmp_nlt_f32_e32 vcc, s0, v4
	v_cndmask_b32_e32 v20, v60, v3, vcc
	v_max_f32_e32 v3, v5, v5
	v_max_f32_e32 v29, v3, v29
	v_sub_f32_e32 v3, v5, v29
	v_mul_f32_e32 v4, 0x3fb8aa3b, v3
	v_fma_f32 v5, v3, s6, -v4
	v_rndne_f32_e32 v9, v4
	v_fmac_f32_e32 v5, 0x32a5705f, v3
	v_sub_f32_e32 v4, v4, v9
	v_fmac_f32_e32 v20, v12, v1
	v_cvt_f16_f32_e32 v1, v1
	v_add_f32_e32 v4, v4, v5
	v_exp_f32_e32 v4, v4
	v_cvt_i32_f32_e32 v5, v9
	v_mul_u32_u24_e32 v1, 0x10001, v1
	v_pk_mul_f16 v52, v52, v1
	v_pk_mul_f16 v53, v53, v1
	v_ldexp_f32 v1, v4, v5
	v_sub_f32_e32 v4, v21, v29
	v_mul_f32_e32 v5, 0x3fb8aa3b, v4
	v_fma_f32 v9, v4, s6, -v5
	v_rndne_f32_e32 v10, v5
	v_fmac_f32_e32 v9, 0x32a5705f, v4
	v_sub_f32_e32 v5, v5, v10
	v_add_f32_e32 v5, v5, v9
	v_exp_f32_e32 v5, v5
	v_cvt_i32_f32_e32 v9, v10
	v_cmp_ngt_f32_e32 vcc, s1, v3
	v_cndmask_b32_e32 v1, 0, v1, vcc
	v_cmp_nlt_f32_e32 vcc, s0, v3
	v_cndmask_b32_e32 v1, v60, v1, vcc
	v_ldexp_f32 v3, v5, v9
	v_cmp_ngt_f32_e32 vcc, s1, v4
	v_cndmask_b32_e32 v3, 0, v3, vcc
	v_cmp_nlt_f32_e32 vcc, s0, v4
	v_cndmask_b32_e32 v21, v60, v3, vcc
	v_max_f32_e32 v3, v6, v6
	v_max_f32_e32 v30, v3, v30
	;; [unrolled: 35-line block ×4, first 2 shown]
	v_sub_f32_e32 v2, v8, v32
	v_mul_f32_e32 v3, 0x3fb8aa3b, v2
	v_fma_f32 v4, v2, s6, -v3
	v_rndne_f32_e32 v5, v3
	v_fmac_f32_e32 v4, 0x32a5705f, v2
	v_sub_f32_e32 v3, v3, v5
	v_fmac_f32_e32 v23, v15, v1
	v_cvt_f16_f32_e32 v1, v1
	v_add_f32_e32 v3, v3, v4
	v_exp_f32_e32 v3, v3
	v_cvt_i32_f32_e32 v4, v5
	v_mul_u32_u24_e32 v1, 0x10001, v1
	v_pk_mul_f16 v46, v46, v1
	v_pk_mul_f16 v47, v47, v1
	v_ldexp_f32 v1, v3, v4
	v_sub_f32_e32 v3, v24, v32
	v_mul_f32_e32 v4, 0x3fb8aa3b, v3
	v_fma_f32 v5, v3, s6, -v4
	v_rndne_f32_e32 v6, v4
	v_fmac_f32_e32 v5, 0x32a5705f, v3
	v_sub_f32_e32 v4, v4, v6
	v_add_f32_e32 v4, v4, v5
	v_exp_f32_e32 v4, v4
	v_cvt_i32_f32_e32 v5, v6
	v_cmp_ngt_f32_e32 vcc, s1, v2
	v_cndmask_b32_e32 v1, 0, v1, vcc
	v_cmp_nlt_f32_e32 vcc, s0, v2
	v_cndmask_b32_e32 v1, v60, v1, vcc
	v_ldexp_f32 v2, v4, v5
	v_cvt_f16_f32_e32 v4, v1
	v_cmp_ngt_f32_e32 vcc, s1, v3
	v_cndmask_b32_e32 v2, 0, v2, vcc
	v_cmp_nlt_f32_e32 vcc, s0, v3
	v_cndmask_b32_e32 v24, v60, v2, vcc
	v_fmac_f32_e32 v24, v16, v1
	v_mul_u32_u24_e32 v1, 0x10001, v4
	v_pk_mul_f16 v45, v45, v1
	v_pk_mul_f16 v44, v44, v1
	v_mov_b32_e32 v1, v25
	v_mov_b32_e32 v2, v26
	;; [unrolled: 1-line block ×16, first 2 shown]
	v_cmp_gt_i32_e32 vcc, s2, v43
	s_and_saveexec_b64 s[0:1], vcc
	s_cbranch_execnz .LBB75_79
.LBB75_9:
	s_endpgm
.LBB75_10:
                                        ; implicit-def: $vgpr10
                                        ; implicit-def: $vgpr82
                                        ; implicit-def: $vgpr84
                                        ; implicit-def: $vgpr86
                                        ; implicit-def: $vgpr83
                                        ; implicit-def: $vgpr87
                                        ; implicit-def: $vgpr85
	v_lshlrev_b32_e32 v41, 2, v0
.LBB75_11:
	s_sub_i32 s8, 0, s29
	s_mul_i32 s8, s8, s38
	s_mul_hi_u32 s8, s38, s8
	s_add_i32 s38, s38, s8
	s_load_dwordx4 s[24:27], s[4:5], 0x98
	s_load_dword s15, s[4:5], 0x54
	s_load_dwordx2 s[8:9], s[4:5], 0x8c
	s_abs_i32 s36, s28
	s_mul_hi_u32 s40, s36, s38
	s_waitcnt lgkmcnt(0)
	s_ashr_i32 s18, s26, 2
	s_ashr_i32 s26, s37, 1
	;; [unrolled: 1-line block ×4, first 2 shown]
	s_mul_hi_u32 s37, s24, s33
	s_mul_i32 s42, s24, s8
	s_add_i32 s37, s37, s42
	s_mul_i32 s25, s25, s33
	s_ashr_i32 s41, s28, 31
	s_ashr_i32 s31, s31, 31
	s_add_i32 s37, s37, s25
	s_mul_i32 s24, s24, s33
	s_add_u32 s10, s10, s24
	s_mul_i32 s25, s40, s29
	s_addc_u32 s11, s11, s37
	s_sub_i32 s25, s36, s25
	s_xor_b32 s24, s41, s31
	s_add_i32 s31, s40, 1
	s_sub_i32 s36, s25, s29
	s_cmp_ge_u32 s25, s29
	s_cselect_b32 s31, s31, s40
	s_cselect_b32 s25, s36, s25
	s_add_i32 s36, s31, 1
	s_cmp_ge_u32 s25, s29
	s_cselect_b32 s25, s36, s31
	s_load_dwordx2 s[38:39], s[4:5], 0xa8
	s_xor_b32 s25, s25, s24
	s_sub_i32 s24, s25, s24
	v_lshrrev_b32_e32 v3, 2, v0
	s_mul_i32 s9, s24, s9
	v_add_u32_e32 v3, v3, v11
	s_ashr_i32 s25, s9, 31
	v_mul_u32_u24_e32 v5, 0x50, v3
	v_mul_lo_u32 v3, s19, v3
	s_add_u32 s9, s10, s9
	s_addc_u32 s10, s11, s25
	s_waitcnt lgkmcnt(0)
	s_mul_hi_u32 s11, s38, s33
	s_mul_i32 s8, s38, s8
	s_add_i32 s8, s11, s8
	s_mul_i32 s11, s39, s33
	v_and_b32_e32 v4, 12, v41
	s_add_i32 s8, s8, s11
	s_mul_i32 s11, s38, s33
	v_lshlrev_b32_e32 v10, 2, v4
	v_ashrrev_i32_e32 v4, 31, v3
	s_add_u32 s11, s12, s11
	v_lshlrev_b64 v[3:4], 2, v[3:4]
	s_addc_u32 s8, s13, s8
	s_movk_i32 s13, 0x6000
	v_add3_u32 v11, v5, v10, s13
	v_mov_b32_e32 v5, s10
	v_add_co_u32_e32 v3, vcc, s9, v3
	v_addc_co_u32_e32 v4, vcc, v5, v4, vcc
	v_add3_u32 v5, s14, v42, 1
	v_mul_hi_u32 v14, s0, v5
	v_add_co_u32_e32 v12, vcc, v3, v10
	s_mul_i32 s24, s24, s27
	v_add_u32_e32 v3, v5, v14
	v_lshrrev_b32_e32 v3, s1, v3
	v_mul_lo_u32 v3, v3, s2
	s_ashr_i32 s12, s24, 31
	s_add_u32 s11, s11, s24
	s_addc_u32 s8, s8, s12
	v_sub_u32_e32 v3, v5, v3
	v_mul_lo_u32 v16, v3, s26
	v_mov_b32_e32 v3, 0x4000
	v_lshl_add_u32 v17, v1, 10, v3
	v_lshrrev_b32_e32 v1, 4, v0
	v_add_u32_e32 v1, v1, v42
	v_mul_lo_u32 v3, s18, v1
	s_movk_i32 s12, 0x50
	v_addc_co_u32_e32 v13, vcc, 0, v4, vcc
	v_mov_b32_e32 v4, 0x6000
	v_mad_u32_u24 v14, v0, s12, v4
	v_and_b32_e32 v4, 60, v41
	v_lshlrev_b32_e32 v5, 2, v4
	v_ashrrev_i32_e32 v4, 31, v3
	v_lshlrev_b64 v[3:4], 2, v[3:4]
	v_lshl_or_b32 v1, v1, 8, v5
	v_mul_lo_u32 v15, v8, s26
	v_add_u32_e32 v18, 0x6000, v1
	v_mov_b32_e32 v1, s8
	v_add_co_u32_e32 v3, vcc, s11, v3
	v_addc_co_u32_e32 v1, vcc, v1, v4, vcc
	v_add_co_u32_e32 v19, vcc, v3, v5
	s_add_u32 s0, s4, 0xd0
	v_mov_b32_e32 v66, 0
	v_addc_co_u32_e32 v20, vcc, 0, v1, vcc
	v_or_b32_e32 v21, 0x6000, v7
	s_addc_u32 s1, s5, 0
	v_mov_b32_e32 v69, 0xfeffffff
	v_mov_b32_e32 v44, 0
	s_mov_b32 s10, 0x3f200000
	s_mov_b32 s11, 0x3fb8aa3b
	;; [unrolled: 1-line block ×4, first 2 shown]
	v_mov_b32_e32 v22, 0xbd5c1c4e
	v_mov_b32_e32 v23, 0x3e088382
	;; [unrolled: 1-line block ×3, first 2 shown]
	s_brev_b32 s24, -2
	s_mov_b32 s25, 0x10001
	v_add_u32_e32 v25, v17, v6
	v_mov_b32_e32 v26, 0x7f800000
	v_mbcnt_hi_u32_b32 v10, -1, v2
	v_mov_b32_e32 v45, 0
	v_mov_b32_e32 v47, 0
	;; [unrolled: 1-line block ×29, first 2 shown]
.LBB75_12:                              ; =>This Inner Loop Header: Depth=1
	s_mul_hi_i32 s9, s6, s19
	s_mul_i32 s8, s6, s19
	s_lshl_b64 s[8:9], s[8:9], 2
	v_mov_b32_e32 v1, s9
	v_add_co_u32_e32 v5, vcc, s8, v12
	v_addc_co_u32_e32 v6, vcc, v13, v1, vcc
	global_load_dwordx4 v[1:4], v[5:6], off
	v_mov_b32_e32 v82, 0
	v_mov_b32_e32 v79, 0
	;; [unrolled: 1-line block ×16, first 2 shown]
	s_waitcnt vmcnt(0)
	ds_write_b128 v11, v[1:4]
	s_waitcnt lgkmcnt(0)
	s_barrier
	ds_read_b128 v[1:4], v14
	ds_read_b128 v[84:87], v14 offset:2560
	ds_read_b128 v[88:91], v9
	ds_read_b128 v[92:95], v9 offset:256
	ds_read_b128 v[96:99], v9 offset:512
	;; [unrolled: 1-line block ×7, first 2 shown]
	s_waitcnt lgkmcnt(7)
	;;#ASMSTART
	v_dot2_f32_f16 v82, v1, v88, v82
	;;#ASMEND
	;;#ASMSTART
	v_dot2_f32_f16 v82, v2, v89, v82
	;;#ASMEND
	;;#ASMSTART
	v_dot2_f32_f16 v82, v3, v90, v82
	;;#ASMEND
	;;#ASMSTART
	v_dot2_f32_f16 v82, v4, v91, v82
	;;#ASMEND
	s_waitcnt lgkmcnt(6)
	;;#ASMSTART
	v_dot2_f32_f16 v79, v1, v92, v79
	;;#ASMEND
	;;#ASMSTART
	v_dot2_f32_f16 v79, v2, v93, v79
	;;#ASMEND
	;;#ASMSTART
	v_dot2_f32_f16 v79, v3, v94, v79
	;;#ASMEND
	;;#ASMSTART
	v_dot2_f32_f16 v79, v4, v95, v79
	;;#ASMEND
	;; [unrolled: 13-line block ×8, first 2 shown]
	;;#ASMSTART
	v_dot2_f32_f16 v83, v84, v88, v83
	;;#ASMEND
	;;#ASMSTART
	v_dot2_f32_f16 v83, v85, v89, v83
	;;#ASMEND
	;; [unrolled: 3-line block ×32, first 2 shown]
	ds_read_b128 v[84:87], v14 offset:16
	ds_read_b128 v[1:4], v14 offset:2576
	;; [unrolled: 1-line block ×10, first 2 shown]
	s_waitcnt lgkmcnt(7)
	;;#ASMSTART
	v_dot2_f32_f16 v82, v84, v88, v82
	;;#ASMEND
	;;#ASMSTART
	v_dot2_f32_f16 v82, v85, v89, v82
	;;#ASMEND
	;;#ASMSTART
	v_dot2_f32_f16 v82, v86, v90, v82
	;;#ASMEND
	;;#ASMSTART
	v_dot2_f32_f16 v82, v87, v91, v82
	;;#ASMEND
	s_waitcnt lgkmcnt(6)
	;;#ASMSTART
	v_dot2_f32_f16 v79, v84, v92, v79
	;;#ASMEND
	;;#ASMSTART
	v_dot2_f32_f16 v79, v85, v93, v79
	;;#ASMEND
	;;#ASMSTART
	v_dot2_f32_f16 v79, v86, v94, v79
	;;#ASMEND
	;;#ASMSTART
	v_dot2_f32_f16 v79, v87, v95, v79
	;;#ASMEND
	;; [unrolled: 13-line block ×8, first 2 shown]
	;;#ASMSTART
	v_dot2_f32_f16 v83, v1, v88, v83
	;;#ASMEND
	;;#ASMSTART
	v_dot2_f32_f16 v83, v2, v89, v83
	;;#ASMEND
	;;#ASMSTART
	v_dot2_f32_f16 v83, v3, v90, v83
	;;#ASMEND
	;;#ASMSTART
	v_dot2_f32_f16 v83, v4, v91, v83
	;;#ASMEND
	;;#ASMSTART
	v_dot2_f32_f16 v81, v1, v92, v81
	;;#ASMEND
	;;#ASMSTART
	v_dot2_f32_f16 v81, v2, v93, v81
	;;#ASMEND
	;;#ASMSTART
	v_dot2_f32_f16 v81, v3, v94, v81
	;;#ASMEND
	;;#ASMSTART
	v_dot2_f32_f16 v81, v4, v95, v81
	;;#ASMEND
	;;#ASMSTART
	v_dot2_f32_f16 v80, v1, v96, v80
	;;#ASMEND
	;;#ASMSTART
	v_dot2_f32_f16 v80, v2, v97, v80
	;;#ASMEND
	;;#ASMSTART
	v_dot2_f32_f16 v80, v3, v98, v80
	;;#ASMEND
	;;#ASMSTART
	v_dot2_f32_f16 v80, v4, v99, v80
	;;#ASMEND
	;;#ASMSTART
	v_dot2_f32_f16 v78, v1, v100, v78
	;;#ASMEND
	;;#ASMSTART
	v_dot2_f32_f16 v78, v2, v101, v78
	;;#ASMEND
	;;#ASMSTART
	v_dot2_f32_f16 v78, v3, v102, v78
	;;#ASMEND
	;;#ASMSTART
	v_dot2_f32_f16 v78, v4, v103, v78
	;;#ASMEND
	;;#ASMSTART
	v_dot2_f32_f16 v75, v1, v104, v75
	;;#ASMEND
	;;#ASMSTART
	v_dot2_f32_f16 v75, v2, v105, v75
	;;#ASMEND
	;;#ASMSTART
	v_dot2_f32_f16 v75, v3, v106, v75
	;;#ASMEND
	;;#ASMSTART
	v_dot2_f32_f16 v75, v4, v107, v75
	;;#ASMEND
	;;#ASMSTART
	v_dot2_f32_f16 v73, v1, v108, v73
	;;#ASMEND
	;;#ASMSTART
	v_dot2_f32_f16 v73, v2, v109, v73
	;;#ASMEND
	;;#ASMSTART
	v_dot2_f32_f16 v73, v3, v110, v73
	;;#ASMEND
	;;#ASMSTART
	v_dot2_f32_f16 v73, v4, v111, v73
	;;#ASMEND
	;;#ASMSTART
	v_dot2_f32_f16 v71, v1, v112, v71
	;;#ASMEND
	;;#ASMSTART
	v_dot2_f32_f16 v71, v2, v113, v71
	;;#ASMEND
	;;#ASMSTART
	v_dot2_f32_f16 v71, v3, v114, v71
	;;#ASMEND
	;;#ASMSTART
	v_dot2_f32_f16 v71, v4, v115, v71
	;;#ASMEND
	;;#ASMSTART
	v_dot2_f32_f16 v8, v1, v116, v8
	;;#ASMEND
	;;#ASMSTART
	v_dot2_f32_f16 v8, v2, v117, v8
	;;#ASMEND
	;;#ASMSTART
	v_dot2_f32_f16 v8, v3, v118, v8
	;;#ASMEND
	;;#ASMSTART
	v_dot2_f32_f16 v8, v4, v119, v8
	;;#ASMEND
	ds_read_b128 v[84:87], v14 offset:32
	ds_read_b128 v[1:4], v14 offset:2592
	;; [unrolled: 1-line block ×10, first 2 shown]
	s_waitcnt lgkmcnt(7)
	;;#ASMSTART
	v_dot2_f32_f16 v82, v84, v88, v82
	;;#ASMEND
	;;#ASMSTART
	v_dot2_f32_f16 v82, v85, v89, v82
	;;#ASMEND
	;;#ASMSTART
	v_dot2_f32_f16 v82, v86, v90, v82
	;;#ASMEND
	;;#ASMSTART
	v_dot2_f32_f16 v82, v87, v91, v82
	;;#ASMEND
	s_waitcnt lgkmcnt(6)
	;;#ASMSTART
	v_dot2_f32_f16 v79, v84, v92, v79
	;;#ASMEND
	;;#ASMSTART
	v_dot2_f32_f16 v79, v85, v93, v79
	;;#ASMEND
	;;#ASMSTART
	v_dot2_f32_f16 v79, v86, v94, v79
	;;#ASMEND
	;;#ASMSTART
	v_dot2_f32_f16 v79, v87, v95, v79
	;;#ASMEND
	;; [unrolled: 13-line block ×8, first 2 shown]
	;;#ASMSTART
	v_dot2_f32_f16 v83, v1, v88, v83
	;;#ASMEND
	;;#ASMSTART
	v_dot2_f32_f16 v83, v2, v89, v83
	;;#ASMEND
	;; [unrolled: 3-line block ×32, first 2 shown]
	ds_read_b128 v[84:87], v14 offset:48
	ds_read_b128 v[1:4], v14 offset:2608
	;; [unrolled: 1-line block ×10, first 2 shown]
	s_waitcnt lgkmcnt(7)
	;;#ASMSTART
	v_dot2_f32_f16 v82, v84, v88, v82
	;;#ASMEND
	;;#ASMSTART
	v_dot2_f32_f16 v82, v85, v89, v82
	;;#ASMEND
	;;#ASMSTART
	v_dot2_f32_f16 v82, v86, v90, v82
	;;#ASMEND
	;;#ASMSTART
	v_dot2_f32_f16 v82, v87, v91, v82
	;;#ASMEND
	s_waitcnt lgkmcnt(6)
	;;#ASMSTART
	v_dot2_f32_f16 v79, v84, v92, v79
	;;#ASMEND
	;;#ASMSTART
	v_dot2_f32_f16 v79, v85, v93, v79
	;;#ASMEND
	;;#ASMSTART
	v_dot2_f32_f16 v79, v86, v94, v79
	;;#ASMEND
	;;#ASMSTART
	v_dot2_f32_f16 v79, v87, v95, v79
	;;#ASMEND
	;; [unrolled: 13-line block ×8, first 2 shown]
	;;#ASMSTART
	v_dot2_f32_f16 v83, v1, v88, v83
	;;#ASMEND
	;;#ASMSTART
	v_dot2_f32_f16 v83, v2, v89, v83
	;;#ASMEND
	;; [unrolled: 3-line block ×32, first 2 shown]
	s_barrier
	global_load_dwordx4 v[1:4], v[5:6], off offset:64
	s_waitcnt vmcnt(0)
	ds_write_b128 v11, v[1:4]
	s_waitcnt lgkmcnt(0)
	s_barrier
	ds_read_b128 v[84:87], v14
	ds_read_b128 v[1:4], v14 offset:2560
	ds_read_b128 v[88:91], v9 offset:64
	;; [unrolled: 1-line block ×9, first 2 shown]
	s_waitcnt lgkmcnt(7)
	;;#ASMSTART
	v_dot2_f32_f16 v82, v84, v88, v82
	;;#ASMEND
	;;#ASMSTART
	v_dot2_f32_f16 v82, v85, v89, v82
	;;#ASMEND
	;;#ASMSTART
	v_dot2_f32_f16 v82, v86, v90, v82
	;;#ASMEND
	;;#ASMSTART
	v_dot2_f32_f16 v82, v87, v91, v82
	;;#ASMEND
	s_waitcnt lgkmcnt(6)
	;;#ASMSTART
	v_dot2_f32_f16 v79, v84, v92, v79
	;;#ASMEND
	;;#ASMSTART
	v_dot2_f32_f16 v79, v85, v93, v79
	;;#ASMEND
	;;#ASMSTART
	v_dot2_f32_f16 v79, v86, v94, v79
	;;#ASMEND
	;;#ASMSTART
	v_dot2_f32_f16 v79, v87, v95, v79
	;;#ASMEND
	;; [unrolled: 13-line block ×8, first 2 shown]
	;;#ASMSTART
	v_dot2_f32_f16 v83, v1, v88, v83
	;;#ASMEND
	;;#ASMSTART
	v_dot2_f32_f16 v83, v2, v89, v83
	;;#ASMEND
	;;#ASMSTART
	v_dot2_f32_f16 v83, v3, v90, v83
	;;#ASMEND
	;;#ASMSTART
	v_dot2_f32_f16 v83, v4, v91, v83
	;;#ASMEND
	;;#ASMSTART
	v_dot2_f32_f16 v81, v1, v92, v81
	;;#ASMEND
	;;#ASMSTART
	v_dot2_f32_f16 v81, v2, v93, v81
	;;#ASMEND
	;;#ASMSTART
	v_dot2_f32_f16 v81, v3, v94, v81
	;;#ASMEND
	;;#ASMSTART
	v_dot2_f32_f16 v81, v4, v95, v81
	;;#ASMEND
	;;#ASMSTART
	v_dot2_f32_f16 v80, v1, v96, v80
	;;#ASMEND
	;;#ASMSTART
	v_dot2_f32_f16 v80, v2, v97, v80
	;;#ASMEND
	;;#ASMSTART
	v_dot2_f32_f16 v80, v3, v98, v80
	;;#ASMEND
	;;#ASMSTART
	v_dot2_f32_f16 v80, v4, v99, v80
	;;#ASMEND
	;;#ASMSTART
	v_dot2_f32_f16 v78, v1, v100, v78
	;;#ASMEND
	;;#ASMSTART
	v_dot2_f32_f16 v78, v2, v101, v78
	;;#ASMEND
	;;#ASMSTART
	v_dot2_f32_f16 v78, v3, v102, v78
	;;#ASMEND
	;;#ASMSTART
	v_dot2_f32_f16 v78, v4, v103, v78
	;;#ASMEND
	;;#ASMSTART
	v_dot2_f32_f16 v75, v1, v104, v75
	;;#ASMEND
	;;#ASMSTART
	v_dot2_f32_f16 v75, v2, v105, v75
	;;#ASMEND
	;;#ASMSTART
	v_dot2_f32_f16 v75, v3, v106, v75
	;;#ASMEND
	;;#ASMSTART
	v_dot2_f32_f16 v75, v4, v107, v75
	;;#ASMEND
	;;#ASMSTART
	v_dot2_f32_f16 v73, v1, v108, v73
	;;#ASMEND
	;;#ASMSTART
	v_dot2_f32_f16 v73, v2, v109, v73
	;;#ASMEND
	;;#ASMSTART
	v_dot2_f32_f16 v73, v3, v110, v73
	;;#ASMEND
	;;#ASMSTART
	v_dot2_f32_f16 v73, v4, v111, v73
	;;#ASMEND
	;;#ASMSTART
	v_dot2_f32_f16 v71, v1, v112, v71
	;;#ASMEND
	;;#ASMSTART
	v_dot2_f32_f16 v71, v2, v113, v71
	;;#ASMEND
	;;#ASMSTART
	v_dot2_f32_f16 v71, v3, v114, v71
	;;#ASMEND
	;;#ASMSTART
	v_dot2_f32_f16 v71, v4, v115, v71
	;;#ASMEND
	;;#ASMSTART
	v_dot2_f32_f16 v8, v1, v116, v8
	;;#ASMEND
	;;#ASMSTART
	v_dot2_f32_f16 v8, v2, v117, v8
	;;#ASMEND
	;;#ASMSTART
	v_dot2_f32_f16 v8, v3, v118, v8
	;;#ASMEND
	;;#ASMSTART
	v_dot2_f32_f16 v8, v4, v119, v8
	;;#ASMEND
	ds_read_b128 v[84:87], v14 offset:16
	ds_read_b128 v[1:4], v14 offset:2576
	;; [unrolled: 1-line block ×10, first 2 shown]
	s_waitcnt lgkmcnt(7)
	;;#ASMSTART
	v_dot2_f32_f16 v82, v84, v88, v82
	;;#ASMEND
	;;#ASMSTART
	v_dot2_f32_f16 v82, v85, v89, v82
	;;#ASMEND
	;;#ASMSTART
	v_dot2_f32_f16 v82, v86, v90, v82
	;;#ASMEND
	;;#ASMSTART
	v_dot2_f32_f16 v82, v87, v91, v82
	;;#ASMEND
	s_waitcnt lgkmcnt(6)
	;;#ASMSTART
	v_dot2_f32_f16 v79, v84, v92, v79
	;;#ASMEND
	;;#ASMSTART
	v_dot2_f32_f16 v79, v85, v93, v79
	;;#ASMEND
	;;#ASMSTART
	v_dot2_f32_f16 v79, v86, v94, v79
	;;#ASMEND
	;;#ASMSTART
	v_dot2_f32_f16 v79, v87, v95, v79
	;;#ASMEND
	;; [unrolled: 13-line block ×8, first 2 shown]
	;;#ASMSTART
	v_dot2_f32_f16 v83, v1, v88, v83
	;;#ASMEND
	;;#ASMSTART
	v_dot2_f32_f16 v83, v2, v89, v83
	;;#ASMEND
	;; [unrolled: 3-line block ×32, first 2 shown]
	ds_read_b128 v[84:87], v14 offset:32
	ds_read_b128 v[1:4], v14 offset:2592
	;; [unrolled: 1-line block ×10, first 2 shown]
	s_waitcnt lgkmcnt(7)
	;;#ASMSTART
	v_dot2_f32_f16 v82, v84, v88, v82
	;;#ASMEND
	;;#ASMSTART
	v_dot2_f32_f16 v82, v85, v89, v82
	;;#ASMEND
	;;#ASMSTART
	v_dot2_f32_f16 v82, v86, v90, v82
	;;#ASMEND
	;;#ASMSTART
	v_dot2_f32_f16 v82, v87, v91, v82
	;;#ASMEND
	s_waitcnt lgkmcnt(6)
	;;#ASMSTART
	v_dot2_f32_f16 v79, v84, v92, v79
	;;#ASMEND
	;;#ASMSTART
	v_dot2_f32_f16 v79, v85, v93, v79
	;;#ASMEND
	;;#ASMSTART
	v_dot2_f32_f16 v79, v86, v94, v79
	;;#ASMEND
	;;#ASMSTART
	v_dot2_f32_f16 v79, v87, v95, v79
	;;#ASMEND
	s_waitcnt lgkmcnt(5)
	;;#ASMSTART
	v_dot2_f32_f16 v77, v84, v96, v77
	;;#ASMEND
	;;#ASMSTART
	v_dot2_f32_f16 v77, v85, v97, v77
	;;#ASMEND
	;;#ASMSTART
	v_dot2_f32_f16 v77, v86, v98, v77
	;;#ASMEND
	;;#ASMSTART
	v_dot2_f32_f16 v77, v87, v99, v77
	;;#ASMEND
	s_waitcnt lgkmcnt(4)
	;;#ASMSTART
	v_dot2_f32_f16 v76, v84, v100, v76
	;;#ASMEND
	;;#ASMSTART
	v_dot2_f32_f16 v76, v85, v101, v76
	;;#ASMEND
	;;#ASMSTART
	v_dot2_f32_f16 v76, v86, v102, v76
	;;#ASMEND
	;;#ASMSTART
	v_dot2_f32_f16 v76, v87, v103, v76
	;;#ASMEND
	s_waitcnt lgkmcnt(3)
	;;#ASMSTART
	v_dot2_f32_f16 v74, v84, v104, v74
	;;#ASMEND
	;;#ASMSTART
	v_dot2_f32_f16 v74, v85, v105, v74
	;;#ASMEND
	;;#ASMSTART
	v_dot2_f32_f16 v74, v86, v106, v74
	;;#ASMEND
	;;#ASMSTART
	v_dot2_f32_f16 v74, v87, v107, v74
	;;#ASMEND
	s_waitcnt lgkmcnt(2)
	;;#ASMSTART
	v_dot2_f32_f16 v72, v84, v108, v72
	;;#ASMEND
	;;#ASMSTART
	v_dot2_f32_f16 v72, v85, v109, v72
	;;#ASMEND
	;;#ASMSTART
	v_dot2_f32_f16 v72, v86, v110, v72
	;;#ASMEND
	;;#ASMSTART
	v_dot2_f32_f16 v72, v87, v111, v72
	;;#ASMEND
	s_waitcnt lgkmcnt(1)
	;;#ASMSTART
	v_dot2_f32_f16 v70, v84, v112, v70
	;;#ASMEND
	;;#ASMSTART
	v_dot2_f32_f16 v70, v85, v113, v70
	;;#ASMEND
	;;#ASMSTART
	v_dot2_f32_f16 v70, v86, v114, v70
	;;#ASMEND
	;;#ASMSTART
	v_dot2_f32_f16 v70, v87, v115, v70
	;;#ASMEND
	s_waitcnt lgkmcnt(0)
	;;#ASMSTART
	v_dot2_f32_f16 v7, v84, v116, v7
	;;#ASMEND
	;;#ASMSTART
	v_dot2_f32_f16 v7, v85, v117, v7
	;;#ASMEND
	;;#ASMSTART
	v_dot2_f32_f16 v7, v86, v118, v7
	;;#ASMEND
	;;#ASMSTART
	v_dot2_f32_f16 v7, v87, v119, v7
	;;#ASMEND
	;;#ASMSTART
	v_dot2_f32_f16 v83, v1, v88, v83
	;;#ASMEND
	;;#ASMSTART
	v_dot2_f32_f16 v83, v2, v89, v83
	;;#ASMEND
	;; [unrolled: 3-line block ×32, first 2 shown]
	ds_read_b128 v[84:87], v14 offset:48
	ds_read_b128 v[1:4], v14 offset:2608
	;; [unrolled: 1-line block ×10, first 2 shown]
	s_waitcnt lgkmcnt(7)
	;;#ASMSTART
	v_dot2_f32_f16 v82, v84, v88, v82
	;;#ASMEND
	;;#ASMSTART
	v_dot2_f32_f16 v82, v85, v89, v82
	;;#ASMEND
	;;#ASMSTART
	v_dot2_f32_f16 v82, v86, v90, v82
	;;#ASMEND
	;;#ASMSTART
	v_dot2_f32_f16 v82, v87, v91, v82
	;;#ASMEND
	s_waitcnt lgkmcnt(6)
	;;#ASMSTART
	v_dot2_f32_f16 v79, v84, v92, v79
	;;#ASMEND
	;;#ASMSTART
	v_dot2_f32_f16 v79, v85, v93, v79
	;;#ASMEND
	;;#ASMSTART
	v_dot2_f32_f16 v79, v86, v94, v79
	;;#ASMEND
	;;#ASMSTART
	v_dot2_f32_f16 v79, v87, v95, v79
	;;#ASMEND
	;; [unrolled: 13-line block ×8, first 2 shown]
	;;#ASMSTART
	v_dot2_f32_f16 v83, v1, v88, v83
	;;#ASMEND
	;;#ASMSTART
	v_dot2_f32_f16 v83, v2, v89, v83
	;;#ASMEND
	;; [unrolled: 3-line block ×32, first 2 shown]
	s_barrier
	global_load_dwordx4 v[1:4], v[5:6], off offset:128
	s_waitcnt vmcnt(0)
	ds_write_b128 v11, v[1:4]
	s_waitcnt lgkmcnt(0)
	s_barrier
	ds_read_b128 v[84:87], v14
	ds_read_b128 v[1:4], v14 offset:2560
	ds_read_b128 v[88:91], v9 offset:128
	;; [unrolled: 1-line block ×9, first 2 shown]
	s_waitcnt lgkmcnt(7)
	;;#ASMSTART
	v_dot2_f32_f16 v82, v84, v88, v82
	;;#ASMEND
	;;#ASMSTART
	v_dot2_f32_f16 v82, v85, v89, v82
	;;#ASMEND
	;;#ASMSTART
	v_dot2_f32_f16 v82, v86, v90, v82
	;;#ASMEND
	;;#ASMSTART
	v_dot2_f32_f16 v82, v87, v91, v82
	;;#ASMEND
	s_waitcnt lgkmcnt(6)
	;;#ASMSTART
	v_dot2_f32_f16 v79, v84, v92, v79
	;;#ASMEND
	;;#ASMSTART
	v_dot2_f32_f16 v79, v85, v93, v79
	;;#ASMEND
	;;#ASMSTART
	v_dot2_f32_f16 v79, v86, v94, v79
	;;#ASMEND
	;;#ASMSTART
	v_dot2_f32_f16 v79, v87, v95, v79
	;;#ASMEND
	s_waitcnt lgkmcnt(5)
	;;#ASMSTART
	v_dot2_f32_f16 v77, v84, v96, v77
	;;#ASMEND
	;;#ASMSTART
	v_dot2_f32_f16 v77, v85, v97, v77
	;;#ASMEND
	;;#ASMSTART
	v_dot2_f32_f16 v77, v86, v98, v77
	;;#ASMEND
	;;#ASMSTART
	v_dot2_f32_f16 v77, v87, v99, v77
	;;#ASMEND
	s_waitcnt lgkmcnt(4)
	;;#ASMSTART
	v_dot2_f32_f16 v76, v84, v100, v76
	;;#ASMEND
	;;#ASMSTART
	v_dot2_f32_f16 v76, v85, v101, v76
	;;#ASMEND
	;;#ASMSTART
	v_dot2_f32_f16 v76, v86, v102, v76
	;;#ASMEND
	;;#ASMSTART
	v_dot2_f32_f16 v76, v87, v103, v76
	;;#ASMEND
	s_waitcnt lgkmcnt(3)
	;;#ASMSTART
	v_dot2_f32_f16 v74, v84, v104, v74
	;;#ASMEND
	;;#ASMSTART
	v_dot2_f32_f16 v74, v85, v105, v74
	;;#ASMEND
	;;#ASMSTART
	v_dot2_f32_f16 v74, v86, v106, v74
	;;#ASMEND
	;;#ASMSTART
	v_dot2_f32_f16 v74, v87, v107, v74
	;;#ASMEND
	s_waitcnt lgkmcnt(2)
	;;#ASMSTART
	v_dot2_f32_f16 v72, v84, v108, v72
	;;#ASMEND
	;;#ASMSTART
	v_dot2_f32_f16 v72, v85, v109, v72
	;;#ASMEND
	;;#ASMSTART
	v_dot2_f32_f16 v72, v86, v110, v72
	;;#ASMEND
	;;#ASMSTART
	v_dot2_f32_f16 v72, v87, v111, v72
	;;#ASMEND
	s_waitcnt lgkmcnt(1)
	;;#ASMSTART
	v_dot2_f32_f16 v70, v84, v112, v70
	;;#ASMEND
	;;#ASMSTART
	v_dot2_f32_f16 v70, v85, v113, v70
	;;#ASMEND
	;;#ASMSTART
	v_dot2_f32_f16 v70, v86, v114, v70
	;;#ASMEND
	;;#ASMSTART
	v_dot2_f32_f16 v70, v87, v115, v70
	;;#ASMEND
	s_waitcnt lgkmcnt(0)
	;;#ASMSTART
	v_dot2_f32_f16 v7, v84, v116, v7
	;;#ASMEND
	;;#ASMSTART
	v_dot2_f32_f16 v7, v85, v117, v7
	;;#ASMEND
	;;#ASMSTART
	v_dot2_f32_f16 v7, v86, v118, v7
	;;#ASMEND
	;;#ASMSTART
	v_dot2_f32_f16 v7, v87, v119, v7
	;;#ASMEND
	;;#ASMSTART
	v_dot2_f32_f16 v83, v1, v88, v83
	;;#ASMEND
	;;#ASMSTART
	v_dot2_f32_f16 v83, v2, v89, v83
	;;#ASMEND
	;; [unrolled: 3-line block ×32, first 2 shown]
	ds_read_b128 v[84:87], v14 offset:16
	ds_read_b128 v[1:4], v14 offset:2576
	;; [unrolled: 1-line block ×10, first 2 shown]
	s_waitcnt lgkmcnt(7)
	;;#ASMSTART
	v_dot2_f32_f16 v82, v84, v88, v82
	;;#ASMEND
	;;#ASMSTART
	v_dot2_f32_f16 v82, v85, v89, v82
	;;#ASMEND
	;;#ASMSTART
	v_dot2_f32_f16 v82, v86, v90, v82
	;;#ASMEND
	;;#ASMSTART
	v_dot2_f32_f16 v82, v87, v91, v82
	;;#ASMEND
	s_waitcnt lgkmcnt(6)
	;;#ASMSTART
	v_dot2_f32_f16 v79, v84, v92, v79
	;;#ASMEND
	;;#ASMSTART
	v_dot2_f32_f16 v79, v85, v93, v79
	;;#ASMEND
	;;#ASMSTART
	v_dot2_f32_f16 v79, v86, v94, v79
	;;#ASMEND
	;;#ASMSTART
	v_dot2_f32_f16 v79, v87, v95, v79
	;;#ASMEND
	;; [unrolled: 13-line block ×8, first 2 shown]
	;;#ASMSTART
	v_dot2_f32_f16 v83, v1, v88, v83
	;;#ASMEND
	;;#ASMSTART
	v_dot2_f32_f16 v83, v2, v89, v83
	;;#ASMEND
	;; [unrolled: 3-line block ×32, first 2 shown]
	ds_read_b128 v[84:87], v14 offset:32
	ds_read_b128 v[1:4], v14 offset:2592
	ds_read_b128 v[88:91], v9 offset:160
	ds_read_b128 v[92:95], v9 offset:416
	ds_read_b128 v[96:99], v9 offset:672
	ds_read_b128 v[100:103], v9 offset:928
	ds_read_b128 v[104:107], v9 offset:1184
	ds_read_b128 v[108:111], v9 offset:1440
	ds_read_b128 v[112:115], v9 offset:1696
	ds_read_b128 v[116:119], v9 offset:1952
	s_waitcnt lgkmcnt(7)
	;;#ASMSTART
	v_dot2_f32_f16 v82, v84, v88, v82
	;;#ASMEND
	;;#ASMSTART
	v_dot2_f32_f16 v82, v85, v89, v82
	;;#ASMEND
	;;#ASMSTART
	v_dot2_f32_f16 v82, v86, v90, v82
	;;#ASMEND
	;;#ASMSTART
	v_dot2_f32_f16 v82, v87, v91, v82
	;;#ASMEND
	s_waitcnt lgkmcnt(6)
	;;#ASMSTART
	v_dot2_f32_f16 v79, v84, v92, v79
	;;#ASMEND
	;;#ASMSTART
	v_dot2_f32_f16 v79, v85, v93, v79
	;;#ASMEND
	;;#ASMSTART
	v_dot2_f32_f16 v79, v86, v94, v79
	;;#ASMEND
	;;#ASMSTART
	v_dot2_f32_f16 v79, v87, v95, v79
	;;#ASMEND
	;; [unrolled: 13-line block ×8, first 2 shown]
	;;#ASMSTART
	v_dot2_f32_f16 v83, v1, v88, v83
	;;#ASMEND
	;;#ASMSTART
	v_dot2_f32_f16 v83, v2, v89, v83
	;;#ASMEND
	;; [unrolled: 3-line block ×32, first 2 shown]
	ds_read_b128 v[84:87], v14 offset:48
	ds_read_b128 v[1:4], v14 offset:2608
	;; [unrolled: 1-line block ×10, first 2 shown]
	s_waitcnt lgkmcnt(7)
	;;#ASMSTART
	v_dot2_f32_f16 v82, v84, v88, v82
	;;#ASMEND
	;;#ASMSTART
	v_dot2_f32_f16 v82, v85, v89, v82
	;;#ASMEND
	;;#ASMSTART
	v_dot2_f32_f16 v82, v86, v90, v82
	;;#ASMEND
	;;#ASMSTART
	v_dot2_f32_f16 v82, v87, v91, v82
	;;#ASMEND
	s_waitcnt lgkmcnt(6)
	;;#ASMSTART
	v_dot2_f32_f16 v79, v84, v92, v79
	;;#ASMEND
	;;#ASMSTART
	v_dot2_f32_f16 v79, v85, v93, v79
	;;#ASMEND
	;;#ASMSTART
	v_dot2_f32_f16 v79, v86, v94, v79
	;;#ASMEND
	;;#ASMSTART
	v_dot2_f32_f16 v79, v87, v95, v79
	;;#ASMEND
	;; [unrolled: 13-line block ×8, first 2 shown]
	;;#ASMSTART
	v_dot2_f32_f16 v83, v1, v88, v83
	;;#ASMEND
	;;#ASMSTART
	v_dot2_f32_f16 v83, v2, v89, v83
	;;#ASMEND
	;; [unrolled: 3-line block ×32, first 2 shown]
	s_barrier
	global_load_dwordx4 v[1:4], v[5:6], off offset:192
	s_waitcnt vmcnt(0)
	ds_write_b128 v11, v[1:4]
	s_waitcnt lgkmcnt(0)
	s_barrier
	ds_read_b128 v[84:87], v14
	ds_read_b128 v[1:4], v14 offset:2560
	ds_read_b128 v[88:91], v9 offset:192
	;; [unrolled: 1-line block ×9, first 2 shown]
	s_waitcnt lgkmcnt(7)
	;;#ASMSTART
	v_dot2_f32_f16 v82, v84, v88, v82
	;;#ASMEND
	;;#ASMSTART
	v_dot2_f32_f16 v82, v85, v89, v82
	;;#ASMEND
	;;#ASMSTART
	v_dot2_f32_f16 v82, v86, v90, v82
	;;#ASMEND
	;;#ASMSTART
	v_dot2_f32_f16 v82, v87, v91, v82
	;;#ASMEND
	s_waitcnt lgkmcnt(6)
	;;#ASMSTART
	v_dot2_f32_f16 v79, v84, v92, v79
	;;#ASMEND
	;;#ASMSTART
	v_dot2_f32_f16 v79, v85, v93, v79
	;;#ASMEND
	;;#ASMSTART
	v_dot2_f32_f16 v79, v86, v94, v79
	;;#ASMEND
	;;#ASMSTART
	v_dot2_f32_f16 v79, v87, v95, v79
	;;#ASMEND
	;; [unrolled: 13-line block ×8, first 2 shown]
	;;#ASMSTART
	v_dot2_f32_f16 v83, v1, v88, v83
	;;#ASMEND
	;;#ASMSTART
	v_dot2_f32_f16 v83, v2, v89, v83
	;;#ASMEND
	;; [unrolled: 3-line block ×32, first 2 shown]
	ds_read_b128 v[84:87], v14 offset:16
	ds_read_b128 v[1:4], v14 offset:2576
	;; [unrolled: 1-line block ×10, first 2 shown]
	s_waitcnt lgkmcnt(7)
	;;#ASMSTART
	v_dot2_f32_f16 v82, v84, v88, v82
	;;#ASMEND
	;;#ASMSTART
	v_dot2_f32_f16 v82, v85, v89, v82
	;;#ASMEND
	;;#ASMSTART
	v_dot2_f32_f16 v82, v86, v90, v82
	;;#ASMEND
	;;#ASMSTART
	v_dot2_f32_f16 v82, v87, v91, v82
	;;#ASMEND
	s_waitcnt lgkmcnt(6)
	;;#ASMSTART
	v_dot2_f32_f16 v79, v84, v92, v79
	;;#ASMEND
	;;#ASMSTART
	v_dot2_f32_f16 v79, v85, v93, v79
	;;#ASMEND
	;;#ASMSTART
	v_dot2_f32_f16 v79, v86, v94, v79
	;;#ASMEND
	;;#ASMSTART
	v_dot2_f32_f16 v79, v87, v95, v79
	;;#ASMEND
	;; [unrolled: 13-line block ×8, first 2 shown]
	;;#ASMSTART
	v_dot2_f32_f16 v83, v1, v88, v83
	;;#ASMEND
	;;#ASMSTART
	v_dot2_f32_f16 v83, v2, v89, v83
	;;#ASMEND
	;; [unrolled: 3-line block ×32, first 2 shown]
	ds_read_b128 v[84:87], v14 offset:32
	ds_read_b128 v[1:4], v14 offset:2592
	;; [unrolled: 1-line block ×10, first 2 shown]
	s_waitcnt lgkmcnt(7)
	;;#ASMSTART
	v_dot2_f32_f16 v82, v84, v88, v82
	;;#ASMEND
	;;#ASMSTART
	v_dot2_f32_f16 v82, v85, v89, v82
	;;#ASMEND
	;;#ASMSTART
	v_dot2_f32_f16 v82, v86, v90, v82
	;;#ASMEND
	;;#ASMSTART
	v_dot2_f32_f16 v82, v87, v91, v82
	;;#ASMEND
	s_waitcnt lgkmcnt(6)
	;;#ASMSTART
	v_dot2_f32_f16 v79, v84, v92, v79
	;;#ASMEND
	;;#ASMSTART
	v_dot2_f32_f16 v79, v85, v93, v79
	;;#ASMEND
	;;#ASMSTART
	v_dot2_f32_f16 v79, v86, v94, v79
	;;#ASMEND
	;;#ASMSTART
	v_dot2_f32_f16 v79, v87, v95, v79
	;;#ASMEND
	s_waitcnt lgkmcnt(5)
	;;#ASMSTART
	v_dot2_f32_f16 v77, v84, v96, v77
	;;#ASMEND
	;;#ASMSTART
	v_dot2_f32_f16 v77, v85, v97, v77
	;;#ASMEND
	;;#ASMSTART
	v_dot2_f32_f16 v77, v86, v98, v77
	;;#ASMEND
	;;#ASMSTART
	v_dot2_f32_f16 v77, v87, v99, v77
	;;#ASMEND
	s_waitcnt lgkmcnt(4)
	;;#ASMSTART
	v_dot2_f32_f16 v76, v84, v100, v76
	;;#ASMEND
	;;#ASMSTART
	v_dot2_f32_f16 v76, v85, v101, v76
	;;#ASMEND
	;;#ASMSTART
	v_dot2_f32_f16 v76, v86, v102, v76
	;;#ASMEND
	;;#ASMSTART
	v_dot2_f32_f16 v76, v87, v103, v76
	;;#ASMEND
	s_waitcnt lgkmcnt(3)
	;;#ASMSTART
	v_dot2_f32_f16 v74, v84, v104, v74
	;;#ASMEND
	;;#ASMSTART
	v_dot2_f32_f16 v74, v85, v105, v74
	;;#ASMEND
	;;#ASMSTART
	v_dot2_f32_f16 v74, v86, v106, v74
	;;#ASMEND
	;;#ASMSTART
	v_dot2_f32_f16 v74, v87, v107, v74
	;;#ASMEND
	s_waitcnt lgkmcnt(2)
	;;#ASMSTART
	v_dot2_f32_f16 v72, v84, v108, v72
	;;#ASMEND
	;;#ASMSTART
	v_dot2_f32_f16 v72, v85, v109, v72
	;;#ASMEND
	;;#ASMSTART
	v_dot2_f32_f16 v72, v86, v110, v72
	;;#ASMEND
	;;#ASMSTART
	v_dot2_f32_f16 v72, v87, v111, v72
	;;#ASMEND
	s_waitcnt lgkmcnt(1)
	;;#ASMSTART
	v_dot2_f32_f16 v70, v84, v112, v70
	;;#ASMEND
	;;#ASMSTART
	v_dot2_f32_f16 v70, v85, v113, v70
	;;#ASMEND
	;;#ASMSTART
	v_dot2_f32_f16 v70, v86, v114, v70
	;;#ASMEND
	;;#ASMSTART
	v_dot2_f32_f16 v70, v87, v115, v70
	;;#ASMEND
	s_waitcnt lgkmcnt(0)
	;;#ASMSTART
	v_dot2_f32_f16 v7, v84, v116, v7
	;;#ASMEND
	;;#ASMSTART
	v_dot2_f32_f16 v7, v85, v117, v7
	;;#ASMEND
	;;#ASMSTART
	v_dot2_f32_f16 v7, v86, v118, v7
	;;#ASMEND
	;;#ASMSTART
	v_dot2_f32_f16 v7, v87, v119, v7
	;;#ASMEND
	;;#ASMSTART
	v_dot2_f32_f16 v83, v1, v88, v83
	;;#ASMEND
	;;#ASMSTART
	v_dot2_f32_f16 v83, v2, v89, v83
	;;#ASMEND
	;;#ASMSTART
	v_dot2_f32_f16 v83, v3, v90, v83
	;;#ASMEND
	;;#ASMSTART
	v_dot2_f32_f16 v83, v4, v91, v83
	;;#ASMEND
	;;#ASMSTART
	v_dot2_f32_f16 v81, v1, v92, v81
	;;#ASMEND
	;;#ASMSTART
	v_dot2_f32_f16 v81, v2, v93, v81
	;;#ASMEND
	;;#ASMSTART
	v_dot2_f32_f16 v81, v3, v94, v81
	;;#ASMEND
	;;#ASMSTART
	v_dot2_f32_f16 v81, v4, v95, v81
	;;#ASMEND
	;;#ASMSTART
	v_dot2_f32_f16 v80, v1, v96, v80
	;;#ASMEND
	;;#ASMSTART
	v_dot2_f32_f16 v80, v2, v97, v80
	;;#ASMEND
	;;#ASMSTART
	v_dot2_f32_f16 v80, v3, v98, v80
	;;#ASMEND
	;;#ASMSTART
	v_dot2_f32_f16 v80, v4, v99, v80
	;;#ASMEND
	;;#ASMSTART
	v_dot2_f32_f16 v78, v1, v100, v78
	;;#ASMEND
	;;#ASMSTART
	v_dot2_f32_f16 v78, v2, v101, v78
	;;#ASMEND
	;;#ASMSTART
	v_dot2_f32_f16 v78, v3, v102, v78
	;;#ASMEND
	;;#ASMSTART
	v_dot2_f32_f16 v78, v4, v103, v78
	;;#ASMEND
	;;#ASMSTART
	v_dot2_f32_f16 v75, v1, v104, v75
	;;#ASMEND
	;;#ASMSTART
	v_dot2_f32_f16 v75, v2, v105, v75
	;;#ASMEND
	;;#ASMSTART
	v_dot2_f32_f16 v75, v3, v106, v75
	;;#ASMEND
	;;#ASMSTART
	v_dot2_f32_f16 v75, v4, v107, v75
	;;#ASMEND
	;;#ASMSTART
	v_dot2_f32_f16 v73, v1, v108, v73
	;;#ASMEND
	;;#ASMSTART
	v_dot2_f32_f16 v73, v2, v109, v73
	;;#ASMEND
	;;#ASMSTART
	v_dot2_f32_f16 v73, v3, v110, v73
	;;#ASMEND
	;;#ASMSTART
	v_dot2_f32_f16 v73, v4, v111, v73
	;;#ASMEND
	;;#ASMSTART
	v_dot2_f32_f16 v71, v1, v112, v71
	;;#ASMEND
	;;#ASMSTART
	v_dot2_f32_f16 v71, v2, v113, v71
	;;#ASMEND
	;;#ASMSTART
	v_dot2_f32_f16 v71, v3, v114, v71
	;;#ASMEND
	;;#ASMSTART
	v_dot2_f32_f16 v71, v4, v115, v71
	;;#ASMEND
	;;#ASMSTART
	v_dot2_f32_f16 v8, v1, v116, v8
	;;#ASMEND
	;;#ASMSTART
	v_dot2_f32_f16 v8, v2, v117, v8
	;;#ASMEND
	;;#ASMSTART
	v_dot2_f32_f16 v8, v3, v118, v8
	;;#ASMEND
	;;#ASMSTART
	v_dot2_f32_f16 v8, v4, v119, v8
	;;#ASMEND
	ds_read_b128 v[84:87], v14 offset:48
	ds_read_b128 v[1:4], v14 offset:2608
	;; [unrolled: 1-line block ×10, first 2 shown]
	s_waitcnt lgkmcnt(7)
	;;#ASMSTART
	v_dot2_f32_f16 v82, v84, v88, v82
	;;#ASMEND
	;;#ASMSTART
	v_dot2_f32_f16 v82, v85, v89, v82
	;;#ASMEND
	;;#ASMSTART
	v_dot2_f32_f16 v82, v86, v90, v82
	;;#ASMEND
	;;#ASMSTART
	v_dot2_f32_f16 v82, v87, v91, v82
	;;#ASMEND
	s_waitcnt lgkmcnt(6)
	;;#ASMSTART
	v_dot2_f32_f16 v79, v84, v92, v79
	;;#ASMEND
	;;#ASMSTART
	v_dot2_f32_f16 v79, v85, v93, v79
	;;#ASMEND
	;;#ASMSTART
	v_dot2_f32_f16 v79, v86, v94, v79
	;;#ASMEND
	;;#ASMSTART
	v_dot2_f32_f16 v79, v87, v95, v79
	;;#ASMEND
	;; [unrolled: 13-line block ×8, first 2 shown]
	;;#ASMSTART
	v_dot2_f32_f16 v83, v1, v88, v83
	;;#ASMEND
	;;#ASMSTART
	v_dot2_f32_f16 v83, v2, v89, v83
	;;#ASMEND
	;; [unrolled: 3-line block ×31, first 2 shown]
	v_cmp_nlt_f32_e64 s[8:9], |v82|, s10
	;;#ASMSTART
	v_dot2_f32_f16 v8, v4, v119, v8
	;;#ASMEND
                                        ; implicit-def: $vgpr3
	s_and_saveexec_b64 s[26:27], s[8:9]
	s_xor_b64 s[8:9], exec, s[26:27]
	s_cbranch_execz .LBB75_14
; %bb.13:                               ;   in Loop: Header=BB75_12 Depth=1
	v_add_f32_e64 v1, |v82|, |v82|
	v_mul_f32_e32 v2, 0x3fb8aa3b, v1
	v_rndne_f32_e32 v3, v2
	v_sub_f32_e32 v4, v2, v3
	v_fma_f32 v2, v1, s11, -v2
	v_fmac_f32_e32 v2, 0x32a5705f, v1
	v_add_f32_e32 v2, v4, v2
	v_cvt_i32_f32_e32 v3, v3
	v_exp_f32_e32 v2, v2
	v_cmp_ngt_f32_e32 vcc, s12, v1
	v_ldexp_f32 v2, v2, v3
	v_cndmask_b32_e32 v2, 0, v2, vcc
	v_cmp_nlt_f32_e32 vcc, s13, v1
	v_cndmask_b32_e32 v1, v26, v2, vcc
	v_add_f32_e32 v1, 1.0, v1
	v_rcp_f32_e32 v1, v1
	v_fma_f32 v3, v1, -2.0, 1.0
.LBB75_14:                              ;   in Loop: Header=BB75_12 Depth=1
	s_andn2_saveexec_b64 s[8:9], s[8:9]
; %bb.15:                               ;   in Loop: Header=BB75_12 Depth=1
	v_mul_f32_e32 v1, v82, v82
	v_mov_b32_e32 v2, 0x3ca908c9
	v_fmac_f32_e32 v2, 0xbbbac73d, v1
	v_fma_f32 v2, v1, v2, v22
	v_fma_f32 v2, v1, v2, v23
	;; [unrolled: 1-line block ×3, first 2 shown]
	v_mul_f32_e64 v2, |v82|, v2
	v_fma_f32 v3, v1, v2, |v82|
; %bb.16:                               ;   in Loop: Header=BB75_12 Depth=1
	s_or_b64 exec, exec, s[8:9]
	v_add_u32_e32 v5, s6, v0
	v_add_u32_e32 v1, v5, v15
	v_ashrrev_i32_e32 v2, 31, v1
	v_lshlrev_b64 v[1:2], 1, v[1:2]
	v_mov_b32_e32 v4, s35
	v_add_co_u32_e32 v1, vcc, s34, v1
	v_addc_co_u32_e32 v2, vcc, v4, v2, vcc
	global_load_ushort v6, v[1:2], off
	v_cmp_nlt_f32_e64 s[8:9], |v83|, s10
                                        ; implicit-def: $vgpr4
	s_and_saveexec_b64 s[26:27], s[8:9]
	s_xor_b64 s[8:9], exec, s[26:27]
	s_cbranch_execz .LBB75_18
; %bb.17:                               ;   in Loop: Header=BB75_12 Depth=1
	v_add_f32_e64 v4, |v83|, |v83|
	v_mul_f32_e32 v84, 0x3fb8aa3b, v4
	v_rndne_f32_e32 v85, v84
	v_sub_f32_e32 v86, v84, v85
	v_fma_f32 v84, v4, s11, -v84
	v_fmac_f32_e32 v84, 0x32a5705f, v4
	v_add_f32_e32 v84, v86, v84
	v_cvt_i32_f32_e32 v85, v85
	v_exp_f32_e32 v84, v84
	v_cmp_ngt_f32_e32 vcc, s12, v4
	v_ldexp_f32 v84, v84, v85
	v_cndmask_b32_e32 v84, 0, v84, vcc
	v_cmp_nlt_f32_e32 vcc, s13, v4
	v_cndmask_b32_e32 v4, v26, v84, vcc
	v_add_f32_e32 v4, 1.0, v4
	v_rcp_f32_e32 v4, v4
	v_fma_f32 v4, v4, -2.0, 1.0
.LBB75_18:                              ;   in Loop: Header=BB75_12 Depth=1
	s_andn2_saveexec_b64 s[8:9], s[8:9]
; %bb.19:                               ;   in Loop: Header=BB75_12 Depth=1
	v_mul_f32_e32 v4, v83, v83
	v_mov_b32_e32 v84, 0x3ca908c9
	v_fmac_f32_e32 v84, 0xbbbac73d, v4
	v_fma_f32 v84, v4, v84, v22
	v_fma_f32 v84, v4, v84, v23
	;; [unrolled: 1-line block ×3, first 2 shown]
	v_mul_f32_e64 v84, |v83|, v84
	v_fma_f32 v4, v4, v84, |v83|
; %bb.20:                               ;   in Loop: Header=BB75_12 Depth=1
	s_or_b64 exec, exec, s[8:9]
	global_load_ushort v1, v[1:2], off offset:64
	v_bfi_b32 v2, s24, v3, v82
	v_and_b32_e32 v3, 0x60, v10
	v_add_u32_e32 v82, 32, v3
	v_xor_b32_e32 v84, 16, v10
	v_bfi_b32 v4, s24, v4, v83
	s_waitcnt vmcnt(1)
	v_fma_mix_f32 v91, s15, v2, v6 op_sel_hi:[0,0,1]
	v_cmp_lt_i32_e32 vcc, v84, v82
	v_add_f32_e32 v2, 0x40051340, v91
	v_cndmask_b32_e32 v3, v10, v84, vcc
	v_lshlrev_b32_e32 v3, 2, v3
	v_xor_b32_e32 v86, 8, v10
	v_cmp_lt_i32_e32 vcc, v86, v82
	v_cmp_nlt_f32_e64 s[8:9], |v79|, s10
	s_waitcnt vmcnt(0)
	v_fma_mix_f32 v90, s15, v4, v1 op_sel_hi:[0,0,1]
	v_add_f32_e32 v4, 0x40051340, v90
	v_max3_f32 v2, v69, v2, v4
	ds_bpermute_b32 v83, v3, v2
	v_cndmask_b32_e32 v4, v10, v86, vcc
	v_lshlrev_b32_e32 v4, 2, v4
	s_waitcnt lgkmcnt(0)
	v_max_f32_e32 v83, v83, v83
	v_max_f32_e32 v2, v2, v83
	ds_bpermute_b32 v85, v4, v2
	v_xor_b32_e32 v83, 4, v10
	v_cmp_lt_i32_e32 vcc, v83, v82
	v_cndmask_b32_e32 v87, v10, v83, vcc
	v_lshlrev_b32_e32 v93, 2, v87
	s_waitcnt lgkmcnt(0)
	v_max_f32_e32 v85, v85, v85
	v_max_f32_e32 v2, v2, v85
	ds_bpermute_b32 v85, v93, v2
	v_xor_b32_e32 v87, 2, v10
	v_cmp_lt_i32_e32 vcc, v87, v82
	;; [unrolled: 8-line block ×3, first 2 shown]
	v_cndmask_b32_e32 v89, v10, v85, vcc
	v_lshlrev_b32_e32 v95, 2, v89
	s_waitcnt lgkmcnt(0)
	v_max_f32_e32 v88, v88, v88
	v_max_f32_e32 v92, v2, v88
	ds_bpermute_b32 v96, v95, v92
                                        ; implicit-def: $vgpr2
	s_and_saveexec_b64 s[26:27], s[8:9]
	s_xor_b64 s[8:9], exec, s[26:27]
	s_cbranch_execz .LBB75_22
; %bb.21:                               ;   in Loop: Header=BB75_12 Depth=1
	v_add_f32_e64 v2, |v79|, |v79|
	v_mul_f32_e32 v88, 0x3fb8aa3b, v2
	v_rndne_f32_e32 v89, v88
	v_sub_f32_e32 v97, v88, v89
	v_fma_f32 v88, v2, s11, -v88
	v_fmac_f32_e32 v88, 0x32a5705f, v2
	v_add_f32_e32 v88, v97, v88
	v_cvt_i32_f32_e32 v89, v89
	v_exp_f32_e32 v88, v88
	v_cmp_ngt_f32_e32 vcc, s12, v2
	v_ldexp_f32 v88, v88, v89
	v_cndmask_b32_e32 v88, 0, v88, vcc
	v_cmp_nlt_f32_e32 vcc, s13, v2
	v_cndmask_b32_e32 v2, v26, v88, vcc
	v_add_f32_e32 v2, 1.0, v2
	v_rcp_f32_e32 v2, v2
	v_fma_f32 v2, v2, -2.0, 1.0
.LBB75_22:                              ;   in Loop: Header=BB75_12 Depth=1
	s_andn2_saveexec_b64 s[8:9], s[8:9]
; %bb.23:                               ;   in Loop: Header=BB75_12 Depth=1
	v_mul_f32_e32 v2, v79, v79
	v_mov_b32_e32 v88, 0x3ca908c9
	v_fmac_f32_e32 v88, 0xbbbac73d, v2
	v_fma_f32 v88, v2, v88, v22
	v_fma_f32 v88, v2, v88, v23
	;; [unrolled: 1-line block ×3, first 2 shown]
	v_mul_f32_e64 v88, |v79|, v88
	v_fma_f32 v2, v2, v88, |v79|
; %bb.24:                               ;   in Loop: Header=BB75_12 Depth=1
	s_or_b64 exec, exec, s[8:9]
	v_cmp_nlt_f32_e64 s[8:9], |v81|, s10
                                        ; implicit-def: $vgpr97
	s_and_saveexec_b64 s[26:27], s[8:9]
	s_xor_b64 s[8:9], exec, s[26:27]
	s_cbranch_execz .LBB75_26
; %bb.25:                               ;   in Loop: Header=BB75_12 Depth=1
	v_add_f32_e64 v88, |v81|, |v81|
	v_mul_f32_e32 v89, 0x3fb8aa3b, v88
	v_rndne_f32_e32 v97, v89
	v_sub_f32_e32 v98, v89, v97
	v_fma_f32 v89, v88, s11, -v89
	v_fmac_f32_e32 v89, 0x32a5705f, v88
	v_add_f32_e32 v89, v98, v89
	v_cvt_i32_f32_e32 v97, v97
	v_exp_f32_e32 v89, v89
	v_cmp_ngt_f32_e32 vcc, s12, v88
	v_ldexp_f32 v89, v89, v97
	v_cndmask_b32_e32 v89, 0, v89, vcc
	v_cmp_nlt_f32_e32 vcc, s13, v88
	v_cndmask_b32_e32 v88, v26, v89, vcc
	v_add_f32_e32 v88, 1.0, v88
	v_rcp_f32_e32 v88, v88
	v_fma_f32 v97, v88, -2.0, 1.0
.LBB75_26:                              ;   in Loop: Header=BB75_12 Depth=1
	s_andn2_saveexec_b64 s[8:9], s[8:9]
; %bb.27:                               ;   in Loop: Header=BB75_12 Depth=1
	v_mul_f32_e32 v88, v81, v81
	v_mov_b32_e32 v89, 0x3ca908c9
	v_fmac_f32_e32 v89, 0xbbbac73d, v88
	v_fma_f32 v89, v88, v89, v22
	v_fma_f32 v89, v88, v89, v23
	;; [unrolled: 1-line block ×3, first 2 shown]
	v_mul_f32_e64 v89, |v81|, v89
	v_fma_f32 v97, v88, v89, |v81|
; %bb.28:                               ;   in Loop: Header=BB75_12 Depth=1
	s_or_b64 exec, exec, s[8:9]
	v_cvt_f32_f16_e32 v89, v6
	v_cvt_f32_f16_e32 v88, v1
	v_bfi_b32 v1, s24, v2, v79
	v_bfi_b32 v2, s24, v97, v81
	v_fma_f32 v81, s15, v1, v89
	v_fma_f32 v79, s15, v2, v88
	v_add_f32_e32 v1, 0x40051340, v81
	v_add_f32_e32 v2, 0x40051340, v79
	v_max3_f32 v1, v68, v1, v2
	ds_bpermute_b32 v2, v3, v1
	v_cmp_nlt_f32_e64 s[8:9], |v77|, s10
	s_waitcnt lgkmcnt(0)
	v_max_f32_e32 v2, v2, v2
	v_max_f32_e32 v1, v1, v2
	ds_bpermute_b32 v2, v4, v1
	s_waitcnt lgkmcnt(0)
	v_max_f32_e32 v2, v2, v2
	v_max_f32_e32 v1, v1, v2
	ds_bpermute_b32 v2, v93, v1
	;; [unrolled: 4-line block ×4, first 2 shown]
                                        ; implicit-def: $vgpr1
	s_and_saveexec_b64 s[26:27], s[8:9]
	s_xor_b64 s[8:9], exec, s[26:27]
	s_cbranch_execz .LBB75_30
; %bb.29:                               ;   in Loop: Header=BB75_12 Depth=1
	v_add_f32_e64 v1, |v77|, |v77|
	v_mul_f32_e32 v2, 0x3fb8aa3b, v1
	v_rndne_f32_e32 v6, v2
	v_sub_f32_e32 v97, v2, v6
	v_fma_f32 v2, v1, s11, -v2
	v_fmac_f32_e32 v2, 0x32a5705f, v1
	v_add_f32_e32 v2, v97, v2
	v_cvt_i32_f32_e32 v6, v6
	v_exp_f32_e32 v2, v2
	v_cmp_ngt_f32_e32 vcc, s12, v1
	v_ldexp_f32 v2, v2, v6
	v_cndmask_b32_e32 v2, 0, v2, vcc
	v_cmp_nlt_f32_e32 vcc, s13, v1
	v_cndmask_b32_e32 v1, v26, v2, vcc
	v_add_f32_e32 v1, 1.0, v1
	v_rcp_f32_e32 v1, v1
	v_fma_f32 v1, v1, -2.0, 1.0
.LBB75_30:                              ;   in Loop: Header=BB75_12 Depth=1
	s_andn2_saveexec_b64 s[8:9], s[8:9]
; %bb.31:                               ;   in Loop: Header=BB75_12 Depth=1
	v_mul_f32_e32 v1, v77, v77
	v_mov_b32_e32 v2, 0x3ca908c9
	v_fmac_f32_e32 v2, 0xbbbac73d, v1
	v_fma_f32 v2, v1, v2, v22
	v_fma_f32 v2, v1, v2, v23
	;; [unrolled: 1-line block ×3, first 2 shown]
	v_mul_f32_e64 v2, |v77|, v2
	v_fma_f32 v1, v1, v2, |v77|
; %bb.32:                               ;   in Loop: Header=BB75_12 Depth=1
	s_or_b64 exec, exec, s[8:9]
	v_cmp_nlt_f32_e64 s[8:9], |v80|, s10
                                        ; implicit-def: $vgpr2
	s_and_saveexec_b64 s[26:27], s[8:9]
	s_xor_b64 s[8:9], exec, s[26:27]
	s_cbranch_execz .LBB75_34
; %bb.33:                               ;   in Loop: Header=BB75_12 Depth=1
	v_add_f32_e64 v2, |v80|, |v80|
	v_mul_f32_e32 v6, 0x3fb8aa3b, v2
	v_rndne_f32_e32 v97, v6
	v_sub_f32_e32 v100, v6, v97
	v_fma_f32 v6, v2, s11, -v6
	v_fmac_f32_e32 v6, 0x32a5705f, v2
	v_add_f32_e32 v6, v100, v6
	v_cvt_i32_f32_e32 v97, v97
	v_exp_f32_e32 v6, v6
	v_cmp_ngt_f32_e32 vcc, s12, v2
	v_ldexp_f32 v6, v6, v97
	v_cndmask_b32_e32 v6, 0, v6, vcc
	v_cmp_nlt_f32_e32 vcc, s13, v2
	v_cndmask_b32_e32 v2, v26, v6, vcc
	v_add_f32_e32 v2, 1.0, v2
	v_rcp_f32_e32 v2, v2
	v_fma_f32 v2, v2, -2.0, 1.0
.LBB75_34:                              ;   in Loop: Header=BB75_12 Depth=1
	s_andn2_saveexec_b64 s[8:9], s[8:9]
; %bb.35:                               ;   in Loop: Header=BB75_12 Depth=1
	v_mul_f32_e32 v2, v80, v80
	v_mov_b32_e32 v6, 0x3ca908c9
	v_fmac_f32_e32 v6, 0xbbbac73d, v2
	v_fma_f32 v6, v2, v6, v22
	v_fma_f32 v6, v2, v6, v23
	;; [unrolled: 1-line block ×3, first 2 shown]
	v_mul_f32_e64 v6, |v80|, v6
	v_fma_f32 v2, v2, v6, |v80|
; %bb.36:                               ;   in Loop: Header=BB75_12 Depth=1
	s_or_b64 exec, exec, s[8:9]
	v_bfi_b32 v1, s24, v1, v77
	v_bfi_b32 v2, s24, v2, v80
	v_fma_f32 v97, s15, v1, v89
	v_fma_f32 v80, s15, v2, v88
	v_add_f32_e32 v1, 0x40051340, v97
	v_add_f32_e32 v2, 0x40051340, v80
	v_max3_f32 v1, v65, v1, v2
	ds_bpermute_b32 v2, v3, v1
	v_cmp_nlt_f32_e64 s[8:9], |v76|, s10
	s_waitcnt lgkmcnt(0)
	v_max_f32_e32 v2, v2, v2
	v_max_f32_e32 v1, v1, v2
	ds_bpermute_b32 v2, v4, v1
	s_waitcnt lgkmcnt(0)
	v_max_f32_e32 v2, v2, v2
	v_max_f32_e32 v1, v1, v2
	ds_bpermute_b32 v2, v93, v1
	;; [unrolled: 4-line block ×4, first 2 shown]
                                        ; implicit-def: $vgpr1
	s_and_saveexec_b64 s[26:27], s[8:9]
	s_xor_b64 s[8:9], exec, s[26:27]
	s_cbranch_execz .LBB75_38
; %bb.37:                               ;   in Loop: Header=BB75_12 Depth=1
	v_add_f32_e64 v1, |v76|, |v76|
	v_mul_f32_e32 v2, 0x3fb8aa3b, v1
	v_rndne_f32_e32 v6, v2
	v_sub_f32_e32 v77, v2, v6
	v_fma_f32 v2, v1, s11, -v2
	v_fmac_f32_e32 v2, 0x32a5705f, v1
	v_add_f32_e32 v2, v77, v2
	v_cvt_i32_f32_e32 v6, v6
	v_exp_f32_e32 v2, v2
	v_cmp_ngt_f32_e32 vcc, s12, v1
	v_ldexp_f32 v2, v2, v6
	v_cndmask_b32_e32 v2, 0, v2, vcc
	v_cmp_nlt_f32_e32 vcc, s13, v1
	v_cndmask_b32_e32 v1, v26, v2, vcc
	v_add_f32_e32 v1, 1.0, v1
	v_rcp_f32_e32 v1, v1
	v_fma_f32 v1, v1, -2.0, 1.0
.LBB75_38:                              ;   in Loop: Header=BB75_12 Depth=1
	s_andn2_saveexec_b64 s[8:9], s[8:9]
; %bb.39:                               ;   in Loop: Header=BB75_12 Depth=1
	v_mul_f32_e32 v1, v76, v76
	v_mov_b32_e32 v2, 0x3ca908c9
	v_fmac_f32_e32 v2, 0xbbbac73d, v1
	v_fma_f32 v2, v1, v2, v22
	v_fma_f32 v2, v1, v2, v23
	;; [unrolled: 1-line block ×3, first 2 shown]
	v_mul_f32_e64 v2, |v76|, v2
	v_fma_f32 v1, v1, v2, |v76|
; %bb.40:                               ;   in Loop: Header=BB75_12 Depth=1
	s_or_b64 exec, exec, s[8:9]
	v_cmp_nlt_f32_e64 s[8:9], |v78|, s10
                                        ; implicit-def: $vgpr2
	s_and_saveexec_b64 s[26:27], s[8:9]
	s_xor_b64 s[8:9], exec, s[26:27]
	s_cbranch_execz .LBB75_42
; %bb.41:                               ;   in Loop: Header=BB75_12 Depth=1
	v_add_f32_e64 v2, |v78|, |v78|
	v_mul_f32_e32 v6, 0x3fb8aa3b, v2
	v_rndne_f32_e32 v77, v6
	v_sub_f32_e32 v102, v6, v77
	v_fma_f32 v6, v2, s11, -v6
	v_fmac_f32_e32 v6, 0x32a5705f, v2
	v_add_f32_e32 v6, v102, v6
	v_cvt_i32_f32_e32 v77, v77
	v_exp_f32_e32 v6, v6
	v_cmp_ngt_f32_e32 vcc, s12, v2
	v_ldexp_f32 v6, v6, v77
	v_cndmask_b32_e32 v6, 0, v6, vcc
	v_cmp_nlt_f32_e32 vcc, s13, v2
	v_cndmask_b32_e32 v2, v26, v6, vcc
	v_add_f32_e32 v2, 1.0, v2
	v_rcp_f32_e32 v2, v2
	v_fma_f32 v2, v2, -2.0, 1.0
.LBB75_42:                              ;   in Loop: Header=BB75_12 Depth=1
	s_andn2_saveexec_b64 s[8:9], s[8:9]
; %bb.43:                               ;   in Loop: Header=BB75_12 Depth=1
	v_mul_f32_e32 v2, v78, v78
	v_mov_b32_e32 v6, 0x3ca908c9
	v_fmac_f32_e32 v6, 0xbbbac73d, v2
	v_fma_f32 v6, v2, v6, v22
	v_fma_f32 v6, v2, v6, v23
	;; [unrolled: 1-line block ×3, first 2 shown]
	v_mul_f32_e64 v6, |v78|, v6
	v_fma_f32 v2, v2, v6, |v78|
; %bb.44:                               ;   in Loop: Header=BB75_12 Depth=1
	s_or_b64 exec, exec, s[8:9]
	v_bfi_b32 v1, s24, v1, v76
	v_bfi_b32 v2, s24, v2, v78
	v_fmac_f32_e32 v89, s15, v1
	v_fmac_f32_e32 v88, s15, v2
	v_add_f32_e32 v1, 0x40051340, v89
	v_add_f32_e32 v2, 0x40051340, v88
	v_max3_f32 v1, v63, v1, v2
	ds_bpermute_b32 v2, v3, v1
	v_cmp_nlt_f32_e64 s[8:9], |v74|, s10
                                        ; implicit-def: $vgpr76
	s_waitcnt lgkmcnt(0)
	v_max_f32_e32 v2, v2, v2
	v_max_f32_e32 v1, v1, v2
	ds_bpermute_b32 v2, v4, v1
	s_waitcnt lgkmcnt(0)
	v_max_f32_e32 v2, v2, v2
	v_max_f32_e32 v1, v1, v2
	ds_bpermute_b32 v2, v93, v1
	;; [unrolled: 4-line block ×4, first 2 shown]
	s_and_saveexec_b64 s[26:27], s[8:9]
	s_xor_b64 s[8:9], exec, s[26:27]
	s_cbranch_execz .LBB75_46
; %bb.45:                               ;   in Loop: Header=BB75_12 Depth=1
	v_add_f32_e64 v1, |v74|, |v74|
	v_mul_f32_e32 v2, 0x3fb8aa3b, v1
	v_rndne_f32_e32 v6, v2
	v_sub_f32_e32 v76, v2, v6
	v_fma_f32 v2, v1, s11, -v2
	v_fmac_f32_e32 v2, 0x32a5705f, v1
	v_add_f32_e32 v2, v76, v2
	v_cvt_i32_f32_e32 v6, v6
	v_exp_f32_e32 v2, v2
	v_cmp_ngt_f32_e32 vcc, s12, v1
	v_ldexp_f32 v2, v2, v6
	v_cndmask_b32_e32 v2, 0, v2, vcc
	v_cmp_nlt_f32_e32 vcc, s13, v1
	v_cndmask_b32_e32 v1, v26, v2, vcc
	v_add_f32_e32 v1, 1.0, v1
	v_rcp_f32_e32 v1, v1
	v_fma_f32 v76, v1, -2.0, 1.0
.LBB75_46:                              ;   in Loop: Header=BB75_12 Depth=1
	s_andn2_saveexec_b64 s[8:9], s[8:9]
; %bb.47:                               ;   in Loop: Header=BB75_12 Depth=1
	v_mul_f32_e32 v1, v74, v74
	v_mov_b32_e32 v2, 0x3ca908c9
	v_fmac_f32_e32 v2, 0xbbbac73d, v1
	v_fma_f32 v2, v1, v2, v22
	v_fma_f32 v2, v1, v2, v23
	;; [unrolled: 1-line block ×3, first 2 shown]
	v_mul_f32_e64 v2, |v74|, v2
	v_fma_f32 v76, v1, v2, |v74|
; %bb.48:                               ;   in Loop: Header=BB75_12 Depth=1
	s_or_b64 exec, exec, s[8:9]
	v_add_u32_e32 v1, v5, v16
	v_ashrrev_i32_e32 v2, 31, v1
	v_lshlrev_b64 v[1:2], 1, v[1:2]
	v_mov_b32_e32 v5, s35
	v_add_co_u32_e32 v1, vcc, s34, v1
	v_addc_co_u32_e32 v2, vcc, v5, v2, vcc
	global_load_ushort v5, v[1:2], off
	v_cmp_nlt_f32_e64 s[8:9], |v75|, s10
                                        ; implicit-def: $vgpr77
	s_and_saveexec_b64 s[26:27], s[8:9]
	s_xor_b64 s[8:9], exec, s[26:27]
	s_cbranch_execz .LBB75_50
; %bb.49:                               ;   in Loop: Header=BB75_12 Depth=1
	v_add_f32_e64 v6, |v75|, |v75|
	v_mul_f32_e32 v77, 0x3fb8aa3b, v6
	v_rndne_f32_e32 v78, v77
	v_sub_f32_e32 v102, v77, v78
	v_fma_f32 v77, v6, s11, -v77
	v_fmac_f32_e32 v77, 0x32a5705f, v6
	v_add_f32_e32 v77, v102, v77
	v_cvt_i32_f32_e32 v78, v78
	v_exp_f32_e32 v77, v77
	v_cmp_ngt_f32_e32 vcc, s12, v6
	v_ldexp_f32 v77, v77, v78
	v_cndmask_b32_e32 v77, 0, v77, vcc
	v_cmp_nlt_f32_e32 vcc, s13, v6
	v_cndmask_b32_e32 v6, v26, v77, vcc
	v_add_f32_e32 v6, 1.0, v6
	v_rcp_f32_e32 v6, v6
	v_fma_f32 v77, v6, -2.0, 1.0
.LBB75_50:                              ;   in Loop: Header=BB75_12 Depth=1
	s_andn2_saveexec_b64 s[8:9], s[8:9]
; %bb.51:                               ;   in Loop: Header=BB75_12 Depth=1
	v_mul_f32_e32 v6, v75, v75
	v_mov_b32_e32 v77, 0x3ca908c9
	v_fmac_f32_e32 v77, 0xbbbac73d, v6
	v_fma_f32 v77, v6, v77, v22
	v_fma_f32 v77, v6, v77, v23
	;; [unrolled: 1-line block ×3, first 2 shown]
	v_mul_f32_e64 v77, |v75|, v77
	v_fma_f32 v77, v6, v77, |v75|
; %bb.52:                               ;   in Loop: Header=BB75_12 Depth=1
	s_or_b64 exec, exec, s[8:9]
	global_load_ushort v6, v[1:2], off offset:64
	v_bfi_b32 v1, s24, v76, v74
	v_bfi_b32 v2, s24, v77, v75
	s_waitcnt vmcnt(1)
	v_fma_mix_f32 v76, s15, v1, v5 op_sel_hi:[0,0,1]
	v_add_f32_e32 v1, 0x40051340, v76
	v_cmp_nlt_f32_e64 s[8:9], |v72|, s10
                                        ; implicit-def: $vgpr75
	s_waitcnt vmcnt(0)
	v_fma_mix_f32 v74, s15, v2, v6 op_sel_hi:[0,0,1]
	v_add_f32_e32 v2, 0x40051340, v74
	v_max3_f32 v1, v61, v1, v2
	ds_bpermute_b32 v2, v3, v1
	s_waitcnt lgkmcnt(0)
	v_max_f32_e32 v2, v2, v2
	v_max_f32_e32 v1, v1, v2
	ds_bpermute_b32 v2, v4, v1
	s_waitcnt lgkmcnt(0)
	v_max_f32_e32 v2, v2, v2
	v_max_f32_e32 v1, v1, v2
	;; [unrolled: 4-line block ×4, first 2 shown]
	ds_bpermute_b32 v2, v95, v1
	s_and_saveexec_b64 s[26:27], s[8:9]
	s_xor_b64 s[8:9], exec, s[26:27]
	s_cbranch_execz .LBB75_54
; %bb.53:                               ;   in Loop: Header=BB75_12 Depth=1
	v_add_f32_e64 v75, |v72|, |v72|
	v_mul_f32_e32 v77, 0x3fb8aa3b, v75
	v_rndne_f32_e32 v78, v77
	v_sub_f32_e32 v102, v77, v78
	v_fma_f32 v77, v75, s11, -v77
	v_fmac_f32_e32 v77, 0x32a5705f, v75
	v_add_f32_e32 v77, v102, v77
	v_cvt_i32_f32_e32 v78, v78
	v_exp_f32_e32 v77, v77
	v_cmp_ngt_f32_e32 vcc, s12, v75
	v_ldexp_f32 v77, v77, v78
	v_cndmask_b32_e32 v77, 0, v77, vcc
	v_cmp_nlt_f32_e32 vcc, s13, v75
	v_cndmask_b32_e32 v75, v26, v77, vcc
	v_add_f32_e32 v75, 1.0, v75
	v_rcp_f32_e32 v75, v75
	v_fma_f32 v75, v75, -2.0, 1.0
.LBB75_54:                              ;   in Loop: Header=BB75_12 Depth=1
	s_andn2_saveexec_b64 s[8:9], s[8:9]
; %bb.55:                               ;   in Loop: Header=BB75_12 Depth=1
	v_mul_f32_e32 v75, v72, v72
	v_mov_b32_e32 v77, 0x3ca908c9
	v_fmac_f32_e32 v77, 0xbbbac73d, v75
	v_fma_f32 v77, v75, v77, v22
	v_fma_f32 v77, v75, v77, v23
	;; [unrolled: 1-line block ×3, first 2 shown]
	v_mul_f32_e64 v77, |v72|, v77
	v_fma_f32 v75, v75, v77, |v72|
; %bb.56:                               ;   in Loop: Header=BB75_12 Depth=1
	s_or_b64 exec, exec, s[8:9]
	v_cmp_nlt_f32_e64 s[8:9], |v73|, s10
                                        ; implicit-def: $vgpr102
	s_and_saveexec_b64 s[26:27], s[8:9]
	s_xor_b64 s[8:9], exec, s[26:27]
	s_cbranch_execz .LBB75_58
; %bb.57:                               ;   in Loop: Header=BB75_12 Depth=1
	v_add_f32_e64 v77, |v73|, |v73|
	v_mul_f32_e32 v78, 0x3fb8aa3b, v77
	v_rndne_f32_e32 v102, v78
	v_sub_f32_e32 v103, v78, v102
	v_fma_f32 v78, v77, s11, -v78
	v_fmac_f32_e32 v78, 0x32a5705f, v77
	v_add_f32_e32 v78, v103, v78
	v_cvt_i32_f32_e32 v102, v102
	v_exp_f32_e32 v78, v78
	v_cmp_ngt_f32_e32 vcc, s12, v77
	v_ldexp_f32 v78, v78, v102
	v_cndmask_b32_e32 v78, 0, v78, vcc
	v_cmp_nlt_f32_e32 vcc, s13, v77
	v_cndmask_b32_e32 v77, v26, v78, vcc
	v_add_f32_e32 v77, 1.0, v77
	v_rcp_f32_e32 v77, v77
	v_fma_f32 v102, v77, -2.0, 1.0
.LBB75_58:                              ;   in Loop: Header=BB75_12 Depth=1
	s_andn2_saveexec_b64 s[8:9], s[8:9]
; %bb.59:                               ;   in Loop: Header=BB75_12 Depth=1
	v_mul_f32_e32 v77, v73, v73
	v_mov_b32_e32 v78, 0x3ca908c9
	v_fmac_f32_e32 v78, 0xbbbac73d, v77
	v_fma_f32 v78, v77, v78, v22
	v_fma_f32 v78, v77, v78, v23
	;; [unrolled: 1-line block ×3, first 2 shown]
	v_mul_f32_e64 v78, |v73|, v78
	v_fma_f32 v102, v77, v78, |v73|
; %bb.60:                               ;   in Loop: Header=BB75_12 Depth=1
	s_or_b64 exec, exec, s[8:9]
	v_cvt_f32_f16_e32 v78, v5
	v_cvt_f32_f16_e32 v77, v6
	v_bfi_b32 v5, s24, v75, v72
	v_bfi_b32 v6, s24, v102, v73
	v_fma_f32 v102, s15, v5, v78
	v_fma_f32 v75, s15, v6, v77
	v_add_f32_e32 v5, 0x40051340, v102
	v_add_f32_e32 v6, 0x40051340, v75
	v_max3_f32 v5, v32, v5, v6
	ds_bpermute_b32 v6, v3, v5
	v_cmp_nlt_f32_e64 s[8:9], |v70|, s10
                                        ; implicit-def: $vgpr72
	s_waitcnt lgkmcnt(0)
	v_max_f32_e32 v6, v6, v6
	v_max_f32_e32 v5, v5, v6
	ds_bpermute_b32 v6, v4, v5
	s_waitcnt lgkmcnt(0)
	v_max_f32_e32 v6, v6, v6
	v_max_f32_e32 v5, v5, v6
	ds_bpermute_b32 v6, v93, v5
	;; [unrolled: 4-line block ×4, first 2 shown]
	s_and_saveexec_b64 s[26:27], s[8:9]
	s_xor_b64 s[8:9], exec, s[26:27]
	s_cbranch_execz .LBB75_62
; %bb.61:                               ;   in Loop: Header=BB75_12 Depth=1
	v_add_f32_e64 v72, |v70|, |v70|
	v_mul_f32_e32 v73, 0x3fb8aa3b, v72
	v_rndne_f32_e32 v103, v73
	v_sub_f32_e32 v104, v73, v103
	v_fma_f32 v73, v72, s11, -v73
	v_fmac_f32_e32 v73, 0x32a5705f, v72
	v_add_f32_e32 v73, v104, v73
	v_cvt_i32_f32_e32 v103, v103
	v_exp_f32_e32 v73, v73
	v_cmp_ngt_f32_e32 vcc, s12, v72
	v_ldexp_f32 v73, v73, v103
	v_cndmask_b32_e32 v73, 0, v73, vcc
	v_cmp_nlt_f32_e32 vcc, s13, v72
	v_cndmask_b32_e32 v72, v26, v73, vcc
	v_add_f32_e32 v72, 1.0, v72
	v_rcp_f32_e32 v72, v72
	v_fma_f32 v72, v72, -2.0, 1.0
.LBB75_62:                              ;   in Loop: Header=BB75_12 Depth=1
	s_andn2_saveexec_b64 s[8:9], s[8:9]
; %bb.63:                               ;   in Loop: Header=BB75_12 Depth=1
	v_mul_f32_e32 v72, v70, v70
	v_mov_b32_e32 v73, 0x3ca908c9
	v_fmac_f32_e32 v73, 0xbbbac73d, v72
	v_fma_f32 v73, v72, v73, v22
	v_fma_f32 v73, v72, v73, v23
	;; [unrolled: 1-line block ×3, first 2 shown]
	v_mul_f32_e64 v73, |v70|, v73
	v_fma_f32 v72, v72, v73, |v70|
; %bb.64:                               ;   in Loop: Header=BB75_12 Depth=1
	s_or_b64 exec, exec, s[8:9]
	v_cmp_nlt_f32_e64 s[8:9], |v71|, s10
                                        ; implicit-def: $vgpr73
	s_and_saveexec_b64 s[26:27], s[8:9]
	s_xor_b64 s[8:9], exec, s[26:27]
	s_cbranch_execz .LBB75_66
; %bb.65:                               ;   in Loop: Header=BB75_12 Depth=1
	v_add_f32_e64 v73, |v71|, |v71|
	v_mul_f32_e32 v103, 0x3fb8aa3b, v73
	v_rndne_f32_e32 v104, v103
	v_sub_f32_e32 v107, v103, v104
	v_fma_f32 v103, v73, s11, -v103
	v_fmac_f32_e32 v103, 0x32a5705f, v73
	v_add_f32_e32 v103, v107, v103
	v_cvt_i32_f32_e32 v104, v104
	v_exp_f32_e32 v103, v103
	v_cmp_ngt_f32_e32 vcc, s12, v73
	v_ldexp_f32 v103, v103, v104
	v_cndmask_b32_e32 v103, 0, v103, vcc
	v_cmp_nlt_f32_e32 vcc, s13, v73
	v_cndmask_b32_e32 v73, v26, v103, vcc
	v_add_f32_e32 v73, 1.0, v73
	v_rcp_f32_e32 v73, v73
	v_fma_f32 v73, v73, -2.0, 1.0
.LBB75_66:                              ;   in Loop: Header=BB75_12 Depth=1
	s_andn2_saveexec_b64 s[8:9], s[8:9]
; %bb.67:                               ;   in Loop: Header=BB75_12 Depth=1
	v_mul_f32_e32 v73, v71, v71
	v_mov_b32_e32 v103, 0x3ca908c9
	v_fmac_f32_e32 v103, 0xbbbac73d, v73
	v_fma_f32 v103, v73, v103, v22
	v_fma_f32 v103, v73, v103, v23
	;; [unrolled: 1-line block ×3, first 2 shown]
	v_mul_f32_e64 v103, |v71|, v103
	v_fma_f32 v73, v73, v103, |v71|
; %bb.68:                               ;   in Loop: Header=BB75_12 Depth=1
	s_or_b64 exec, exec, s[8:9]
	v_bfi_b32 v70, s24, v72, v70
	v_bfi_b32 v71, s24, v73, v71
	v_fma_f32 v104, s15, v70, v78
	v_fma_f32 v103, s15, v71, v77
	v_add_f32_e32 v70, 0x40051340, v104
	v_add_f32_e32 v71, 0x40051340, v103
	v_max3_f32 v70, v30, v70, v71
	ds_bpermute_b32 v71, v3, v70
	v_cmp_nlt_f32_e64 s[8:9], |v7|, s10
                                        ; implicit-def: $vgpr72
	s_waitcnt lgkmcnt(0)
	v_max_f32_e32 v71, v71, v71
	v_max_f32_e32 v70, v70, v71
	ds_bpermute_b32 v71, v4, v70
	s_waitcnt lgkmcnt(0)
	v_max_f32_e32 v71, v71, v71
	v_max_f32_e32 v70, v70, v71
	ds_bpermute_b32 v71, v93, v70
	;; [unrolled: 4-line block ×4, first 2 shown]
	s_and_saveexec_b64 s[26:27], s[8:9]
	s_xor_b64 s[8:9], exec, s[26:27]
	s_cbranch_execz .LBB75_70
; %bb.69:                               ;   in Loop: Header=BB75_12 Depth=1
	v_add_f32_e64 v72, |v7|, |v7|
	v_mul_f32_e32 v73, 0x3fb8aa3b, v72
	v_rndne_f32_e32 v107, v73
	v_sub_f32_e32 v108, v73, v107
	v_fma_f32 v73, v72, s11, -v73
	v_fmac_f32_e32 v73, 0x32a5705f, v72
	v_add_f32_e32 v73, v108, v73
	v_cvt_i32_f32_e32 v107, v107
	v_exp_f32_e32 v73, v73
	v_cmp_ngt_f32_e32 vcc, s12, v72
	v_ldexp_f32 v73, v73, v107
	v_cndmask_b32_e32 v73, 0, v73, vcc
	v_cmp_nlt_f32_e32 vcc, s13, v72
	v_cndmask_b32_e32 v72, v26, v73, vcc
	v_add_f32_e32 v72, 1.0, v72
	v_rcp_f32_e32 v72, v72
	v_fma_f32 v72, v72, -2.0, 1.0
.LBB75_70:                              ;   in Loop: Header=BB75_12 Depth=1
	s_andn2_saveexec_b64 s[8:9], s[8:9]
; %bb.71:                               ;   in Loop: Header=BB75_12 Depth=1
	v_mul_f32_e32 v72, v7, v7
	v_mov_b32_e32 v73, 0x3ca908c9
	v_fmac_f32_e32 v73, 0xbbbac73d, v72
	v_fma_f32 v73, v72, v73, v22
	v_fma_f32 v73, v72, v73, v23
	;; [unrolled: 1-line block ×3, first 2 shown]
	v_mul_f32_e64 v73, |v7|, v73
	v_fma_f32 v72, v72, v73, |v7|
; %bb.72:                               ;   in Loop: Header=BB75_12 Depth=1
	s_or_b64 exec, exec, s[8:9]
	v_cmp_nlt_f32_e64 s[8:9], |v8|, s10
                                        ; implicit-def: $vgpr73
	s_and_saveexec_b64 s[26:27], s[8:9]
	s_xor_b64 s[8:9], exec, s[26:27]
	s_cbranch_execz .LBB75_74
; %bb.73:                               ;   in Loop: Header=BB75_12 Depth=1
	v_add_f32_e64 v73, |v8|, |v8|
	v_mul_f32_e32 v107, 0x3fb8aa3b, v73
	v_rndne_f32_e32 v108, v107
	v_sub_f32_e32 v109, v107, v108
	v_fma_f32 v107, v73, s11, -v107
	v_fmac_f32_e32 v107, 0x32a5705f, v73
	v_add_f32_e32 v107, v109, v107
	v_cvt_i32_f32_e32 v108, v108
	v_exp_f32_e32 v107, v107
	v_cmp_ngt_f32_e32 vcc, s12, v73
	v_ldexp_f32 v107, v107, v108
	v_cndmask_b32_e32 v107, 0, v107, vcc
	v_cmp_nlt_f32_e32 vcc, s13, v73
	v_cndmask_b32_e32 v73, v26, v107, vcc
	v_add_f32_e32 v73, 1.0, v73
	v_rcp_f32_e32 v73, v73
	v_fma_f32 v73, v73, -2.0, 1.0
.LBB75_74:                              ;   in Loop: Header=BB75_12 Depth=1
	s_andn2_saveexec_b64 s[8:9], s[8:9]
; %bb.75:                               ;   in Loop: Header=BB75_12 Depth=1
	v_mul_f32_e32 v73, v8, v8
	v_mov_b32_e32 v107, 0x3ca908c9
	v_fmac_f32_e32 v107, 0xbbbac73d, v73
	v_fma_f32 v107, v73, v107, v22
	v_fma_f32 v107, v73, v107, v23
	;; [unrolled: 1-line block ×3, first 2 shown]
	v_mul_f32_e64 v107, |v8|, v107
	v_fma_f32 v73, v73, v107, |v8|
; %bb.76:                               ;   in Loop: Header=BB75_12 Depth=1
	s_or_b64 exec, exec, s[8:9]
	v_bfi_b32 v7, s24, v72, v7
	v_bfi_b32 v8, s24, v73, v8
	v_fmac_f32_e32 v78, s15, v7
	v_fmac_f32_e32 v77, s15, v8
	v_add_f32_e32 v7, 0x40051340, v78
	v_add_f32_e32 v8, 0x40051340, v77
	v_max3_f32 v8, v28, v7, v8
	ds_bpermute_b32 v3, v3, v8
	v_max_f32_e32 v6, v6, v6
	v_max_f32_e32 v5, v5, v5
	v_max_f32_e32 v2, v2, v2
	v_max_f32_e32 v1, v1, v1
	s_waitcnt lgkmcnt(0)
	v_max_f32_e32 v3, v3, v3
	v_max_f32_e32 v3, v8, v3
	ds_bpermute_b32 v4, v4, v3
	v_max_f32_e32 v6, v5, v6
	v_max_f32_e32 v5, v1, v2
	v_max_f32_e32 v71, v71, v71
	v_max_f32_e32 v7, v70, v70
	s_waitcnt lgkmcnt(0)
	v_max_f32_e32 v1, v4, v4
	v_max_f32_e32 v1, v3, v1
	;; [unrolled: 8-line block ×4, first 2 shown]
	ds_bpermute_b32 v72, v95, v71
	v_max_f32_e32 v70, v98, v98
	v_max_f32_e32 v2, v70, v8
	;; [unrolled: 1-line block ×5, first 2 shown]
	s_waitcnt lgkmcnt(0)
	v_max_f32_e32 v8, v72, v72
	v_sub_f32_e32 v70, v91, v1
	v_max_f32_e32 v8, v71, v8
	v_mul_f32_e32 v71, 0x3fb8aa3b, v70
	v_fma_f32 v72, v70, s11, -v71
	v_rndne_f32_e32 v73, v71
	v_fmac_f32_e32 v72, 0x32a5705f, v70
	v_sub_f32_e32 v71, v71, v73
	v_add_f32_e32 v71, v71, v72
	v_exp_f32_e32 v71, v71
	v_cvt_i32_f32_e32 v72, v73
	v_sub_f32_e32 v73, v69, v1
	v_cmp_ngt_f32_e32 vcc, s12, v70
	v_sub_f32_e32 v68, v68, v2
	v_ldexp_f32 v69, v71, v72
	v_sub_f32_e32 v71, v90, v1
	v_mul_f32_e32 v72, 0x3fb8aa3b, v71
	v_fma_f32 v90, v71, s11, -v72
	v_rndne_f32_e32 v91, v72
	v_fmac_f32_e32 v90, 0x32a5705f, v71
	v_sub_f32_e32 v72, v72, v91
	v_add_f32_e32 v72, v72, v90
	v_exp_f32_e32 v72, v72
	v_cvt_i32_f32_e32 v90, v91
	v_cndmask_b32_e32 v69, 0, v69, vcc
	v_cmp_nlt_f32_e32 vcc, s13, v70
	v_cndmask_b32_e32 v70, v26, v69, vcc
	v_ldexp_f32 v72, v72, v90
	v_mul_f32_e32 v90, 0x3fb8aa3b, v73
	v_fma_f32 v91, v73, s11, -v90
	v_rndne_f32_e32 v92, v90
	v_fmac_f32_e32 v91, 0x32a5705f, v73
	v_sub_f32_e32 v90, v90, v92
	v_add_f32_e32 v90, v90, v91
	v_exp_f32_e32 v90, v90
	v_cvt_i32_f32_e32 v91, v92
	v_cmp_ngt_f32_e32 vcc, s12, v71
	v_cndmask_b32_e32 v72, 0, v72, vcc
	v_cmp_nlt_f32_e32 vcc, s13, v71
	v_cndmask_b32_e32 v71, v26, v72, vcc
	v_ldexp_f32 v72, v90, v91
	v_cmp_ngt_f32_e32 vcc, s12, v73
	v_cndmask_b32_e32 v72, 0, v72, vcc
	v_cmp_nlt_f32_e32 vcc, s13, v73
	v_cndmask_b32_e32 v72, v26, v72, vcc
	v_cvt_f16_f32_e32 v73, v72
	v_cvt_f16_f32_e32 v69, v70
	v_add_f32_e32 v70, v70, v71
	v_fmac_f32_e32 v70, v66, v72
	v_sub_f32_e32 v72, v81, v2
	v_mul_f32_e32 v66, 0x3fb8aa3b, v72
	v_cvt_f16_f32_e32 v90, v71
	v_mul_u32_u24_e32 v71, 0x10001, v73
	v_fma_f32 v73, v72, s11, -v66
	v_rndne_f32_e32 v81, v66
	v_fmac_f32_e32 v73, 0x32a5705f, v72
	v_sub_f32_e32 v66, v66, v81
	v_add_f32_e32 v66, v66, v73
	v_exp_f32_e32 v73, v66
	v_cvt_i32_f32_e32 v81, v81
	v_pk_mul_f16 v66, v58, v71
	v_pk_mul_f16 v58, v59, v71
	v_sub_f32_e32 v71, v79, v2
	v_ldexp_f32 v59, v73, v81
	v_mul_f32_e32 v73, 0x3fb8aa3b, v71
	v_fma_f32 v79, v71, s11, -v73
	v_rndne_f32_e32 v81, v73
	v_fmac_f32_e32 v79, 0x32a5705f, v71
	v_sub_f32_e32 v73, v73, v81
	v_add_f32_e32 v73, v73, v79
	v_exp_f32_e32 v73, v73
	v_cvt_i32_f32_e32 v79, v81
	v_cmp_ngt_f32_e32 vcc, s12, v72
	v_cndmask_b32_e32 v59, 0, v59, vcc
	v_cmp_nlt_f32_e32 vcc, s13, v72
	v_ldexp_f32 v73, v73, v79
	v_mul_f32_e32 v79, 0x3fb8aa3b, v68
	v_fma_f32 v81, v68, s11, -v79
	v_rndne_f32_e32 v91, v79
	v_fmac_f32_e32 v81, 0x32a5705f, v68
	v_sub_f32_e32 v79, v79, v91
	v_add_f32_e32 v79, v79, v81
	v_exp_f32_e32 v79, v79
	v_cvt_i32_f32_e32 v81, v91
	v_cndmask_b32_e32 v72, v26, v59, vcc
	v_cmp_ngt_f32_e32 vcc, s12, v71
	v_cndmask_b32_e32 v73, 0, v73, vcc
	v_cmp_nlt_f32_e32 vcc, s13, v71
	v_cndmask_b32_e32 v73, v26, v73, vcc
	v_ldexp_f32 v71, v79, v81
	v_cmp_ngt_f32_e32 vcc, s12, v68
	v_cndmask_b32_e32 v71, 0, v71, vcc
	v_cmp_nlt_f32_e32 vcc, s13, v68
	v_cndmask_b32_e32 v79, v26, v71, vcc
	v_cvt_f16_f32_e32 v81, v79
	v_add_f32_e32 v71, v72, v73
	v_cvt_f16_f32_e32 v68, v73
	v_sub_f32_e32 v73, v97, v3
	v_fmac_f32_e32 v71, v67, v79
	v_mul_f32_e32 v67, 0x3fb8aa3b, v73
	v_cvt_f16_f32_e32 v59, v72
	v_mul_u32_u24_e32 v72, 0x10001, v81
	v_fma_f32 v79, v73, s11, -v67
	v_rndne_f32_e32 v81, v67
	v_fmac_f32_e32 v79, 0x32a5705f, v73
	v_sub_f32_e32 v67, v67, v81
	v_add_f32_e32 v67, v67, v79
	v_exp_f32_e32 v79, v67
	v_cvt_i32_f32_e32 v81, v81
	v_pk_mul_f16 v67, v56, v72
	v_pk_mul_f16 v56, v57, v72
	v_sub_f32_e32 v72, v80, v3
	v_ldexp_f32 v57, v79, v81
	v_mul_f32_e32 v79, 0x3fb8aa3b, v72
	v_fma_f32 v80, v72, s11, -v79
	v_rndne_f32_e32 v81, v79
	v_fmac_f32_e32 v80, 0x32a5705f, v72
	v_sub_f32_e32 v79, v79, v81
	v_add_f32_e32 v79, v79, v80
	v_exp_f32_e32 v79, v79
	v_cvt_i32_f32_e32 v80, v81
	v_sub_f32_e32 v65, v65, v3
	v_cmp_ngt_f32_e32 vcc, s12, v73
	v_cndmask_b32_e32 v57, 0, v57, vcc
	v_ldexp_f32 v79, v79, v80
	v_mul_f32_e32 v80, 0x3fb8aa3b, v65
	v_fma_f32 v81, v65, s11, -v80
	v_rndne_f32_e32 v91, v80
	v_fmac_f32_e32 v81, 0x32a5705f, v65
	v_sub_f32_e32 v80, v80, v91
	v_add_f32_e32 v80, v80, v81
	v_exp_f32_e32 v80, v80
	v_cvt_i32_f32_e32 v81, v91
	v_cmp_nlt_f32_e32 vcc, s13, v73
	v_cndmask_b32_e32 v73, v26, v57, vcc
	v_cmp_ngt_f32_e32 vcc, s12, v72
	v_cndmask_b32_e32 v79, 0, v79, vcc
	v_cmp_nlt_f32_e32 vcc, s13, v72
	v_cndmask_b32_e32 v79, v26, v79, vcc
	v_ldexp_f32 v72, v80, v81
	v_cmp_ngt_f32_e32 vcc, s12, v65
	v_cndmask_b32_e32 v72, 0, v72, vcc
	v_cmp_nlt_f32_e32 vcc, s13, v65
	v_cndmask_b32_e32 v80, v26, v72, vcc
	v_cvt_f16_f32_e32 v81, v80
	v_add_f32_e32 v72, v73, v79
	v_cvt_f16_f32_e32 v65, v79
	v_sub_f32_e32 v79, v89, v4
	v_fmac_f32_e32 v72, v64, v80
	v_mul_f32_e32 v64, 0x3fb8aa3b, v79
	v_cvt_f16_f32_e32 v57, v73
	v_mul_u32_u24_e32 v73, 0x10001, v81
	v_fma_f32 v80, v79, s11, -v64
	v_rndne_f32_e32 v81, v64
	v_fmac_f32_e32 v80, 0x32a5705f, v79
	v_sub_f32_e32 v64, v64, v81
	v_add_f32_e32 v64, v64, v80
	v_exp_f32_e32 v80, v64
	v_cvt_i32_f32_e32 v81, v81
	v_pk_mul_f16 v64, v54, v73
	v_pk_mul_f16 v54, v55, v73
	v_sub_f32_e32 v73, v88, v4
	v_ldexp_f32 v55, v80, v81
	v_mul_f32_e32 v80, 0x3fb8aa3b, v73
	v_fma_f32 v81, v73, s11, -v80
	v_rndne_f32_e32 v88, v80
	v_fmac_f32_e32 v81, 0x32a5705f, v73
	v_sub_f32_e32 v80, v80, v88
	v_add_f32_e32 v80, v80, v81
	v_exp_f32_e32 v80, v80
	v_cvt_i32_f32_e32 v81, v88
	v_sub_f32_e32 v63, v63, v4
	v_cmp_ngt_f32_e32 vcc, s12, v79
	v_cndmask_b32_e32 v55, 0, v55, vcc
	v_ldexp_f32 v80, v80, v81
	v_mul_f32_e32 v81, 0x3fb8aa3b, v63
	v_fma_f32 v88, v63, s11, -v81
	v_rndne_f32_e32 v89, v81
	v_fmac_f32_e32 v88, 0x32a5705f, v63
	v_sub_f32_e32 v81, v81, v89
	v_add_f32_e32 v81, v81, v88
	v_exp_f32_e32 v81, v81
	v_cvt_i32_f32_e32 v88, v89
	v_cmp_nlt_f32_e32 vcc, s13, v79
	v_cndmask_b32_e32 v79, v26, v55, vcc
	v_cmp_ngt_f32_e32 vcc, s12, v73
	v_cndmask_b32_e32 v80, 0, v80, vcc
	v_cmp_nlt_f32_e32 vcc, s13, v73
	v_cndmask_b32_e32 v80, v26, v80, vcc
	v_ldexp_f32 v73, v81, v88
	v_cmp_ngt_f32_e32 vcc, s12, v63
	v_cndmask_b32_e32 v73, 0, v73, vcc
	v_cmp_nlt_f32_e32 vcc, s13, v63
	v_cndmask_b32_e32 v81, v26, v73, vcc
	v_add_f32_e32 v73, v79, v80
	v_sub_f32_e32 v76, v76, v5
	v_fmac_f32_e32 v73, v62, v81
	v_mul_f32_e32 v62, 0x3fb8aa3b, v76
	v_cvt_f16_f32_e32 v88, v81
	v_cvt_f16_f32_e32 v63, v80
	v_fma_f32 v80, v76, s11, -v62
	v_rndne_f32_e32 v81, v62
	v_fmac_f32_e32 v80, 0x32a5705f, v76
	v_sub_f32_e32 v62, v62, v81
	v_add_f32_e32 v62, v62, v80
	v_exp_f32_e32 v80, v62
	v_cvt_i32_f32_e32 v81, v81
	v_cvt_f16_f32_e32 v55, v79
	v_mul_u32_u24_e32 v79, 0x10001, v88
	v_sub_f32_e32 v74, v74, v5
	v_pk_mul_f16 v62, v52, v79
	v_pk_mul_f16 v52, v53, v79
	v_mul_f32_e32 v79, 0x3fb8aa3b, v74
	v_ldexp_f32 v53, v80, v81
	v_fma_f32 v80, v74, s11, -v79
	v_rndne_f32_e32 v81, v79
	v_fmac_f32_e32 v80, 0x32a5705f, v74
	v_sub_f32_e32 v79, v79, v81
	v_add_f32_e32 v79, v79, v80
	v_exp_f32_e32 v79, v79
	v_cvt_i32_f32_e32 v80, v81
	v_sub_f32_e32 v61, v61, v5
	v_cmp_ngt_f32_e32 vcc, s12, v76
	v_cndmask_b32_e32 v53, 0, v53, vcc
	v_ldexp_f32 v79, v79, v80
	v_mul_f32_e32 v80, 0x3fb8aa3b, v61
	v_fma_f32 v81, v61, s11, -v80
	v_rndne_f32_e32 v88, v80
	v_fmac_f32_e32 v81, 0x32a5705f, v61
	v_sub_f32_e32 v80, v80, v88
	v_add_f32_e32 v80, v80, v81
	v_exp_f32_e32 v80, v80
	v_cvt_i32_f32_e32 v81, v88
	v_cmp_nlt_f32_e32 vcc, s13, v76
	v_cndmask_b32_e32 v76, v26, v53, vcc
	v_cmp_ngt_f32_e32 vcc, s12, v74
	v_cndmask_b32_e32 v79, 0, v79, vcc
	v_cmp_nlt_f32_e32 vcc, s13, v74
	v_cndmask_b32_e32 v79, v26, v79, vcc
	v_ldexp_f32 v74, v80, v81
	v_cmp_ngt_f32_e32 vcc, s12, v61
	v_cndmask_b32_e32 v74, 0, v74, vcc
	v_cmp_nlt_f32_e32 vcc, s13, v61
	v_cndmask_b32_e32 v80, v26, v74, vcc
	v_cvt_f16_f32_e32 v81, v80
	v_add_f32_e32 v74, v76, v79
	v_cvt_f16_f32_e32 v61, v79
	v_sub_f32_e32 v79, v102, v6
	v_fmac_f32_e32 v74, v60, v80
	v_mul_f32_e32 v60, 0x3fb8aa3b, v79
	v_cvt_f16_f32_e32 v53, v76
	v_mul_u32_u24_e32 v76, 0x10001, v81
	v_fma_f32 v80, v79, s11, -v60
	v_rndne_f32_e32 v81, v60
	v_fmac_f32_e32 v80, 0x32a5705f, v79
	v_sub_f32_e32 v60, v60, v81
	v_add_f32_e32 v60, v60, v80
	v_exp_f32_e32 v80, v60
	v_cvt_i32_f32_e32 v81, v81
	v_sub_f32_e32 v75, v75, v6
	v_pk_mul_f16 v60, v50, v76
	v_pk_mul_f16 v50, v51, v76
	v_mul_f32_e32 v76, 0x3fb8aa3b, v75
	v_ldexp_f32 v51, v80, v81
	v_fma_f32 v80, v75, s11, -v76
	v_rndne_f32_e32 v81, v76
	v_fmac_f32_e32 v80, 0x32a5705f, v75
	v_sub_f32_e32 v76, v76, v81
	v_add_f32_e32 v76, v76, v80
	v_exp_f32_e32 v76, v76
	v_cvt_i32_f32_e32 v80, v81
	v_sub_f32_e32 v32, v32, v6
	v_cmp_ngt_f32_e32 vcc, s12, v79
	v_cndmask_b32_e32 v51, 0, v51, vcc
	v_ldexp_f32 v76, v76, v80
	v_mul_f32_e32 v80, 0x3fb8aa3b, v32
	v_fma_f32 v81, v32, s11, -v80
	v_rndne_f32_e32 v88, v80
	v_fmac_f32_e32 v81, 0x32a5705f, v32
	v_sub_f32_e32 v80, v80, v88
	v_add_f32_e32 v80, v80, v81
	v_exp_f32_e32 v80, v80
	v_cvt_i32_f32_e32 v81, v88
	v_cmp_nlt_f32_e32 vcc, s13, v79
	v_cndmask_b32_e32 v51, v26, v51, vcc
	v_cmp_ngt_f32_e32 vcc, s12, v75
	v_cndmask_b32_e32 v76, 0, v76, vcc
	v_cmp_nlt_f32_e32 vcc, s13, v75
	v_cndmask_b32_e32 v76, v26, v76, vcc
	v_ldexp_f32 v75, v80, v81
	v_cmp_ngt_f32_e32 vcc, s12, v32
	v_cndmask_b32_e32 v75, 0, v75, vcc
	v_cmp_nlt_f32_e32 vcc, s13, v32
	v_cndmask_b32_e32 v32, v26, v75, vcc
	v_cvt_f16_f32_e32 v80, v32
	v_add_f32_e32 v75, v51, v76
	v_fmac_f32_e32 v75, v31, v32
	v_sub_f32_e32 v32, v104, v7
	v_cvt_f16_f32_e32 v79, v51
	v_cvt_f16_f32_e32 v51, v76
	v_mul_f32_e32 v76, 0x3fb8aa3b, v32
	v_mul_u32_u24_e32 v31, 0x10001, v80
	v_fma_f32 v80, v32, s11, -v76
	v_rndne_f32_e32 v81, v76
	v_fmac_f32_e32 v80, 0x32a5705f, v32
	v_sub_f32_e32 v76, v76, v81
	v_add_f32_e32 v76, v76, v80
	v_exp_f32_e32 v76, v76
	v_cvt_i32_f32_e32 v80, v81
	v_sub_f32_e32 v81, v30, v7
	v_pk_mul_f16 v48, v48, v31
	v_pk_mul_f16 v49, v49, v31
	v_ldexp_f32 v30, v76, v80
	v_sub_f32_e32 v76, v103, v7
	v_mul_f32_e32 v31, 0x3fb8aa3b, v76
	v_fma_f32 v80, v76, s11, -v31
	v_rndne_f32_e32 v88, v31
	v_fmac_f32_e32 v80, 0x32a5705f, v76
	v_sub_f32_e32 v31, v31, v88
	v_add_f32_e32 v31, v31, v80
	v_cmp_ngt_f32_e32 vcc, s12, v32
	v_exp_f32_e32 v31, v31
	v_cvt_i32_f32_e32 v80, v88
	v_cndmask_b32_e32 v30, 0, v30, vcc
	v_cmp_nlt_f32_e32 vcc, s13, v32
	v_cndmask_b32_e32 v32, v26, v30, vcc
	v_mul_f32_e32 v30, 0x3fb8aa3b, v81
	s_mul_hi_i32 s9, s6, s18
	s_mul_i32 s8, s6, s18
	v_rndne_f32_e32 v95, v30
	s_lshl_b64 s[8:9], s[8:9], 2
	v_ldexp_f32 v80, v31, v80
	v_fma_f32 v89, v81, s11, -v30
	v_sub_f32_e32 v96, v30, v95
	v_mov_b32_e32 v31, s9
	v_add_co_u32_e32 v30, vcc, s8, v19
	v_addc_co_u32_e32 v31, vcc, v20, v31, vcc
	s_barrier
	global_load_dwordx4 v[91:94], v[30:31], off
	v_fmac_f32_e32 v89, 0x32a5705f, v81
	v_add_f32_e32 v30, v96, v89
	v_exp_f32_e32 v30, v30
	v_cvt_i32_f32_e32 v31, v95
	v_cmp_ngt_f32_e32 vcc, s12, v76
	v_cndmask_b32_e32 v80, 0, v80, vcc
	v_cmp_nlt_f32_e32 vcc, s13, v76
	v_cndmask_b32_e32 v80, v26, v80, vcc
	v_ldexp_f32 v30, v30, v31
	v_cmp_ngt_f32_e32 vcc, s12, v81
	v_cndmask_b32_e32 v30, 0, v30, vcc
	v_cmp_nlt_f32_e32 vcc, s13, v81
	v_cndmask_b32_e32 v30, v26, v30, vcc
	v_cvt_f16_f32_e32 v31, v30
	v_add_f32_e32 v76, v32, v80
	v_fmac_f32_e32 v76, v29, v30
	v_sub_f32_e32 v30, v78, v8
	v_mul_u32_u24_e32 v29, 0x10001, v31
	v_mul_f32_e32 v31, 0x3fb8aa3b, v30
	v_cvt_f16_f32_e32 v88, v32
	v_cvt_f16_f32_e32 v32, v80
	v_fma_f32 v78, v30, s11, -v31
	v_rndne_f32_e32 v80, v31
	v_fmac_f32_e32 v78, 0x32a5705f, v30
	v_sub_f32_e32 v31, v31, v80
	v_add_f32_e32 v31, v31, v78
	v_exp_f32_e32 v31, v31
	v_cvt_i32_f32_e32 v78, v80
	v_pk_mul_f16 v96, v46, v29
	v_pk_mul_f16 v97, v47, v29
	v_sub_f32_e32 v28, v28, v8
	v_ldexp_f32 v29, v31, v78
	v_sub_f32_e32 v31, v77, v8
	v_mul_f32_e32 v46, 0x3fb8aa3b, v31
	v_fma_f32 v47, v31, s11, -v46
	v_rndne_f32_e32 v77, v46
	v_fmac_f32_e32 v47, 0x32a5705f, v31
	v_sub_f32_e32 v46, v46, v77
	v_add_f32_e32 v46, v46, v47
	v_exp_f32_e32 v46, v46
	v_cvt_i32_f32_e32 v47, v77
	v_cmp_ngt_f32_e32 vcc, s12, v30
	v_cndmask_b32_e32 v29, 0, v29, vcc
	v_cmp_nlt_f32_e32 vcc, s13, v30
	v_ldexp_f32 v46, v46, v47
	v_mul_f32_e32 v47, 0x3fb8aa3b, v28
	v_fma_f32 v77, v28, s11, -v47
	v_rndne_f32_e32 v78, v47
	v_fmac_f32_e32 v77, 0x32a5705f, v28
	v_sub_f32_e32 v47, v47, v78
	v_add_f32_e32 v47, v47, v77
	v_exp_f32_e32 v47, v47
	v_cvt_i32_f32_e32 v77, v78
	v_cndmask_b32_e32 v29, v26, v29, vcc
	v_cmp_ngt_f32_e32 vcc, s12, v31
	v_cndmask_b32_e32 v46, 0, v46, vcc
	v_cmp_nlt_f32_e32 vcc, s13, v31
	v_cndmask_b32_e32 v31, v26, v46, vcc
	v_ldexp_f32 v46, v47, v77
	v_cmp_ngt_f32_e32 vcc, s12, v28
	v_cndmask_b32_e32 v46, 0, v46, vcc
	v_cmp_nlt_f32_e32 vcc, s13, v28
	v_cndmask_b32_e32 v28, v26, v46, vcc
	v_cvt_f16_f32_e32 v46, v28
	v_cvt_f16_f32_e32 v30, v29
	v_add_f32_e32 v77, v29, v31
	v_cvt_f16_f32_e32 v31, v31
	v_fmac_f32_e32 v77, v27, v28
	v_mul_u32_u24_e32 v27, 0x10001, v46
	v_pk_mul_f16 v98, v45, v27
	v_pk_mul_f16 v99, v44, v27
	v_pack_b32_f16 v30, v88, v30
	v_pack_b32_f16 v29, v53, v79
	;; [unrolled: 1-line block ×4, first 2 shown]
	ds_write_b128 v25, v[27:30]
	v_pack_b32_f16 v30, v32, v31
	v_pack_b32_f16 v29, v61, v51
	;; [unrolled: 1-line block ×4, first 2 shown]
	ds_write_b128 v25, v[27:30] offset:512
	s_waitcnt vmcnt(0)
	ds_write_b128 v18, v[91:94]
	s_waitcnt lgkmcnt(0)
	s_barrier
	ds_read_b128 v[27:30], v17
	ds_read2_b64 v[44:47], v21 offset1:32
	ds_read_b128 v[78:81], v17 offset:16
	ds_read_b128 v[88:91], v17 offset:32
	;; [unrolled: 1-line block ×3, first 2 shown]
	s_waitcnt lgkmcnt(4)
	v_mul_u32_u24_sdwa v31, v27, s25 dst_sel:DWORD dst_unused:UNUSED_PAD src0_sel:WORD_0 src1_sel:DWORD
	v_mul_u32_u24_sdwa v27, v27, s25 dst_sel:DWORD dst_unused:UNUSED_PAD src0_sel:WORD_1 src1_sel:DWORD
	v_mul_u32_u24_sdwa v32, v28, s25 dst_sel:DWORD dst_unused:UNUSED_PAD src0_sel:WORD_0 src1_sel:DWORD
	v_mul_u32_u24_sdwa v28, v28, s25 dst_sel:DWORD dst_unused:UNUSED_PAD src0_sel:WORD_1 src1_sel:DWORD
	;; [unrolled: 2-line block ×4, first 2 shown]
	s_waitcnt lgkmcnt(3)
	v_pk_fma_f16 v55, v44, v31, v66
	v_pk_fma_f16 v57, v44, v27, v67
	;; [unrolled: 1-line block ×16, first 2 shown]
	s_waitcnt lgkmcnt(2)
	v_mul_u32_u24_sdwa v45, v78, s25 dst_sel:DWORD dst_unused:UNUSED_PAD src0_sel:WORD_0 src1_sel:DWORD
	v_mul_u32_u24_sdwa v51, v78, s25 dst_sel:DWORD dst_unused:UNUSED_PAD src0_sel:WORD_1 src1_sel:DWORD
	v_mul_u32_u24_sdwa v52, v79, s25 dst_sel:DWORD dst_unused:UNUSED_PAD src0_sel:WORD_0 src1_sel:DWORD
	v_mul_u32_u24_sdwa v53, v79, s25 dst_sel:DWORD dst_unused:UNUSED_PAD src0_sel:WORD_1 src1_sel:DWORD
	;; [unrolled: 2-line block ×4, first 2 shown]
	v_pk_fma_f16 v55, v46, v45, v55
	v_pk_fma_f16 v57, v46, v51, v57
	;; [unrolled: 1-line block ×16, first 2 shown]
	ds_read2_b64 v[27:30], v21 offset0:64 offset1:96
	s_waitcnt lgkmcnt(2)
	v_mul_u32_u24_sdwa v52, v88, s25 dst_sel:DWORD dst_unused:UNUSED_PAD src0_sel:WORD_0 src1_sel:DWORD
	v_mul_u32_u24_sdwa v53, v88, s25 dst_sel:DWORD dst_unused:UNUSED_PAD src0_sel:WORD_1 src1_sel:DWORD
	v_mul_u32_u24_sdwa v54, v89, s25 dst_sel:DWORD dst_unused:UNUSED_PAD src0_sel:WORD_0 src1_sel:DWORD
	v_mul_u32_u24_sdwa v56, v89, s25 dst_sel:DWORD dst_unused:UNUSED_PAD src0_sel:WORD_1 src1_sel:DWORD
	;; [unrolled: 2-line block ×4, first 2 shown]
	s_waitcnt lgkmcnt(0)
	v_pk_fma_f16 v55, v27, v52, v55
	v_pk_fma_f16 v57, v27, v53, v57
	v_pk_fma_f16 v59, v27, v54, v59
	v_pk_fma_f16 v61, v27, v56, v61
	v_pk_fma_f16 v60, v27, v58, v60
	v_pk_fma_f16 v48, v27, v63, v48
	v_pk_fma_f16 v62, v27, v64, v62
	v_pk_fma_f16 v27, v27, v65, v44
	v_pk_fma_f16 v31, v28, v52, v31
	v_pk_fma_f16 v44, v28, v53, v45
	v_pk_fma_f16 v32, v28, v54, v32
	v_pk_fma_f16 v45, v28, v56, v46
	v_pk_fma_f16 v46, v28, v58, v50
	v_pk_fma_f16 v50, v28, v63, v51
	v_pk_fma_f16 v49, v28, v64, v49
	v_pk_fma_f16 v28, v28, v65, v47
	v_mul_u32_u24_sdwa v47, v92, s25 dst_sel:DWORD dst_unused:UNUSED_PAD src0_sel:WORD_0 src1_sel:DWORD
	v_mul_u32_u24_sdwa v51, v92, s25 dst_sel:DWORD dst_unused:UNUSED_PAD src0_sel:WORD_1 src1_sel:DWORD
	v_mul_u32_u24_sdwa v52, v93, s25 dst_sel:DWORD dst_unused:UNUSED_PAD src0_sel:WORD_0 src1_sel:DWORD
	v_mul_u32_u24_sdwa v53, v93, s25 dst_sel:DWORD dst_unused:UNUSED_PAD src0_sel:WORD_1 src1_sel:DWORD
	;; [unrolled: 2-line block ×4, first 2 shown]
	v_pk_fma_f16 v55, v29, v47, v55
	v_pk_fma_f16 v59, v29, v52, v59
	;; [unrolled: 1-line block ×8, first 2 shown]
	ds_read_b128 v[44:47], v17 offset:64
	v_pk_fma_f16 v57, v29, v51, v57
	v_pk_fma_f16 v60, v29, v54, v60
	;; [unrolled: 1-line block ×8, first 2 shown]
	ds_read2_b64 v[27:30], v21 offset0:128 offset1:160
	ds_read_b128 v[48:51], v17 offset:80
	s_waitcnt lgkmcnt(2)
	v_mul_u32_u24_sdwa v63, v44, s25 dst_sel:DWORD dst_unused:UNUSED_PAD src0_sel:WORD_0 src1_sel:DWORD
	v_mul_u32_u24_sdwa v44, v44, s25 dst_sel:DWORD dst_unused:UNUSED_PAD src0_sel:WORD_1 src1_sel:DWORD
	v_mul_u32_u24_sdwa v67, v45, s25 dst_sel:DWORD dst_unused:UNUSED_PAD src0_sel:WORD_0 src1_sel:DWORD
	v_mul_u32_u24_sdwa v45, v45, s25 dst_sel:DWORD dst_unused:UNUSED_PAD src0_sel:WORD_1 src1_sel:DWORD
	;; [unrolled: 2-line block ×4, first 2 shown]
	s_waitcnt lgkmcnt(1)
	v_pk_fma_f16 v55, v27, v63, v55
	v_pk_fma_f16 v57, v27, v44, v57
	;; [unrolled: 1-line block ×16, first 2 shown]
	s_waitcnt lgkmcnt(0)
	v_mul_u32_u24_sdwa v47, v48, s25 dst_sel:DWORD dst_unused:UNUSED_PAD src0_sel:WORD_0 src1_sel:DWORD
	v_mul_u32_u24_sdwa v48, v48, s25 dst_sel:DWORD dst_unused:UNUSED_PAD src0_sel:WORD_1 src1_sel:DWORD
	v_mul_u32_u24_sdwa v54, v49, s25 dst_sel:DWORD dst_unused:UNUSED_PAD src0_sel:WORD_0 src1_sel:DWORD
	v_mul_u32_u24_sdwa v49, v49, s25 dst_sel:DWORD dst_unused:UNUSED_PAD src0_sel:WORD_1 src1_sel:DWORD
	v_mul_u32_u24_sdwa v56, v50, s25 dst_sel:DWORD dst_unused:UNUSED_PAD src0_sel:WORD_0 src1_sel:DWORD
	v_mul_u32_u24_sdwa v50, v50, s25 dst_sel:DWORD dst_unused:UNUSED_PAD src0_sel:WORD_1 src1_sel:DWORD
	v_mul_u32_u24_sdwa v58, v51, s25 dst_sel:DWORD dst_unused:UNUSED_PAD src0_sel:WORD_0 src1_sel:DWORD
	v_mul_u32_u24_sdwa v51, v51, s25 dst_sel:DWORD dst_unused:UNUSED_PAD src0_sel:WORD_1 src1_sel:DWORD
	v_pk_fma_f16 v55, v29, v47, v55
	v_pk_fma_f16 v59, v29, v54, v59
	;; [unrolled: 1-line block ×9, first 2 shown]
	ds_read_b128 v[44:47], v17 offset:96
	v_pk_fma_f16 v57, v29, v48, v57
	v_pk_fma_f16 v61, v29, v49, v61
	;; [unrolled: 1-line block ×7, first 2 shown]
	ds_read2_b64 v[27:30], v21 offset0:192 offset1:224
	ds_read_b128 v[48:51], v17 offset:112
	s_waitcnt lgkmcnt(2)
	v_mul_u32_u24_sdwa v66, v44, s25 dst_sel:DWORD dst_unused:UNUSED_PAD src0_sel:WORD_0 src1_sel:DWORD
	v_mul_u32_u24_sdwa v44, v44, s25 dst_sel:DWORD dst_unused:UNUSED_PAD src0_sel:WORD_1 src1_sel:DWORD
	v_mul_u32_u24_sdwa v67, v45, s25 dst_sel:DWORD dst_unused:UNUSED_PAD src0_sel:WORD_0 src1_sel:DWORD
	v_mul_u32_u24_sdwa v45, v45, s25 dst_sel:DWORD dst_unused:UNUSED_PAD src0_sel:WORD_1 src1_sel:DWORD
	;; [unrolled: 2-line block ×4, first 2 shown]
	s_waitcnt lgkmcnt(1)
	v_pk_fma_f16 v55, v27, v66, v55
	v_pk_fma_f16 v57, v27, v44, v57
	;; [unrolled: 1-line block ×16, first 2 shown]
	s_waitcnt lgkmcnt(0)
	v_mul_u32_u24_sdwa v47, v48, s25 dst_sel:DWORD dst_unused:UNUSED_PAD src0_sel:WORD_0 src1_sel:DWORD
	v_mul_u32_u24_sdwa v48, v48, s25 dst_sel:DWORD dst_unused:UNUSED_PAD src0_sel:WORD_1 src1_sel:DWORD
	v_mul_u32_u24_sdwa v54, v49, s25 dst_sel:DWORD dst_unused:UNUSED_PAD src0_sel:WORD_0 src1_sel:DWORD
	v_mul_u32_u24_sdwa v49, v49, s25 dst_sel:DWORD dst_unused:UNUSED_PAD src0_sel:WORD_1 src1_sel:DWORD
	;; [unrolled: 2-line block ×4, first 2 shown]
	v_pk_fma_f16 v55, v29, v47, v55
	v_pk_fma_f16 v59, v29, v54, v59
	v_pk_fma_f16 v60, v29, v56, v60
	v_pk_fma_f16 v64, v29, v51, v27
	v_pk_fma_f16 v65, v30, v47, v31
	v_pk_fma_f16 v66, v30, v48, v44
	v_pk_fma_f16 v32, v30, v54, v32
	v_pk_fma_f16 v54, v30, v49, v45
	v_pk_fma_f16 v52, v30, v56, v52
	v_pk_fma_f16 v56, v30, v50, v46
	ds_read_b128 v[44:47], v17 offset:128
	v_add_u32_e32 v27, 0x800, v21
	v_pk_fma_f16 v57, v29, v48, v57
	v_pk_fma_f16 v61, v29, v49, v61
	;; [unrolled: 1-line block ×6, first 2 shown]
	ds_read2_b64 v[28:31], v27 offset1:32
	ds_read_b128 v[48:51], v17 offset:144
	s_waitcnt lgkmcnt(2)
	v_mul_u32_u24_sdwa v67, v44, s25 dst_sel:DWORD dst_unused:UNUSED_PAD src0_sel:WORD_0 src1_sel:DWORD
	v_mul_u32_u24_sdwa v44, v44, s25 dst_sel:DWORD dst_unused:UNUSED_PAD src0_sel:WORD_1 src1_sel:DWORD
	v_mul_u32_u24_sdwa v68, v45, s25 dst_sel:DWORD dst_unused:UNUSED_PAD src0_sel:WORD_0 src1_sel:DWORD
	v_mul_u32_u24_sdwa v45, v45, s25 dst_sel:DWORD dst_unused:UNUSED_PAD src0_sel:WORD_1 src1_sel:DWORD
	;; [unrolled: 2-line block ×4, first 2 shown]
	s_waitcnt lgkmcnt(1)
	v_pk_fma_f16 v55, v28, v67, v55
	v_pk_fma_f16 v57, v28, v44, v57
	;; [unrolled: 1-line block ×16, first 2 shown]
	s_waitcnt lgkmcnt(0)
	v_mul_u32_u24_sdwa v47, v48, s25 dst_sel:DWORD dst_unused:UNUSED_PAD src0_sel:WORD_0 src1_sel:DWORD
	v_mul_u32_u24_sdwa v48, v48, s25 dst_sel:DWORD dst_unused:UNUSED_PAD src0_sel:WORD_1 src1_sel:DWORD
	v_mul_u32_u24_sdwa v54, v49, s25 dst_sel:DWORD dst_unused:UNUSED_PAD src0_sel:WORD_0 src1_sel:DWORD
	v_mul_u32_u24_sdwa v49, v49, s25 dst_sel:DWORD dst_unused:UNUSED_PAD src0_sel:WORD_1 src1_sel:DWORD
	;; [unrolled: 2-line block ×4, first 2 shown]
	v_pk_fma_f16 v55, v30, v47, v55
	v_pk_fma_f16 v59, v30, v54, v59
	v_pk_fma_f16 v60, v30, v56, v60
	v_pk_fma_f16 v64, v31, v47, v64
	v_pk_fma_f16 v66, v31, v48, v44
	v_pk_fma_f16 v32, v31, v54, v32
	v_pk_fma_f16 v54, v31, v49, v45
	v_pk_fma_f16 v52, v31, v56, v52
	v_pk_fma_f16 v56, v31, v50, v46
	ds_read_b128 v[44:47], v17 offset:160
	v_pk_fma_f16 v57, v30, v48, v57
	v_pk_fma_f16 v61, v30, v49, v61
	;; [unrolled: 1-line block ×7, first 2 shown]
	ds_read2_b64 v[28:31], v27 offset0:64 offset1:96
	ds_read_b128 v[48:51], v17 offset:176
	s_waitcnt lgkmcnt(2)
	v_mul_u32_u24_sdwa v67, v44, s25 dst_sel:DWORD dst_unused:UNUSED_PAD src0_sel:WORD_0 src1_sel:DWORD
	v_mul_u32_u24_sdwa v44, v44, s25 dst_sel:DWORD dst_unused:UNUSED_PAD src0_sel:WORD_1 src1_sel:DWORD
	v_mul_u32_u24_sdwa v68, v45, s25 dst_sel:DWORD dst_unused:UNUSED_PAD src0_sel:WORD_0 src1_sel:DWORD
	v_mul_u32_u24_sdwa v45, v45, s25 dst_sel:DWORD dst_unused:UNUSED_PAD src0_sel:WORD_1 src1_sel:DWORD
	;; [unrolled: 2-line block ×4, first 2 shown]
	s_waitcnt lgkmcnt(1)
	v_pk_fma_f16 v55, v28, v67, v55
	v_pk_fma_f16 v57, v28, v44, v57
	;; [unrolled: 1-line block ×16, first 2 shown]
	s_waitcnt lgkmcnt(0)
	v_mul_u32_u24_sdwa v47, v48, s25 dst_sel:DWORD dst_unused:UNUSED_PAD src0_sel:WORD_0 src1_sel:DWORD
	v_mul_u32_u24_sdwa v48, v48, s25 dst_sel:DWORD dst_unused:UNUSED_PAD src0_sel:WORD_1 src1_sel:DWORD
	v_mul_u32_u24_sdwa v54, v49, s25 dst_sel:DWORD dst_unused:UNUSED_PAD src0_sel:WORD_0 src1_sel:DWORD
	v_mul_u32_u24_sdwa v49, v49, s25 dst_sel:DWORD dst_unused:UNUSED_PAD src0_sel:WORD_1 src1_sel:DWORD
	;; [unrolled: 2-line block ×3, first 2 shown]
	v_pk_fma_f16 v55, v30, v47, v55
	v_pk_fma_f16 v64, v31, v47, v64
	;; [unrolled: 1-line block ×5, first 2 shown]
	ds_read_b128 v[44:47], v17 offset:192
	v_mul_u32_u24_sdwa v58, v51, s25 dst_sel:DWORD dst_unused:UNUSED_PAD src0_sel:WORD_0 src1_sel:DWORD
	v_mul_u32_u24_sdwa v51, v51, s25 dst_sel:DWORD dst_unused:UNUSED_PAD src0_sel:WORD_1 src1_sel:DWORD
	v_pk_fma_f16 v57, v30, v48, v57
	v_pk_fma_f16 v59, v30, v54, v59
	;; [unrolled: 1-line block ×11, first 2 shown]
	ds_read2_b64 v[28:31], v27 offset0:128 offset1:160
	ds_read_b128 v[48:51], v17 offset:208
	s_or_b32 s8, s6, 16
	s_mul_hi_i32 s9, s8, s18
	s_mul_i32 s8, s8, s18
	s_waitcnt lgkmcnt(2)
	v_mul_u32_u24_sdwa v88, v45, s25 dst_sel:DWORD dst_unused:UNUSED_PAD src0_sel:WORD_1 src1_sel:DWORD
	v_mul_u32_u24_sdwa v89, v46, s25 dst_sel:DWORD dst_unused:UNUSED_PAD src0_sel:WORD_0 src1_sel:DWORD
	s_lshl_b64 s[8:9], s[8:9], 2
	s_waitcnt lgkmcnt(1)
	v_pk_fma_f16 v96, v28, v88, v61
	v_pk_fma_f16 v97, v28, v89, v60
	v_mov_b32_e32 v61, s9
	v_add_co_u32_e32 v60, vcc, s8, v19
	v_mul_u32_u24_sdwa v52, v44, s25 dst_sel:DWORD dst_unused:UNUSED_PAD src0_sel:WORD_0 src1_sel:DWORD
	v_mul_u32_u24_sdwa v80, v44, s25 dst_sel:DWORD dst_unused:UNUSED_PAD src0_sel:WORD_1 src1_sel:DWORD
	v_mul_u32_u24_sdwa v81, v45, s25 dst_sel:DWORD dst_unused:UNUSED_PAD src0_sel:WORD_0 src1_sel:DWORD
	v_mul_u32_u24_sdwa v90, v46, s25 dst_sel:DWORD dst_unused:UNUSED_PAD src0_sel:WORD_1 src1_sel:DWORD
	v_mul_u32_u24_sdwa v91, v47, s25 dst_sel:DWORD dst_unused:UNUSED_PAD src0_sel:WORD_0 src1_sel:DWORD
	v_addc_co_u32_e32 v61, vcc, v20, v61, vcc
	v_mul_u32_u24_sdwa v92, v47, s25 dst_sel:DWORD dst_unused:UNUSED_PAD src0_sel:WORD_1 src1_sel:DWORD
	v_pk_fma_f16 v93, v28, v52, v55
	v_pk_fma_f16 v94, v28, v80, v57
	;; [unrolled: 1-line block ×6, first 2 shown]
	ds_read2_b64 v[44:47], v27 offset0:192 offset1:224
	ds_read_b128 v[52:55], v17 offset:224
	ds_read_b128 v[56:59], v17 offset:240
	s_waitcnt lgkmcnt(0)
	s_barrier
	global_load_dwordx4 v[60:63], v[60:61], off
	v_pk_fma_f16 v28, v28, v92, v65
	v_pk_fma_f16 v65, v29, v80, v66
	v_pk_fma_f16 v32, v29, v81, v32
	v_pk_fma_f16 v66, v29, v88, v67
	v_pk_fma_f16 v67, v29, v89, v68
	v_pk_fma_f16 v68, v29, v90, v69
	v_pk_fma_f16 v69, v29, v91, v78
	v_pk_fma_f16 v29, v29, v92, v79
	v_mul_u32_u24_sdwa v78, v48, s25 dst_sel:DWORD dst_unused:UNUSED_PAD src0_sel:WORD_0 src1_sel:DWORD
	v_mul_u32_u24_sdwa v48, v48, s25 dst_sel:DWORD dst_unused:UNUSED_PAD src0_sel:WORD_1 src1_sel:DWORD
	v_mul_u32_u24_sdwa v79, v49, s25 dst_sel:DWORD dst_unused:UNUSED_PAD src0_sel:WORD_0 src1_sel:DWORD
	v_mul_u32_u24_sdwa v49, v49, s25 dst_sel:DWORD dst_unused:UNUSED_PAD src0_sel:WORD_1 src1_sel:DWORD
	v_mul_u32_u24_sdwa v80, v50, s25 dst_sel:DWORD dst_unused:UNUSED_PAD src0_sel:WORD_0 src1_sel:DWORD
	v_mul_u32_u24_sdwa v50, v50, s25 dst_sel:DWORD dst_unused:UNUSED_PAD src0_sel:WORD_1 src1_sel:DWORD
	v_mul_u32_u24_sdwa v81, v51, s25 dst_sel:DWORD dst_unused:UNUSED_PAD src0_sel:WORD_0 src1_sel:DWORD
	v_mul_u32_u24_sdwa v51, v51, s25 dst_sel:DWORD dst_unused:UNUSED_PAD src0_sel:WORD_1 src1_sel:DWORD
	v_pk_fma_f16 v88, v30, v78, v93
	v_pk_fma_f16 v89, v30, v48, v94
	v_pk_fma_f16 v90, v30, v79, v95
	v_pk_fma_f16 v91, v30, v49, v96
	v_pk_fma_f16 v92, v30, v80, v97
	v_pk_fma_f16 v93, v30, v50, v98
	v_pk_fma_f16 v94, v30, v81, v99
	v_pk_fma_f16 v28, v30, v51, v28
	v_pk_fma_f16 v30, v31, v78, v64
	v_pk_fma_f16 v48, v31, v48, v65
	v_pk_fma_f16 v32, v31, v79, v32
	v_pk_fma_f16 v49, v31, v49, v66
	v_pk_fma_f16 v64, v31, v80, v67
	v_pk_fma_f16 v50, v31, v50, v68
	v_pk_fma_f16 v65, v31, v81, v69
	v_pk_fma_f16 v29, v31, v51, v29
	v_mul_u32_u24_sdwa v31, v52, s25 dst_sel:DWORD dst_unused:UNUSED_PAD src0_sel:WORD_0 src1_sel:DWORD
	v_mul_u32_u24_sdwa v51, v52, s25 dst_sel:DWORD dst_unused:UNUSED_PAD src0_sel:WORD_1 src1_sel:DWORD
	v_mul_u32_u24_sdwa v52, v53, s25 dst_sel:DWORD dst_unused:UNUSED_PAD src0_sel:WORD_0 src1_sel:DWORD
	v_mul_u32_u24_sdwa v53, v53, s25 dst_sel:DWORD dst_unused:UNUSED_PAD src0_sel:WORD_1 src1_sel:DWORD
	v_mul_u32_u24_sdwa v66, v54, s25 dst_sel:DWORD dst_unused:UNUSED_PAD src0_sel:WORD_0 src1_sel:DWORD
	v_mul_u32_u24_sdwa v54, v54, s25 dst_sel:DWORD dst_unused:UNUSED_PAD src0_sel:WORD_1 src1_sel:DWORD
	v_mul_u32_u24_sdwa v67, v55, s25 dst_sel:DWORD dst_unused:UNUSED_PAD src0_sel:WORD_0 src1_sel:DWORD
	v_mul_u32_u24_sdwa v55, v55, s25 dst_sel:DWORD dst_unused:UNUSED_PAD src0_sel:WORD_1 src1_sel:DWORD
	v_pk_fma_f16 v68, v44, v31, v88
	v_pk_fma_f16 v69, v44, v51, v89
	v_pk_fma_f16 v78, v44, v52, v90
	v_pk_fma_f16 v79, v44, v53, v91
	v_pk_fma_f16 v80, v44, v66, v92
	v_pk_fma_f16 v81, v44, v54, v93
	v_pk_fma_f16 v88, v44, v67, v94
	v_pk_fma_f16 v28, v44, v55, v28
	;; [unrolled: 24-line block ×3, first 2 shown]
	v_pk_fma_f16 v80, v47, v45, v30
	v_pk_fma_f16 v81, v47, v51, v31
	;; [unrolled: 1-line block ×8, first 2 shown]
	s_waitcnt vmcnt(0)
	ds_write_b128 v18, v[60:63]
	s_waitcnt lgkmcnt(0)
	s_barrier
	ds_read_b128 v[28:31], v17 offset:256
	ds_read2_b64 v[44:47], v21 offset1:32
	ds_read_b128 v[48:51], v17 offset:272
	ds_read_b128 v[52:55], v17 offset:288
	;; [unrolled: 1-line block ×3, first 2 shown]
	s_waitcnt lgkmcnt(4)
	v_mul_u32_u24_sdwa v60, v28, s25 dst_sel:DWORD dst_unused:UNUSED_PAD src0_sel:WORD_0 src1_sel:DWORD
	v_mul_u32_u24_sdwa v28, v28, s25 dst_sel:DWORD dst_unused:UNUSED_PAD src0_sel:WORD_1 src1_sel:DWORD
	v_mul_u32_u24_sdwa v61, v29, s25 dst_sel:DWORD dst_unused:UNUSED_PAD src0_sel:WORD_0 src1_sel:DWORD
	v_mul_u32_u24_sdwa v29, v29, s25 dst_sel:DWORD dst_unused:UNUSED_PAD src0_sel:WORD_1 src1_sel:DWORD
	;; [unrolled: 2-line block ×4, first 2 shown]
	s_waitcnt lgkmcnt(3)
	v_pk_fma_f16 v64, v44, v60, v64
	v_pk_fma_f16 v65, v44, v28, v65
	;; [unrolled: 1-line block ×16, first 2 shown]
	s_waitcnt lgkmcnt(2)
	v_mul_u32_u24_sdwa v45, v48, s25 dst_sel:DWORD dst_unused:UNUSED_PAD src0_sel:WORD_0 src1_sel:DWORD
	v_mul_u32_u24_sdwa v48, v48, s25 dst_sel:DWORD dst_unused:UNUSED_PAD src0_sel:WORD_1 src1_sel:DWORD
	v_mul_u32_u24_sdwa v63, v49, s25 dst_sel:DWORD dst_unused:UNUSED_PAD src0_sel:WORD_0 src1_sel:DWORD
	v_mul_u32_u24_sdwa v49, v49, s25 dst_sel:DWORD dst_unused:UNUSED_PAD src0_sel:WORD_1 src1_sel:DWORD
	;; [unrolled: 2-line block ×4, first 2 shown]
	v_pk_fma_f16 v64, v46, v45, v64
	v_pk_fma_f16 v65, v46, v48, v65
	;; [unrolled: 1-line block ×16, first 2 shown]
	ds_read2_b64 v[28:31], v21 offset0:64 offset1:96
	s_waitcnt lgkmcnt(2)
	v_mul_u32_u24_sdwa v51, v52, s25 dst_sel:DWORD dst_unused:UNUSED_PAD src0_sel:WORD_0 src1_sel:DWORD
	v_mul_u32_u24_sdwa v52, v52, s25 dst_sel:DWORD dst_unused:UNUSED_PAD src0_sel:WORD_1 src1_sel:DWORD
	v_mul_u32_u24_sdwa v61, v53, s25 dst_sel:DWORD dst_unused:UNUSED_PAD src0_sel:WORD_0 src1_sel:DWORD
	v_mul_u32_u24_sdwa v53, v53, s25 dst_sel:DWORD dst_unused:UNUSED_PAD src0_sel:WORD_1 src1_sel:DWORD
	;; [unrolled: 2-line block ×4, first 2 shown]
	s_waitcnt lgkmcnt(0)
	v_pk_fma_f16 v64, v28, v51, v64
	v_pk_fma_f16 v65, v28, v52, v65
	;; [unrolled: 1-line block ×16, first 2 shown]
	v_mul_u32_u24_sdwa v47, v56, s25 dst_sel:DWORD dst_unused:UNUSED_PAD src0_sel:WORD_0 src1_sel:DWORD
	v_mul_u32_u24_sdwa v51, v56, s25 dst_sel:DWORD dst_unused:UNUSED_PAD src0_sel:WORD_1 src1_sel:DWORD
	v_mul_u32_u24_sdwa v52, v57, s25 dst_sel:DWORD dst_unused:UNUSED_PAD src0_sel:WORD_0 src1_sel:DWORD
	v_mul_u32_u24_sdwa v53, v57, s25 dst_sel:DWORD dst_unused:UNUSED_PAD src0_sel:WORD_1 src1_sel:DWORD
	v_mul_u32_u24_sdwa v54, v58, s25 dst_sel:DWORD dst_unused:UNUSED_PAD src0_sel:WORD_0 src1_sel:DWORD
	v_mul_u32_u24_sdwa v55, v58, s25 dst_sel:DWORD dst_unused:UNUSED_PAD src0_sel:WORD_1 src1_sel:DWORD
	v_mul_u32_u24_sdwa v56, v59, s25 dst_sel:DWORD dst_unused:UNUSED_PAD src0_sel:WORD_0 src1_sel:DWORD
	v_mul_u32_u24_sdwa v57, v59, s25 dst_sel:DWORD dst_unused:UNUSED_PAD src0_sel:WORD_1 src1_sel:DWORD
	v_pk_fma_f16 v58, v30, v47, v64
	v_pk_fma_f16 v60, v30, v52, v66
	;; [unrolled: 1-line block ×7, first 2 shown]
	ds_read_b128 v[44:47], v17 offset:320
	v_pk_fma_f16 v59, v30, v51, v65
	v_pk_fma_f16 v62, v30, v54, v68
	;; [unrolled: 1-line block ×9, first 2 shown]
	ds_read2_b64 v[28:31], v21 offset0:128 offset1:160
	ds_read_b128 v[48:51], v17 offset:336
	s_waitcnt lgkmcnt(2)
	v_mul_u32_u24_sdwa v57, v44, s25 dst_sel:DWORD dst_unused:UNUSED_PAD src0_sel:WORD_0 src1_sel:DWORD
	v_mul_u32_u24_sdwa v44, v44, s25 dst_sel:DWORD dst_unused:UNUSED_PAD src0_sel:WORD_1 src1_sel:DWORD
	v_mul_u32_u24_sdwa v68, v45, s25 dst_sel:DWORD dst_unused:UNUSED_PAD src0_sel:WORD_0 src1_sel:DWORD
	v_mul_u32_u24_sdwa v45, v45, s25 dst_sel:DWORD dst_unused:UNUSED_PAD src0_sel:WORD_1 src1_sel:DWORD
	;; [unrolled: 2-line block ×4, first 2 shown]
	s_waitcnt lgkmcnt(1)
	v_pk_fma_f16 v58, v28, v57, v58
	v_pk_fma_f16 v59, v28, v44, v59
	;; [unrolled: 1-line block ×16, first 2 shown]
	s_waitcnt lgkmcnt(0)
	v_mul_u32_u24_sdwa v47, v48, s25 dst_sel:DWORD dst_unused:UNUSED_PAD src0_sel:WORD_0 src1_sel:DWORD
	v_mul_u32_u24_sdwa v48, v48, s25 dst_sel:DWORD dst_unused:UNUSED_PAD src0_sel:WORD_1 src1_sel:DWORD
	v_mul_u32_u24_sdwa v54, v49, s25 dst_sel:DWORD dst_unused:UNUSED_PAD src0_sel:WORD_0 src1_sel:DWORD
	v_mul_u32_u24_sdwa v49, v49, s25 dst_sel:DWORD dst_unused:UNUSED_PAD src0_sel:WORD_1 src1_sel:DWORD
	;; [unrolled: 2-line block ×4, first 2 shown]
	v_pk_fma_f16 v58, v30, v47, v58
	v_pk_fma_f16 v60, v30, v54, v60
	;; [unrolled: 1-line block ×9, first 2 shown]
	ds_read_b128 v[44:47], v17 offset:352
	v_pk_fma_f16 v59, v30, v48, v59
	v_pk_fma_f16 v61, v30, v49, v61
	v_pk_fma_f16 v63, v30, v50, v63
	v_pk_fma_f16 v64, v30, v56, v64
	v_pk_fma_f16 v65, v30, v51, v28
	v_pk_fma_f16 v53, v31, v56, v53
	v_pk_fma_f16 v56, v31, v51, v29
	ds_read2_b64 v[28:31], v21 offset0:192 offset1:224
	ds_read_b128 v[48:51], v17 offset:368
	s_waitcnt lgkmcnt(2)
	v_mul_u32_u24_sdwa v67, v44, s25 dst_sel:DWORD dst_unused:UNUSED_PAD src0_sel:WORD_0 src1_sel:DWORD
	v_mul_u32_u24_sdwa v44, v44, s25 dst_sel:DWORD dst_unused:UNUSED_PAD src0_sel:WORD_1 src1_sel:DWORD
	v_mul_u32_u24_sdwa v68, v45, s25 dst_sel:DWORD dst_unused:UNUSED_PAD src0_sel:WORD_0 src1_sel:DWORD
	v_mul_u32_u24_sdwa v45, v45, s25 dst_sel:DWORD dst_unused:UNUSED_PAD src0_sel:WORD_1 src1_sel:DWORD
	;; [unrolled: 2-line block ×4, first 2 shown]
	s_waitcnt lgkmcnt(1)
	v_pk_fma_f16 v58, v28, v67, v58
	v_pk_fma_f16 v59, v28, v44, v59
	;; [unrolled: 1-line block ×16, first 2 shown]
	s_waitcnt lgkmcnt(0)
	v_mul_u32_u24_sdwa v47, v48, s25 dst_sel:DWORD dst_unused:UNUSED_PAD src0_sel:WORD_0 src1_sel:DWORD
	v_mul_u32_u24_sdwa v48, v48, s25 dst_sel:DWORD dst_unused:UNUSED_PAD src0_sel:WORD_1 src1_sel:DWORD
	v_mul_u32_u24_sdwa v54, v49, s25 dst_sel:DWORD dst_unused:UNUSED_PAD src0_sel:WORD_0 src1_sel:DWORD
	v_mul_u32_u24_sdwa v49, v49, s25 dst_sel:DWORD dst_unused:UNUSED_PAD src0_sel:WORD_1 src1_sel:DWORD
	;; [unrolled: 2-line block ×4, first 2 shown]
	v_pk_fma_f16 v58, v30, v47, v58
	v_pk_fma_f16 v60, v30, v54, v60
	;; [unrolled: 1-line block ×9, first 2 shown]
	ds_read_b128 v[44:47], v17 offset:384
	v_pk_fma_f16 v59, v30, v48, v59
	v_pk_fma_f16 v61, v30, v49, v61
	v_pk_fma_f16 v63, v30, v50, v63
	v_pk_fma_f16 v64, v30, v56, v64
	v_pk_fma_f16 v65, v30, v51, v28
	v_pk_fma_f16 v53, v31, v56, v53
	v_pk_fma_f16 v56, v31, v51, v29
	ds_read2_b64 v[28:31], v27 offset1:32
	ds_read_b128 v[48:51], v17 offset:400
	s_waitcnt lgkmcnt(2)
	v_mul_u32_u24_sdwa v67, v44, s25 dst_sel:DWORD dst_unused:UNUSED_PAD src0_sel:WORD_0 src1_sel:DWORD
	v_mul_u32_u24_sdwa v44, v44, s25 dst_sel:DWORD dst_unused:UNUSED_PAD src0_sel:WORD_1 src1_sel:DWORD
	v_mul_u32_u24_sdwa v68, v45, s25 dst_sel:DWORD dst_unused:UNUSED_PAD src0_sel:WORD_0 src1_sel:DWORD
	v_mul_u32_u24_sdwa v45, v45, s25 dst_sel:DWORD dst_unused:UNUSED_PAD src0_sel:WORD_1 src1_sel:DWORD
	;; [unrolled: 2-line block ×4, first 2 shown]
	s_waitcnt lgkmcnt(1)
	v_pk_fma_f16 v58, v28, v67, v58
	v_pk_fma_f16 v59, v28, v44, v59
	;; [unrolled: 1-line block ×16, first 2 shown]
	s_waitcnt lgkmcnt(0)
	v_mul_u32_u24_sdwa v47, v48, s25 dst_sel:DWORD dst_unused:UNUSED_PAD src0_sel:WORD_0 src1_sel:DWORD
	v_mul_u32_u24_sdwa v48, v48, s25 dst_sel:DWORD dst_unused:UNUSED_PAD src0_sel:WORD_1 src1_sel:DWORD
	v_mul_u32_u24_sdwa v54, v49, s25 dst_sel:DWORD dst_unused:UNUSED_PAD src0_sel:WORD_0 src1_sel:DWORD
	v_mul_u32_u24_sdwa v49, v49, s25 dst_sel:DWORD dst_unused:UNUSED_PAD src0_sel:WORD_1 src1_sel:DWORD
	;; [unrolled: 2-line block ×4, first 2 shown]
	v_pk_fma_f16 v58, v30, v47, v58
	v_pk_fma_f16 v60, v30, v54, v60
	;; [unrolled: 1-line block ×9, first 2 shown]
	ds_read_b128 v[44:47], v17 offset:416
	v_pk_fma_f16 v59, v30, v48, v59
	v_pk_fma_f16 v61, v30, v49, v61
	;; [unrolled: 1-line block ×7, first 2 shown]
	ds_read2_b64 v[28:31], v27 offset0:64 offset1:96
	ds_read_b128 v[48:51], v17 offset:432
	s_waitcnt lgkmcnt(2)
	v_mul_u32_u24_sdwa v67, v44, s25 dst_sel:DWORD dst_unused:UNUSED_PAD src0_sel:WORD_0 src1_sel:DWORD
	v_mul_u32_u24_sdwa v44, v44, s25 dst_sel:DWORD dst_unused:UNUSED_PAD src0_sel:WORD_1 src1_sel:DWORD
	v_mul_u32_u24_sdwa v68, v45, s25 dst_sel:DWORD dst_unused:UNUSED_PAD src0_sel:WORD_0 src1_sel:DWORD
	v_mul_u32_u24_sdwa v45, v45, s25 dst_sel:DWORD dst_unused:UNUSED_PAD src0_sel:WORD_1 src1_sel:DWORD
	;; [unrolled: 2-line block ×4, first 2 shown]
	s_waitcnt lgkmcnt(1)
	v_pk_fma_f16 v58, v28, v67, v58
	v_pk_fma_f16 v59, v28, v44, v59
	;; [unrolled: 1-line block ×16, first 2 shown]
	s_waitcnt lgkmcnt(0)
	v_mul_u32_u24_sdwa v47, v48, s25 dst_sel:DWORD dst_unused:UNUSED_PAD src0_sel:WORD_0 src1_sel:DWORD
	v_mul_u32_u24_sdwa v48, v48, s25 dst_sel:DWORD dst_unused:UNUSED_PAD src0_sel:WORD_1 src1_sel:DWORD
	v_mul_u32_u24_sdwa v54, v49, s25 dst_sel:DWORD dst_unused:UNUSED_PAD src0_sel:WORD_0 src1_sel:DWORD
	v_mul_u32_u24_sdwa v49, v49, s25 dst_sel:DWORD dst_unused:UNUSED_PAD src0_sel:WORD_1 src1_sel:DWORD
	;; [unrolled: 2-line block ×3, first 2 shown]
	v_pk_fma_f16 v58, v30, v47, v58
	v_pk_fma_f16 v57, v31, v47, v57
	;; [unrolled: 1-line block ×5, first 2 shown]
	ds_read_b128 v[44:47], v17 offset:448
	v_mul_u32_u24_sdwa v56, v51, s25 dst_sel:DWORD dst_unused:UNUSED_PAD src0_sel:WORD_0 src1_sel:DWORD
	v_mul_u32_u24_sdwa v51, v51, s25 dst_sel:DWORD dst_unused:UNUSED_PAD src0_sel:WORD_1 src1_sel:DWORD
	v_pk_fma_f16 v59, v30, v48, v59
	v_pk_fma_f16 v60, v30, v54, v60
	;; [unrolled: 1-line block ×11, first 2 shown]
	ds_read2_b64 v[28:31], v27 offset0:128 offset1:160
	ds_read_b128 v[48:51], v17 offset:464
	s_or_b32 s8, s6, 32
	s_mul_hi_i32 s9, s8, s18
	s_mul_i32 s8, s8, s18
	s_waitcnt lgkmcnt(2)
	v_mul_u32_u24_sdwa v81, v45, s25 dst_sel:DWORD dst_unused:UNUSED_PAD src0_sel:WORD_0 src1_sel:DWORD
	v_mul_u32_u24_sdwa v88, v45, s25 dst_sel:DWORD dst_unused:UNUSED_PAD src0_sel:WORD_1 src1_sel:DWORD
	s_lshl_b64 s[8:9], s[8:9], 2
	s_waitcnt lgkmcnt(1)
	v_pk_fma_f16 v95, v28, v81, v60
	v_pk_fma_f16 v96, v28, v88, v61
	v_mov_b32_e32 v61, s9
	v_add_co_u32_e32 v60, vcc, s8, v19
	v_mul_u32_u24_sdwa v52, v44, s25 dst_sel:DWORD dst_unused:UNUSED_PAD src0_sel:WORD_0 src1_sel:DWORD
	v_mul_u32_u24_sdwa v80, v44, s25 dst_sel:DWORD dst_unused:UNUSED_PAD src0_sel:WORD_1 src1_sel:DWORD
	v_mul_u32_u24_sdwa v89, v46, s25 dst_sel:DWORD dst_unused:UNUSED_PAD src0_sel:WORD_0 src1_sel:DWORD
	v_mul_u32_u24_sdwa v90, v46, s25 dst_sel:DWORD dst_unused:UNUSED_PAD src0_sel:WORD_1 src1_sel:DWORD
	;; [unrolled: 2-line block ×3, first 2 shown]
	v_addc_co_u32_e32 v61, vcc, v20, v61, vcc
	v_pk_fma_f16 v93, v28, v52, v58
	v_pk_fma_f16 v94, v28, v80, v59
	;; [unrolled: 1-line block ×7, first 2 shown]
	ds_read2_b64 v[44:47], v27 offset0:192 offset1:224
	ds_read_b128 v[52:55], v17 offset:480
	ds_read_b128 v[56:59], v17 offset:496
	s_waitcnt lgkmcnt(0)
	s_barrier
	global_load_dwordx4 v[60:63], v[60:61], off
	v_pk_fma_f16 v66, v29, v80, v66
	v_pk_fma_f16 v32, v29, v81, v32
	v_pk_fma_f16 v67, v29, v88, v67
	v_pk_fma_f16 v68, v29, v89, v68
	v_pk_fma_f16 v69, v29, v90, v69
	v_pk_fma_f16 v78, v29, v91, v78
	v_pk_fma_f16 v29, v29, v92, v79
	v_mul_u32_u24_sdwa v79, v48, s25 dst_sel:DWORD dst_unused:UNUSED_PAD src0_sel:WORD_0 src1_sel:DWORD
	v_mul_u32_u24_sdwa v48, v48, s25 dst_sel:DWORD dst_unused:UNUSED_PAD src0_sel:WORD_1 src1_sel:DWORD
	v_mul_u32_u24_sdwa v80, v49, s25 dst_sel:DWORD dst_unused:UNUSED_PAD src0_sel:WORD_0 src1_sel:DWORD
	v_mul_u32_u24_sdwa v49, v49, s25 dst_sel:DWORD dst_unused:UNUSED_PAD src0_sel:WORD_1 src1_sel:DWORD
	v_mul_u32_u24_sdwa v81, v50, s25 dst_sel:DWORD dst_unused:UNUSED_PAD src0_sel:WORD_0 src1_sel:DWORD
	v_mul_u32_u24_sdwa v50, v50, s25 dst_sel:DWORD dst_unused:UNUSED_PAD src0_sel:WORD_1 src1_sel:DWORD
	v_mul_u32_u24_sdwa v88, v51, s25 dst_sel:DWORD dst_unused:UNUSED_PAD src0_sel:WORD_0 src1_sel:DWORD
	v_mul_u32_u24_sdwa v51, v51, s25 dst_sel:DWORD dst_unused:UNUSED_PAD src0_sel:WORD_1 src1_sel:DWORD
	v_pk_fma_f16 v89, v30, v79, v93
	v_pk_fma_f16 v90, v30, v48, v94
	v_pk_fma_f16 v91, v30, v80, v95
	v_pk_fma_f16 v92, v30, v49, v96
	v_pk_fma_f16 v93, v30, v81, v97
	v_pk_fma_f16 v94, v30, v50, v98
	v_pk_fma_f16 v64, v30, v88, v64
	v_pk_fma_f16 v28, v30, v51, v28
	v_pk_fma_f16 v30, v31, v79, v65
	v_pk_fma_f16 v48, v31, v48, v66
	v_pk_fma_f16 v32, v31, v80, v32
	v_pk_fma_f16 v49, v31, v49, v67
	v_pk_fma_f16 v65, v31, v81, v68
	v_pk_fma_f16 v50, v31, v50, v69
	v_pk_fma_f16 v66, v31, v88, v78
	v_pk_fma_f16 v29, v31, v51, v29
	v_mul_u32_u24_sdwa v31, v52, s25 dst_sel:DWORD dst_unused:UNUSED_PAD src0_sel:WORD_0 src1_sel:DWORD
	v_mul_u32_u24_sdwa v51, v52, s25 dst_sel:DWORD dst_unused:UNUSED_PAD src0_sel:WORD_1 src1_sel:DWORD
	v_mul_u32_u24_sdwa v52, v53, s25 dst_sel:DWORD dst_unused:UNUSED_PAD src0_sel:WORD_0 src1_sel:DWORD
	v_mul_u32_u24_sdwa v53, v53, s25 dst_sel:DWORD dst_unused:UNUSED_PAD src0_sel:WORD_1 src1_sel:DWORD
	v_mul_u32_u24_sdwa v67, v54, s25 dst_sel:DWORD dst_unused:UNUSED_PAD src0_sel:WORD_0 src1_sel:DWORD
	v_mul_u32_u24_sdwa v54, v54, s25 dst_sel:DWORD dst_unused:UNUSED_PAD src0_sel:WORD_1 src1_sel:DWORD
	v_mul_u32_u24_sdwa v68, v55, s25 dst_sel:DWORD dst_unused:UNUSED_PAD src0_sel:WORD_0 src1_sel:DWORD
	v_mul_u32_u24_sdwa v55, v55, s25 dst_sel:DWORD dst_unused:UNUSED_PAD src0_sel:WORD_1 src1_sel:DWORD
	v_pk_fma_f16 v69, v44, v31, v89
	v_pk_fma_f16 v78, v44, v51, v90
	v_pk_fma_f16 v79, v44, v52, v91
	v_pk_fma_f16 v80, v44, v53, v92
	v_pk_fma_f16 v81, v44, v67, v93
	v_pk_fma_f16 v88, v44, v54, v94
	v_pk_fma_f16 v64, v44, v68, v64
	v_pk_fma_f16 v28, v44, v55, v28
	v_pk_fma_f16 v30, v45, v31, v30
	;; [unrolled: 24-line block ×3, first 2 shown]
	v_pk_fma_f16 v81, v47, v51, v31
	v_pk_fma_f16 v32, v47, v52, v32
	;; [unrolled: 1-line block ×7, first 2 shown]
	s_waitcnt vmcnt(0)
	ds_write_b128 v18, v[60:63]
	s_waitcnt lgkmcnt(0)
	s_barrier
	ds_read_b128 v[28:31], v17 offset:512
	ds_read2_b64 v[44:47], v21 offset1:32
	ds_read_b128 v[48:51], v17 offset:528
	ds_read_b128 v[52:55], v17 offset:544
	;; [unrolled: 1-line block ×3, first 2 shown]
	s_waitcnt lgkmcnt(4)
	v_mul_u32_u24_sdwa v60, v28, s25 dst_sel:DWORD dst_unused:UNUSED_PAD src0_sel:WORD_0 src1_sel:DWORD
	v_mul_u32_u24_sdwa v28, v28, s25 dst_sel:DWORD dst_unused:UNUSED_PAD src0_sel:WORD_1 src1_sel:DWORD
	v_mul_u32_u24_sdwa v61, v29, s25 dst_sel:DWORD dst_unused:UNUSED_PAD src0_sel:WORD_0 src1_sel:DWORD
	v_mul_u32_u24_sdwa v29, v29, s25 dst_sel:DWORD dst_unused:UNUSED_PAD src0_sel:WORD_1 src1_sel:DWORD
	;; [unrolled: 2-line block ×4, first 2 shown]
	s_waitcnt lgkmcnt(3)
	v_pk_fma_f16 v65, v44, v60, v65
	v_pk_fma_f16 v66, v44, v28, v66
	;; [unrolled: 1-line block ×16, first 2 shown]
	s_waitcnt lgkmcnt(2)
	v_mul_u32_u24_sdwa v45, v48, s25 dst_sel:DWORD dst_unused:UNUSED_PAD src0_sel:WORD_0 src1_sel:DWORD
	v_mul_u32_u24_sdwa v48, v48, s25 dst_sel:DWORD dst_unused:UNUSED_PAD src0_sel:WORD_1 src1_sel:DWORD
	v_mul_u32_u24_sdwa v63, v49, s25 dst_sel:DWORD dst_unused:UNUSED_PAD src0_sel:WORD_0 src1_sel:DWORD
	v_mul_u32_u24_sdwa v49, v49, s25 dst_sel:DWORD dst_unused:UNUSED_PAD src0_sel:WORD_1 src1_sel:DWORD
	;; [unrolled: 2-line block ×4, first 2 shown]
	v_pk_fma_f16 v65, v46, v45, v65
	v_pk_fma_f16 v66, v46, v48, v66
	;; [unrolled: 1-line block ×16, first 2 shown]
	ds_read2_b64 v[28:31], v21 offset0:64 offset1:96
	s_waitcnt lgkmcnt(2)
	v_mul_u32_u24_sdwa v51, v52, s25 dst_sel:DWORD dst_unused:UNUSED_PAD src0_sel:WORD_0 src1_sel:DWORD
	v_mul_u32_u24_sdwa v52, v52, s25 dst_sel:DWORD dst_unused:UNUSED_PAD src0_sel:WORD_1 src1_sel:DWORD
	v_mul_u32_u24_sdwa v61, v53, s25 dst_sel:DWORD dst_unused:UNUSED_PAD src0_sel:WORD_0 src1_sel:DWORD
	v_mul_u32_u24_sdwa v53, v53, s25 dst_sel:DWORD dst_unused:UNUSED_PAD src0_sel:WORD_1 src1_sel:DWORD
	v_mul_u32_u24_sdwa v62, v54, s25 dst_sel:DWORD dst_unused:UNUSED_PAD src0_sel:WORD_0 src1_sel:DWORD
	v_mul_u32_u24_sdwa v54, v54, s25 dst_sel:DWORD dst_unused:UNUSED_PAD src0_sel:WORD_1 src1_sel:DWORD
	v_mul_u32_u24_sdwa v63, v55, s25 dst_sel:DWORD dst_unused:UNUSED_PAD src0_sel:WORD_0 src1_sel:DWORD
	v_mul_u32_u24_sdwa v55, v55, s25 dst_sel:DWORD dst_unused:UNUSED_PAD src0_sel:WORD_1 src1_sel:DWORD
	s_waitcnt lgkmcnt(0)
	v_pk_fma_f16 v65, v28, v51, v65
	v_pk_fma_f16 v66, v28, v52, v66
	;; [unrolled: 1-line block ×16, first 2 shown]
	v_mul_u32_u24_sdwa v47, v56, s25 dst_sel:DWORD dst_unused:UNUSED_PAD src0_sel:WORD_0 src1_sel:DWORD
	v_mul_u32_u24_sdwa v51, v56, s25 dst_sel:DWORD dst_unused:UNUSED_PAD src0_sel:WORD_1 src1_sel:DWORD
	v_mul_u32_u24_sdwa v52, v57, s25 dst_sel:DWORD dst_unused:UNUSED_PAD src0_sel:WORD_0 src1_sel:DWORD
	v_mul_u32_u24_sdwa v53, v57, s25 dst_sel:DWORD dst_unused:UNUSED_PAD src0_sel:WORD_1 src1_sel:DWORD
	;; [unrolled: 2-line block ×4, first 2 shown]
	v_pk_fma_f16 v58, v30, v47, v65
	v_pk_fma_f16 v59, v30, v51, v66
	;; [unrolled: 1-line block ×7, first 2 shown]
	ds_read_b128 v[44:47], v17 offset:576
	v_pk_fma_f16 v61, v30, v53, v68
	v_pk_fma_f16 v62, v30, v54, v69
	;; [unrolled: 1-line block ×9, first 2 shown]
	ds_read2_b64 v[28:31], v21 offset0:128 offset1:160
	ds_read_b128 v[48:51], v17 offset:592
	s_waitcnt lgkmcnt(2)
	v_mul_u32_u24_sdwa v57, v44, s25 dst_sel:DWORD dst_unused:UNUSED_PAD src0_sel:WORD_0 src1_sel:DWORD
	v_mul_u32_u24_sdwa v44, v44, s25 dst_sel:DWORD dst_unused:UNUSED_PAD src0_sel:WORD_1 src1_sel:DWORD
	v_mul_u32_u24_sdwa v68, v45, s25 dst_sel:DWORD dst_unused:UNUSED_PAD src0_sel:WORD_0 src1_sel:DWORD
	v_mul_u32_u24_sdwa v45, v45, s25 dst_sel:DWORD dst_unused:UNUSED_PAD src0_sel:WORD_1 src1_sel:DWORD
	;; [unrolled: 2-line block ×4, first 2 shown]
	s_waitcnt lgkmcnt(1)
	v_pk_fma_f16 v58, v28, v57, v58
	v_pk_fma_f16 v59, v28, v44, v59
	;; [unrolled: 1-line block ×16, first 2 shown]
	s_waitcnt lgkmcnt(0)
	v_mul_u32_u24_sdwa v47, v48, s25 dst_sel:DWORD dst_unused:UNUSED_PAD src0_sel:WORD_0 src1_sel:DWORD
	v_mul_u32_u24_sdwa v48, v48, s25 dst_sel:DWORD dst_unused:UNUSED_PAD src0_sel:WORD_1 src1_sel:DWORD
	v_mul_u32_u24_sdwa v54, v49, s25 dst_sel:DWORD dst_unused:UNUSED_PAD src0_sel:WORD_0 src1_sel:DWORD
	v_mul_u32_u24_sdwa v49, v49, s25 dst_sel:DWORD dst_unused:UNUSED_PAD src0_sel:WORD_1 src1_sel:DWORD
	;; [unrolled: 2-line block ×4, first 2 shown]
	v_pk_fma_f16 v58, v30, v47, v58
	v_pk_fma_f16 v60, v30, v54, v60
	;; [unrolled: 1-line block ×9, first 2 shown]
	ds_read_b128 v[44:47], v17 offset:608
	v_pk_fma_f16 v59, v30, v48, v59
	v_pk_fma_f16 v61, v30, v49, v61
	;; [unrolled: 1-line block ×7, first 2 shown]
	ds_read2_b64 v[28:31], v21 offset0:192 offset1:224
	ds_read_b128 v[48:51], v17 offset:624
	s_waitcnt lgkmcnt(2)
	v_mul_u32_u24_sdwa v67, v44, s25 dst_sel:DWORD dst_unused:UNUSED_PAD src0_sel:WORD_0 src1_sel:DWORD
	v_mul_u32_u24_sdwa v44, v44, s25 dst_sel:DWORD dst_unused:UNUSED_PAD src0_sel:WORD_1 src1_sel:DWORD
	v_mul_u32_u24_sdwa v68, v45, s25 dst_sel:DWORD dst_unused:UNUSED_PAD src0_sel:WORD_0 src1_sel:DWORD
	v_mul_u32_u24_sdwa v45, v45, s25 dst_sel:DWORD dst_unused:UNUSED_PAD src0_sel:WORD_1 src1_sel:DWORD
	;; [unrolled: 2-line block ×4, first 2 shown]
	s_waitcnt lgkmcnt(1)
	v_pk_fma_f16 v58, v28, v67, v58
	v_pk_fma_f16 v59, v28, v44, v59
	;; [unrolled: 1-line block ×16, first 2 shown]
	s_waitcnt lgkmcnt(0)
	v_mul_u32_u24_sdwa v47, v48, s25 dst_sel:DWORD dst_unused:UNUSED_PAD src0_sel:WORD_0 src1_sel:DWORD
	v_mul_u32_u24_sdwa v48, v48, s25 dst_sel:DWORD dst_unused:UNUSED_PAD src0_sel:WORD_1 src1_sel:DWORD
	v_mul_u32_u24_sdwa v54, v49, s25 dst_sel:DWORD dst_unused:UNUSED_PAD src0_sel:WORD_0 src1_sel:DWORD
	v_mul_u32_u24_sdwa v49, v49, s25 dst_sel:DWORD dst_unused:UNUSED_PAD src0_sel:WORD_1 src1_sel:DWORD
	v_mul_u32_u24_sdwa v55, v50, s25 dst_sel:DWORD dst_unused:UNUSED_PAD src0_sel:WORD_0 src1_sel:DWORD
	v_mul_u32_u24_sdwa v50, v50, s25 dst_sel:DWORD dst_unused:UNUSED_PAD src0_sel:WORD_1 src1_sel:DWORD
	v_mul_u32_u24_sdwa v56, v51, s25 dst_sel:DWORD dst_unused:UNUSED_PAD src0_sel:WORD_0 src1_sel:DWORD
	v_mul_u32_u24_sdwa v51, v51, s25 dst_sel:DWORD dst_unused:UNUSED_PAD src0_sel:WORD_1 src1_sel:DWORD
	v_pk_fma_f16 v58, v30, v47, v58
	v_pk_fma_f16 v60, v30, v54, v60
	;; [unrolled: 1-line block ×9, first 2 shown]
	ds_read_b128 v[44:47], v17 offset:640
	v_pk_fma_f16 v59, v30, v48, v59
	v_pk_fma_f16 v61, v30, v49, v61
	;; [unrolled: 1-line block ×7, first 2 shown]
	ds_read2_b64 v[28:31], v27 offset1:32
	ds_read_b128 v[48:51], v17 offset:656
	s_waitcnt lgkmcnt(2)
	v_mul_u32_u24_sdwa v67, v44, s25 dst_sel:DWORD dst_unused:UNUSED_PAD src0_sel:WORD_0 src1_sel:DWORD
	v_mul_u32_u24_sdwa v44, v44, s25 dst_sel:DWORD dst_unused:UNUSED_PAD src0_sel:WORD_1 src1_sel:DWORD
	v_mul_u32_u24_sdwa v68, v45, s25 dst_sel:DWORD dst_unused:UNUSED_PAD src0_sel:WORD_0 src1_sel:DWORD
	v_mul_u32_u24_sdwa v45, v45, s25 dst_sel:DWORD dst_unused:UNUSED_PAD src0_sel:WORD_1 src1_sel:DWORD
	;; [unrolled: 2-line block ×4, first 2 shown]
	s_waitcnt lgkmcnt(1)
	v_pk_fma_f16 v58, v28, v67, v58
	v_pk_fma_f16 v59, v28, v44, v59
	;; [unrolled: 1-line block ×16, first 2 shown]
	s_waitcnt lgkmcnt(0)
	v_mul_u32_u24_sdwa v47, v48, s25 dst_sel:DWORD dst_unused:UNUSED_PAD src0_sel:WORD_0 src1_sel:DWORD
	v_mul_u32_u24_sdwa v48, v48, s25 dst_sel:DWORD dst_unused:UNUSED_PAD src0_sel:WORD_1 src1_sel:DWORD
	v_mul_u32_u24_sdwa v54, v49, s25 dst_sel:DWORD dst_unused:UNUSED_PAD src0_sel:WORD_0 src1_sel:DWORD
	v_mul_u32_u24_sdwa v49, v49, s25 dst_sel:DWORD dst_unused:UNUSED_PAD src0_sel:WORD_1 src1_sel:DWORD
	;; [unrolled: 2-line block ×4, first 2 shown]
	v_pk_fma_f16 v58, v30, v47, v58
	v_pk_fma_f16 v60, v30, v54, v60
	;; [unrolled: 1-line block ×9, first 2 shown]
	ds_read_b128 v[44:47], v17 offset:672
	v_pk_fma_f16 v59, v30, v48, v59
	v_pk_fma_f16 v61, v30, v49, v61
	;; [unrolled: 1-line block ×7, first 2 shown]
	ds_read2_b64 v[28:31], v27 offset0:64 offset1:96
	ds_read_b128 v[48:51], v17 offset:688
	s_waitcnt lgkmcnt(2)
	v_mul_u32_u24_sdwa v67, v44, s25 dst_sel:DWORD dst_unused:UNUSED_PAD src0_sel:WORD_0 src1_sel:DWORD
	v_mul_u32_u24_sdwa v44, v44, s25 dst_sel:DWORD dst_unused:UNUSED_PAD src0_sel:WORD_1 src1_sel:DWORD
	v_mul_u32_u24_sdwa v68, v45, s25 dst_sel:DWORD dst_unused:UNUSED_PAD src0_sel:WORD_0 src1_sel:DWORD
	v_mul_u32_u24_sdwa v45, v45, s25 dst_sel:DWORD dst_unused:UNUSED_PAD src0_sel:WORD_1 src1_sel:DWORD
	;; [unrolled: 2-line block ×4, first 2 shown]
	s_waitcnt lgkmcnt(1)
	v_pk_fma_f16 v58, v28, v67, v58
	v_pk_fma_f16 v59, v28, v44, v59
	;; [unrolled: 1-line block ×16, first 2 shown]
	s_waitcnt lgkmcnt(0)
	v_mul_u32_u24_sdwa v47, v48, s25 dst_sel:DWORD dst_unused:UNUSED_PAD src0_sel:WORD_0 src1_sel:DWORD
	v_mul_u32_u24_sdwa v48, v48, s25 dst_sel:DWORD dst_unused:UNUSED_PAD src0_sel:WORD_1 src1_sel:DWORD
	v_mul_u32_u24_sdwa v54, v49, s25 dst_sel:DWORD dst_unused:UNUSED_PAD src0_sel:WORD_0 src1_sel:DWORD
	v_mul_u32_u24_sdwa v49, v49, s25 dst_sel:DWORD dst_unused:UNUSED_PAD src0_sel:WORD_1 src1_sel:DWORD
	;; [unrolled: 2-line block ×3, first 2 shown]
	v_pk_fma_f16 v58, v30, v47, v58
	v_pk_fma_f16 v57, v31, v47, v57
	;; [unrolled: 1-line block ×5, first 2 shown]
	ds_read_b128 v[44:47], v17 offset:704
	v_mul_u32_u24_sdwa v56, v51, s25 dst_sel:DWORD dst_unused:UNUSED_PAD src0_sel:WORD_0 src1_sel:DWORD
	v_mul_u32_u24_sdwa v51, v51, s25 dst_sel:DWORD dst_unused:UNUSED_PAD src0_sel:WORD_1 src1_sel:DWORD
	v_pk_fma_f16 v59, v30, v48, v59
	v_pk_fma_f16 v60, v30, v54, v60
	;; [unrolled: 1-line block ×11, first 2 shown]
	ds_read2_b64 v[28:31], v27 offset0:128 offset1:160
	ds_read_b128 v[48:51], v17 offset:720
	s_or_b32 s8, s6, 48
	s_mul_hi_i32 s9, s8, s18
	s_mul_i32 s8, s8, s18
	s_waitcnt lgkmcnt(2)
	v_mul_u32_u24_sdwa v81, v45, s25 dst_sel:DWORD dst_unused:UNUSED_PAD src0_sel:WORD_0 src1_sel:DWORD
	v_mul_u32_u24_sdwa v88, v45, s25 dst_sel:DWORD dst_unused:UNUSED_PAD src0_sel:WORD_1 src1_sel:DWORD
	s_lshl_b64 s[8:9], s[8:9], 2
	s_waitcnt lgkmcnt(1)
	v_pk_fma_f16 v95, v28, v81, v60
	v_pk_fma_f16 v96, v28, v88, v61
	v_mov_b32_e32 v61, s9
	v_add_co_u32_e32 v60, vcc, s8, v19
	v_mul_u32_u24_sdwa v52, v44, s25 dst_sel:DWORD dst_unused:UNUSED_PAD src0_sel:WORD_0 src1_sel:DWORD
	v_mul_u32_u24_sdwa v80, v44, s25 dst_sel:DWORD dst_unused:UNUSED_PAD src0_sel:WORD_1 src1_sel:DWORD
	v_mul_u32_u24_sdwa v89, v46, s25 dst_sel:DWORD dst_unused:UNUSED_PAD src0_sel:WORD_0 src1_sel:DWORD
	v_mul_u32_u24_sdwa v90, v46, s25 dst_sel:DWORD dst_unused:UNUSED_PAD src0_sel:WORD_1 src1_sel:DWORD
	;; [unrolled: 2-line block ×3, first 2 shown]
	v_addc_co_u32_e32 v61, vcc, v20, v61, vcc
	v_pk_fma_f16 v93, v28, v52, v58
	v_pk_fma_f16 v94, v28, v80, v59
	;; [unrolled: 1-line block ×7, first 2 shown]
	ds_read2_b64 v[44:47], v27 offset0:192 offset1:224
	ds_read_b128 v[52:55], v17 offset:736
	ds_read_b128 v[56:59], v17 offset:752
	s_waitcnt lgkmcnt(0)
	s_barrier
	global_load_dwordx4 v[60:63], v[60:61], off
	v_pk_fma_f16 v66, v29, v80, v66
	v_pk_fma_f16 v32, v29, v81, v32
	v_pk_fma_f16 v67, v29, v88, v67
	v_pk_fma_f16 v68, v29, v89, v68
	v_pk_fma_f16 v69, v29, v90, v69
	v_pk_fma_f16 v78, v29, v91, v78
	v_pk_fma_f16 v29, v29, v92, v79
	v_mul_u32_u24_sdwa v79, v48, s25 dst_sel:DWORD dst_unused:UNUSED_PAD src0_sel:WORD_0 src1_sel:DWORD
	v_mul_u32_u24_sdwa v48, v48, s25 dst_sel:DWORD dst_unused:UNUSED_PAD src0_sel:WORD_1 src1_sel:DWORD
	v_mul_u32_u24_sdwa v80, v49, s25 dst_sel:DWORD dst_unused:UNUSED_PAD src0_sel:WORD_0 src1_sel:DWORD
	v_mul_u32_u24_sdwa v49, v49, s25 dst_sel:DWORD dst_unused:UNUSED_PAD src0_sel:WORD_1 src1_sel:DWORD
	v_mul_u32_u24_sdwa v81, v50, s25 dst_sel:DWORD dst_unused:UNUSED_PAD src0_sel:WORD_0 src1_sel:DWORD
	v_mul_u32_u24_sdwa v50, v50, s25 dst_sel:DWORD dst_unused:UNUSED_PAD src0_sel:WORD_1 src1_sel:DWORD
	v_mul_u32_u24_sdwa v88, v51, s25 dst_sel:DWORD dst_unused:UNUSED_PAD src0_sel:WORD_0 src1_sel:DWORD
	v_mul_u32_u24_sdwa v51, v51, s25 dst_sel:DWORD dst_unused:UNUSED_PAD src0_sel:WORD_1 src1_sel:DWORD
	v_pk_fma_f16 v89, v30, v79, v93
	v_pk_fma_f16 v90, v30, v48, v94
	v_pk_fma_f16 v91, v30, v80, v95
	v_pk_fma_f16 v92, v30, v49, v96
	v_pk_fma_f16 v93, v30, v81, v97
	v_pk_fma_f16 v94, v30, v50, v98
	v_pk_fma_f16 v64, v30, v88, v64
	v_pk_fma_f16 v28, v30, v51, v28
	v_pk_fma_f16 v30, v31, v79, v65
	v_pk_fma_f16 v48, v31, v48, v66
	v_pk_fma_f16 v32, v31, v80, v32
	v_pk_fma_f16 v49, v31, v49, v67
	v_pk_fma_f16 v65, v31, v81, v68
	v_pk_fma_f16 v50, v31, v50, v69
	v_pk_fma_f16 v66, v31, v88, v78
	v_pk_fma_f16 v29, v31, v51, v29
	v_mul_u32_u24_sdwa v31, v52, s25 dst_sel:DWORD dst_unused:UNUSED_PAD src0_sel:WORD_0 src1_sel:DWORD
	v_mul_u32_u24_sdwa v51, v52, s25 dst_sel:DWORD dst_unused:UNUSED_PAD src0_sel:WORD_1 src1_sel:DWORD
	v_mul_u32_u24_sdwa v52, v53, s25 dst_sel:DWORD dst_unused:UNUSED_PAD src0_sel:WORD_0 src1_sel:DWORD
	v_mul_u32_u24_sdwa v53, v53, s25 dst_sel:DWORD dst_unused:UNUSED_PAD src0_sel:WORD_1 src1_sel:DWORD
	v_mul_u32_u24_sdwa v67, v54, s25 dst_sel:DWORD dst_unused:UNUSED_PAD src0_sel:WORD_0 src1_sel:DWORD
	v_mul_u32_u24_sdwa v54, v54, s25 dst_sel:DWORD dst_unused:UNUSED_PAD src0_sel:WORD_1 src1_sel:DWORD
	v_mul_u32_u24_sdwa v68, v55, s25 dst_sel:DWORD dst_unused:UNUSED_PAD src0_sel:WORD_0 src1_sel:DWORD
	v_mul_u32_u24_sdwa v55, v55, s25 dst_sel:DWORD dst_unused:UNUSED_PAD src0_sel:WORD_1 src1_sel:DWORD
	v_pk_fma_f16 v69, v44, v31, v89
	v_pk_fma_f16 v78, v44, v51, v90
	v_pk_fma_f16 v79, v44, v52, v91
	v_pk_fma_f16 v80, v44, v53, v92
	v_pk_fma_f16 v81, v44, v67, v93
	v_pk_fma_f16 v88, v44, v54, v94
	v_pk_fma_f16 v64, v44, v68, v64
	v_pk_fma_f16 v28, v44, v55, v28
	v_pk_fma_f16 v30, v45, v31, v30
	;; [unrolled: 24-line block ×3, first 2 shown]
	v_pk_fma_f16 v81, v47, v51, v31
	v_pk_fma_f16 v32, v47, v52, v32
	;; [unrolled: 1-line block ×7, first 2 shown]
	s_waitcnt vmcnt(0)
	ds_write_b128 v18, v[60:63]
	s_waitcnt lgkmcnt(0)
	s_barrier
	ds_read_b128 v[28:31], v17 offset:768
	ds_read2_b64 v[44:47], v21 offset1:32
	ds_read_b128 v[48:51], v17 offset:784
	ds_read_b128 v[52:55], v17 offset:800
	;; [unrolled: 1-line block ×3, first 2 shown]
	s_waitcnt lgkmcnt(4)
	v_mul_u32_u24_sdwa v60, v28, s25 dst_sel:DWORD dst_unused:UNUSED_PAD src0_sel:WORD_0 src1_sel:DWORD
	v_mul_u32_u24_sdwa v28, v28, s25 dst_sel:DWORD dst_unused:UNUSED_PAD src0_sel:WORD_1 src1_sel:DWORD
	v_mul_u32_u24_sdwa v61, v29, s25 dst_sel:DWORD dst_unused:UNUSED_PAD src0_sel:WORD_0 src1_sel:DWORD
	v_mul_u32_u24_sdwa v29, v29, s25 dst_sel:DWORD dst_unused:UNUSED_PAD src0_sel:WORD_1 src1_sel:DWORD
	;; [unrolled: 2-line block ×4, first 2 shown]
	s_waitcnt lgkmcnt(3)
	v_pk_fma_f16 v65, v44, v60, v65
	v_pk_fma_f16 v66, v44, v28, v66
	;; [unrolled: 1-line block ×16, first 2 shown]
	s_waitcnt lgkmcnt(2)
	v_mul_u32_u24_sdwa v45, v48, s25 dst_sel:DWORD dst_unused:UNUSED_PAD src0_sel:WORD_0 src1_sel:DWORD
	v_mul_u32_u24_sdwa v48, v48, s25 dst_sel:DWORD dst_unused:UNUSED_PAD src0_sel:WORD_1 src1_sel:DWORD
	v_mul_u32_u24_sdwa v63, v49, s25 dst_sel:DWORD dst_unused:UNUSED_PAD src0_sel:WORD_0 src1_sel:DWORD
	v_mul_u32_u24_sdwa v49, v49, s25 dst_sel:DWORD dst_unused:UNUSED_PAD src0_sel:WORD_1 src1_sel:DWORD
	;; [unrolled: 2-line block ×4, first 2 shown]
	v_pk_fma_f16 v65, v46, v45, v65
	v_pk_fma_f16 v66, v46, v48, v66
	;; [unrolled: 1-line block ×16, first 2 shown]
	ds_read2_b64 v[28:31], v21 offset0:64 offset1:96
	s_waitcnt lgkmcnt(2)
	v_mul_u32_u24_sdwa v51, v52, s25 dst_sel:DWORD dst_unused:UNUSED_PAD src0_sel:WORD_0 src1_sel:DWORD
	v_mul_u32_u24_sdwa v52, v52, s25 dst_sel:DWORD dst_unused:UNUSED_PAD src0_sel:WORD_1 src1_sel:DWORD
	v_mul_u32_u24_sdwa v61, v53, s25 dst_sel:DWORD dst_unused:UNUSED_PAD src0_sel:WORD_0 src1_sel:DWORD
	v_mul_u32_u24_sdwa v53, v53, s25 dst_sel:DWORD dst_unused:UNUSED_PAD src0_sel:WORD_1 src1_sel:DWORD
	;; [unrolled: 2-line block ×4, first 2 shown]
	s_waitcnt lgkmcnt(0)
	v_pk_fma_f16 v65, v28, v51, v65
	v_pk_fma_f16 v66, v28, v52, v66
	;; [unrolled: 1-line block ×16, first 2 shown]
	v_mul_u32_u24_sdwa v47, v56, s25 dst_sel:DWORD dst_unused:UNUSED_PAD src0_sel:WORD_0 src1_sel:DWORD
	v_mul_u32_u24_sdwa v51, v56, s25 dst_sel:DWORD dst_unused:UNUSED_PAD src0_sel:WORD_1 src1_sel:DWORD
	v_mul_u32_u24_sdwa v52, v57, s25 dst_sel:DWORD dst_unused:UNUSED_PAD src0_sel:WORD_0 src1_sel:DWORD
	v_mul_u32_u24_sdwa v53, v57, s25 dst_sel:DWORD dst_unused:UNUSED_PAD src0_sel:WORD_1 src1_sel:DWORD
	;; [unrolled: 2-line block ×4, first 2 shown]
	v_pk_fma_f16 v58, v30, v47, v65
	v_pk_fma_f16 v59, v30, v51, v66
	;; [unrolled: 1-line block ×7, first 2 shown]
	ds_read_b128 v[44:47], v17 offset:832
	v_pk_fma_f16 v61, v30, v53, v68
	v_pk_fma_f16 v62, v30, v54, v69
	;; [unrolled: 1-line block ×9, first 2 shown]
	ds_read2_b64 v[28:31], v21 offset0:128 offset1:160
	ds_read_b128 v[48:51], v17 offset:848
	s_waitcnt lgkmcnt(2)
	v_mul_u32_u24_sdwa v57, v44, s25 dst_sel:DWORD dst_unused:UNUSED_PAD src0_sel:WORD_0 src1_sel:DWORD
	v_mul_u32_u24_sdwa v44, v44, s25 dst_sel:DWORD dst_unused:UNUSED_PAD src0_sel:WORD_1 src1_sel:DWORD
	v_mul_u32_u24_sdwa v68, v45, s25 dst_sel:DWORD dst_unused:UNUSED_PAD src0_sel:WORD_0 src1_sel:DWORD
	v_mul_u32_u24_sdwa v45, v45, s25 dst_sel:DWORD dst_unused:UNUSED_PAD src0_sel:WORD_1 src1_sel:DWORD
	;; [unrolled: 2-line block ×4, first 2 shown]
	s_waitcnt lgkmcnt(1)
	v_pk_fma_f16 v58, v28, v57, v58
	v_pk_fma_f16 v59, v28, v44, v59
	;; [unrolled: 1-line block ×16, first 2 shown]
	s_waitcnt lgkmcnt(0)
	v_mul_u32_u24_sdwa v47, v48, s25 dst_sel:DWORD dst_unused:UNUSED_PAD src0_sel:WORD_0 src1_sel:DWORD
	v_mul_u32_u24_sdwa v48, v48, s25 dst_sel:DWORD dst_unused:UNUSED_PAD src0_sel:WORD_1 src1_sel:DWORD
	v_mul_u32_u24_sdwa v54, v49, s25 dst_sel:DWORD dst_unused:UNUSED_PAD src0_sel:WORD_0 src1_sel:DWORD
	v_mul_u32_u24_sdwa v49, v49, s25 dst_sel:DWORD dst_unused:UNUSED_PAD src0_sel:WORD_1 src1_sel:DWORD
	v_mul_u32_u24_sdwa v55, v50, s25 dst_sel:DWORD dst_unused:UNUSED_PAD src0_sel:WORD_0 src1_sel:DWORD
	v_mul_u32_u24_sdwa v50, v50, s25 dst_sel:DWORD dst_unused:UNUSED_PAD src0_sel:WORD_1 src1_sel:DWORD
	v_mul_u32_u24_sdwa v56, v51, s25 dst_sel:DWORD dst_unused:UNUSED_PAD src0_sel:WORD_0 src1_sel:DWORD
	v_mul_u32_u24_sdwa v51, v51, s25 dst_sel:DWORD dst_unused:UNUSED_PAD src0_sel:WORD_1 src1_sel:DWORD
	v_pk_fma_f16 v58, v30, v47, v58
	v_pk_fma_f16 v60, v30, v54, v60
	;; [unrolled: 1-line block ×9, first 2 shown]
	ds_read_b128 v[44:47], v17 offset:864
	v_pk_fma_f16 v59, v30, v48, v59
	v_pk_fma_f16 v61, v30, v49, v61
	;; [unrolled: 1-line block ×7, first 2 shown]
	ds_read2_b64 v[28:31], v21 offset0:192 offset1:224
	ds_read_b128 v[48:51], v17 offset:880
	s_waitcnt lgkmcnt(2)
	v_mul_u32_u24_sdwa v67, v44, s25 dst_sel:DWORD dst_unused:UNUSED_PAD src0_sel:WORD_0 src1_sel:DWORD
	v_mul_u32_u24_sdwa v44, v44, s25 dst_sel:DWORD dst_unused:UNUSED_PAD src0_sel:WORD_1 src1_sel:DWORD
	v_mul_u32_u24_sdwa v68, v45, s25 dst_sel:DWORD dst_unused:UNUSED_PAD src0_sel:WORD_0 src1_sel:DWORD
	v_mul_u32_u24_sdwa v45, v45, s25 dst_sel:DWORD dst_unused:UNUSED_PAD src0_sel:WORD_1 src1_sel:DWORD
	;; [unrolled: 2-line block ×4, first 2 shown]
	s_waitcnt lgkmcnt(1)
	v_pk_fma_f16 v58, v28, v67, v58
	v_pk_fma_f16 v59, v28, v44, v59
	;; [unrolled: 1-line block ×16, first 2 shown]
	s_waitcnt lgkmcnt(0)
	v_mul_u32_u24_sdwa v47, v48, s25 dst_sel:DWORD dst_unused:UNUSED_PAD src0_sel:WORD_0 src1_sel:DWORD
	v_mul_u32_u24_sdwa v48, v48, s25 dst_sel:DWORD dst_unused:UNUSED_PAD src0_sel:WORD_1 src1_sel:DWORD
	v_mul_u32_u24_sdwa v54, v49, s25 dst_sel:DWORD dst_unused:UNUSED_PAD src0_sel:WORD_0 src1_sel:DWORD
	v_mul_u32_u24_sdwa v49, v49, s25 dst_sel:DWORD dst_unused:UNUSED_PAD src0_sel:WORD_1 src1_sel:DWORD
	;; [unrolled: 2-line block ×4, first 2 shown]
	v_pk_fma_f16 v58, v30, v47, v58
	v_pk_fma_f16 v60, v30, v54, v60
	;; [unrolled: 1-line block ×9, first 2 shown]
	ds_read_b128 v[44:47], v17 offset:896
	v_pk_fma_f16 v59, v30, v48, v59
	v_pk_fma_f16 v61, v30, v49, v61
	;; [unrolled: 1-line block ×7, first 2 shown]
	ds_read2_b64 v[28:31], v27 offset1:32
	ds_read_b128 v[48:51], v17 offset:912
	s_waitcnt lgkmcnt(2)
	v_mul_u32_u24_sdwa v67, v44, s25 dst_sel:DWORD dst_unused:UNUSED_PAD src0_sel:WORD_0 src1_sel:DWORD
	v_mul_u32_u24_sdwa v44, v44, s25 dst_sel:DWORD dst_unused:UNUSED_PAD src0_sel:WORD_1 src1_sel:DWORD
	v_mul_u32_u24_sdwa v68, v45, s25 dst_sel:DWORD dst_unused:UNUSED_PAD src0_sel:WORD_0 src1_sel:DWORD
	v_mul_u32_u24_sdwa v45, v45, s25 dst_sel:DWORD dst_unused:UNUSED_PAD src0_sel:WORD_1 src1_sel:DWORD
	;; [unrolled: 2-line block ×4, first 2 shown]
	s_waitcnt lgkmcnt(1)
	v_pk_fma_f16 v58, v28, v67, v58
	v_pk_fma_f16 v59, v28, v44, v59
	v_pk_fma_f16 v60, v28, v68, v60
	v_pk_fma_f16 v61, v28, v45, v61
	v_pk_fma_f16 v62, v28, v69, v62
	v_pk_fma_f16 v63, v28, v46, v63
	v_pk_fma_f16 v64, v28, v78, v64
	v_pk_fma_f16 v28, v28, v47, v65
	v_pk_fma_f16 v57, v29, v67, v57
	v_pk_fma_f16 v44, v29, v44, v66
	v_pk_fma_f16 v32, v29, v68, v32
	v_pk_fma_f16 v45, v29, v45, v54
	v_pk_fma_f16 v52, v29, v69, v52
	v_pk_fma_f16 v46, v29, v46, v55
	v_pk_fma_f16 v53, v29, v78, v53
	v_pk_fma_f16 v29, v29, v47, v56
	s_waitcnt lgkmcnt(0)
	v_mul_u32_u24_sdwa v47, v48, s25 dst_sel:DWORD dst_unused:UNUSED_PAD src0_sel:WORD_0 src1_sel:DWORD
	v_mul_u32_u24_sdwa v48, v48, s25 dst_sel:DWORD dst_unused:UNUSED_PAD src0_sel:WORD_1 src1_sel:DWORD
	v_mul_u32_u24_sdwa v54, v49, s25 dst_sel:DWORD dst_unused:UNUSED_PAD src0_sel:WORD_0 src1_sel:DWORD
	v_mul_u32_u24_sdwa v49, v49, s25 dst_sel:DWORD dst_unused:UNUSED_PAD src0_sel:WORD_1 src1_sel:DWORD
	;; [unrolled: 2-line block ×4, first 2 shown]
	v_pk_fma_f16 v58, v30, v47, v58
	v_pk_fma_f16 v60, v30, v54, v60
	;; [unrolled: 1-line block ×9, first 2 shown]
	ds_read_b128 v[44:47], v17 offset:928
	v_pk_fma_f16 v59, v30, v48, v59
	v_pk_fma_f16 v61, v30, v49, v61
	;; [unrolled: 1-line block ×7, first 2 shown]
	ds_read2_b64 v[28:31], v27 offset0:64 offset1:96
	ds_read_b128 v[48:51], v17 offset:944
	s_waitcnt lgkmcnt(2)
	v_mul_u32_u24_sdwa v67, v44, s25 dst_sel:DWORD dst_unused:UNUSED_PAD src0_sel:WORD_0 src1_sel:DWORD
	v_mul_u32_u24_sdwa v44, v44, s25 dst_sel:DWORD dst_unused:UNUSED_PAD src0_sel:WORD_1 src1_sel:DWORD
	v_mul_u32_u24_sdwa v68, v45, s25 dst_sel:DWORD dst_unused:UNUSED_PAD src0_sel:WORD_0 src1_sel:DWORD
	v_mul_u32_u24_sdwa v45, v45, s25 dst_sel:DWORD dst_unused:UNUSED_PAD src0_sel:WORD_1 src1_sel:DWORD
	;; [unrolled: 2-line block ×4, first 2 shown]
	s_waitcnt lgkmcnt(1)
	v_pk_fma_f16 v58, v28, v67, v58
	v_pk_fma_f16 v59, v28, v44, v59
	;; [unrolled: 1-line block ×16, first 2 shown]
	s_waitcnt lgkmcnt(0)
	v_mul_u32_u24_sdwa v47, v48, s25 dst_sel:DWORD dst_unused:UNUSED_PAD src0_sel:WORD_0 src1_sel:DWORD
	v_mul_u32_u24_sdwa v48, v48, s25 dst_sel:DWORD dst_unused:UNUSED_PAD src0_sel:WORD_1 src1_sel:DWORD
	v_mul_u32_u24_sdwa v54, v49, s25 dst_sel:DWORD dst_unused:UNUSED_PAD src0_sel:WORD_0 src1_sel:DWORD
	v_mul_u32_u24_sdwa v49, v49, s25 dst_sel:DWORD dst_unused:UNUSED_PAD src0_sel:WORD_1 src1_sel:DWORD
	;; [unrolled: 2-line block ×4, first 2 shown]
	v_pk_fma_f16 v58, v30, v47, v58
	v_pk_fma_f16 v60, v30, v54, v60
	;; [unrolled: 1-line block ×9, first 2 shown]
	ds_read_b128 v[44:47], v17 offset:960
	v_pk_fma_f16 v59, v30, v48, v59
	v_pk_fma_f16 v61, v30, v49, v61
	;; [unrolled: 1-line block ×7, first 2 shown]
	ds_read2_b64 v[28:31], v27 offset0:128 offset1:160
	ds_read_b128 v[48:51], v17 offset:976
	s_waitcnt lgkmcnt(2)
	v_mul_u32_u24_sdwa v67, v44, s25 dst_sel:DWORD dst_unused:UNUSED_PAD src0_sel:WORD_0 src1_sel:DWORD
	v_mul_u32_u24_sdwa v44, v44, s25 dst_sel:DWORD dst_unused:UNUSED_PAD src0_sel:WORD_1 src1_sel:DWORD
	v_mul_u32_u24_sdwa v68, v45, s25 dst_sel:DWORD dst_unused:UNUSED_PAD src0_sel:WORD_0 src1_sel:DWORD
	v_mul_u32_u24_sdwa v45, v45, s25 dst_sel:DWORD dst_unused:UNUSED_PAD src0_sel:WORD_1 src1_sel:DWORD
	;; [unrolled: 2-line block ×4, first 2 shown]
	s_waitcnt lgkmcnt(1)
	v_pk_fma_f16 v58, v28, v67, v58
	v_pk_fma_f16 v59, v28, v44, v59
	;; [unrolled: 1-line block ×16, first 2 shown]
	s_waitcnt lgkmcnt(0)
	v_mul_u32_u24_sdwa v47, v48, s25 dst_sel:DWORD dst_unused:UNUSED_PAD src0_sel:WORD_0 src1_sel:DWORD
	v_mul_u32_u24_sdwa v48, v48, s25 dst_sel:DWORD dst_unused:UNUSED_PAD src0_sel:WORD_1 src1_sel:DWORD
	v_mul_u32_u24_sdwa v54, v49, s25 dst_sel:DWORD dst_unused:UNUSED_PAD src0_sel:WORD_0 src1_sel:DWORD
	v_mul_u32_u24_sdwa v49, v49, s25 dst_sel:DWORD dst_unused:UNUSED_PAD src0_sel:WORD_1 src1_sel:DWORD
	;; [unrolled: 2-line block ×4, first 2 shown]
	v_pk_fma_f16 v58, v30, v47, v58
	v_pk_fma_f16 v59, v30, v48, v59
	;; [unrolled: 1-line block ×14, first 2 shown]
	ds_read_b128 v[44:47], v17 offset:992
	v_pk_fma_f16 v53, v31, v56, v53
	v_pk_fma_f16 v31, v31, v51, v29
	ds_read2_b64 v[27:30], v27 offset0:192 offset1:224
	ds_read_b128 v[48:51], v17 offset:1008
	s_waitcnt lgkmcnt(0)
	s_barrier
	s_load_dword s8, s[0:1], 0x4
	v_mul_u32_u24_sdwa v56, v44, s25 dst_sel:DWORD dst_unused:UNUSED_PAD src0_sel:WORD_0 src1_sel:DWORD
	v_mul_u32_u24_sdwa v44, v44, s25 dst_sel:DWORD dst_unused:UNUSED_PAD src0_sel:WORD_1 src1_sel:DWORD
	v_mul_u32_u24_sdwa v67, v45, s25 dst_sel:DWORD dst_unused:UNUSED_PAD src0_sel:WORD_0 src1_sel:DWORD
	v_mul_u32_u24_sdwa v45, v45, s25 dst_sel:DWORD dst_unused:UNUSED_PAD src0_sel:WORD_1 src1_sel:DWORD
	;; [unrolled: 2-line block ×4, first 2 shown]
	s_waitcnt lgkmcnt(0)
	s_lshl_b32 s8, s8, 6
	v_pk_fma_f16 v58, v27, v56, v58
	v_pk_fma_f16 v59, v27, v44, v59
	;; [unrolled: 1-line block ×16, first 2 shown]
	v_mul_u32_u24_sdwa v31, v48, s25 dst_sel:DWORD dst_unused:UNUSED_PAD src0_sel:WORD_0 src1_sel:DWORD
	v_mul_u32_u24_sdwa v47, v48, s25 dst_sel:DWORD dst_unused:UNUSED_PAD src0_sel:WORD_1 src1_sel:DWORD
	v_mul_u32_u24_sdwa v53, v49, s25 dst_sel:DWORD dst_unused:UNUSED_PAD src0_sel:WORD_0 src1_sel:DWORD
	v_mul_u32_u24_sdwa v49, v49, s25 dst_sel:DWORD dst_unused:UNUSED_PAD src0_sel:WORD_1 src1_sel:DWORD
	;; [unrolled: 2-line block ×4, first 2 shown]
	s_add_i32 s6, s8, s6
	v_pk_fma_f16 v58, v29, v31, v58
	v_pk_fma_f16 v56, v29, v47, v59
	;; [unrolled: 1-line block ×15, first 2 shown]
	s_cmp_ge_i32 s6, s30
	v_pk_fma_f16 v44, v30, v80, v28
	s_cbranch_scc1 .LBB75_7
; %bb.77:                               ;   in Loop: Header=BB75_12 Depth=1
	v_mov_b32_e32 v69, v1
	v_mov_b32_e32 v68, v2
	;; [unrolled: 1-line block ×16, first 2 shown]
	s_branch .LBB75_12
.LBB75_78:
	v_mov_b32_e32 v24, v16
	v_mov_b32_e32 v23, v15
	;; [unrolled: 1-line block ×8, first 2 shown]
	v_cmp_gt_i32_e32 vcc, s2, v43
	s_and_saveexec_b64 s[0:1], vcc
	s_cbranch_execz .LBB75_9
.LBB75_79:
	s_load_dword s6, s[4:5], 0xd4
	v_mov_b32_e32 v26, 1.0
	s_waitcnt lgkmcnt(0)
	s_cmp_lg_u32 s6, 1
	s_cselect_b64 s[4:5], -1, 0
	s_cmp_eq_u32 s6, 1
	s_cselect_b64 s[8:9], -1, 0
	s_and_b64 vcc, exec, s[4:5]
	s_cbranch_vccnz .LBB75_81
; %bb.80:
	v_div_scale_f32 v25, s[0:1], v9, v9, 1.0
	v_div_scale_f32 v26, vcc, 1.0, v9, 1.0
	v_rcp_f32_e32 v27, v25
	v_fma_f32 v28, -v25, v27, 1.0
	v_fmac_f32_e32 v27, v28, v27
	v_mul_f32_e32 v28, v26, v27
	v_fma_f32 v29, -v25, v28, v26
	v_fmac_f32_e32 v28, v29, v27
	v_fma_f32 v25, -v25, v28, v26
	v_div_fmas_f32 v25, v25, v27, v28
	v_div_fixup_f32 v26, v25, v9, 1.0
.LBB75_81:
	s_mul_i32 s10, s33, s2
	s_add_i32 s10, s10, s14
	v_add_u32_e32 v9, s10, v42
	v_mul_lo_u32 v9, v9, s3
	v_cmp_eq_u32_e32 vcc, 0, v0
	v_cvt_f32_f16_e32 v0, v58
	v_mov_b32_e32 v32, 0
	v_add_u32_e32 v25, s28, v9
	v_mul_lo_u32 v25, s6, v25
	v_cvt_f32_f16_sdwa v28, v58 dst_sel:DWORD dst_unused:UNUSED_PAD src0_sel:WORD_1
	v_cvt_f32_f16_e32 v29, v59
	v_cvt_f32_f16_sdwa v30, v59 dst_sel:DWORD dst_unused:UNUSED_PAD src0_sel:WORD_1
	v_add_u32_e32 v25, s7, v25
	v_lshl_add_u32 v31, v25, 7, v41
	v_lshlrev_b64 v[31:32], 2, v[31:32]
	v_mul_f32_e32 v27, v26, v0
	v_mov_b32_e32 v0, s21
	v_add_co_u32_e64 v31, s[0:1], s20, v31
	v_mul_f32_e32 v28, v26, v28
	v_mul_f32_e32 v29, v26, v29
	;; [unrolled: 1-line block ×3, first 2 shown]
	v_addc_co_u32_e64 v32, s[0:1], v0, v32, s[0:1]
	s_and_b64 s[4:5], vcc, s[4:5]
	global_store_dwordx4 v[31:32], v[27:30], off
	s_and_saveexec_b64 s[0:1], s[4:5]
	s_cbranch_execz .LBB75_83
; %bb.82:
	v_ashrrev_i32_e32 v26, 31, v25
	v_lshlrev_b64 v[25:26], 3, v[25:26]
	v_mov_b32_e32 v0, s23
	v_add_co_u32_e32 v25, vcc, s22, v25
	v_addc_co_u32_e32 v26, vcc, v0, v26, vcc
	v_mov_b32_e32 v0, v1
	v_mov_b32_e32 v1, v17
	global_store_dwordx2 v[25:26], v[0:1], off
.LBB75_83:
	s_or_b64 exec, exec, s[0:1]
	v_cndmask_b32_e64 v0, 0, 1, s[8:9]
	v_cmp_ne_u32_e64 s[0:1], 1, v0
	s_andn2_b64 vcc, exec, s[8:9]
	v_mov_b32_e32 v1, 1.0
	s_cbranch_vccnz .LBB75_85
; %bb.84:
	v_div_scale_f32 v0, s[8:9], v10, v10, 1.0
	v_div_scale_f32 v1, vcc, 1.0, v10, 1.0
	v_rcp_f32_e32 v17, v0
	v_fma_f32 v25, -v0, v17, 1.0
	v_fmac_f32_e32 v17, v25, v17
	v_mul_f32_e32 v25, v1, v17
	v_fma_f32 v26, -v0, v25, v1
	v_fmac_f32_e32 v25, v26, v17
	v_fma_f32 v0, -v0, v25, v1
	v_div_fmas_f32 v0, v0, v17, v25
	v_div_fixup_f32 v1, v0, v10, 1.0
.LBB75_85:
	s_add_i32 s13, s28, 1
	v_add_u32_e32 v0, s13, v9
	v_mul_lo_u32 v0, s6, v0
	v_cvt_f32_f16_e32 v10, v56
	v_cvt_f32_f16_sdwa v17, v56 dst_sel:DWORD dst_unused:UNUSED_PAD src0_sel:WORD_1
	v_cvt_f32_f16_e32 v27, v57
	v_add_u32_e32 v0, s7, v0
	v_cvt_f32_f16_sdwa v28, v57 dst_sel:DWORD dst_unused:UNUSED_PAD src0_sel:WORD_1
	v_mov_b32_e32 v30, 0
	v_lshl_add_u32 v29, v0, 7, v41
	v_lshlrev_b64 v[29:30], 2, v[29:30]
	v_mul_f32_e32 v25, v1, v10
	v_mul_f32_e32 v26, v1, v17
	;; [unrolled: 1-line block ×4, first 2 shown]
	v_mov_b32_e32 v1, s21
	v_add_co_u32_e32 v29, vcc, s20, v29
	v_addc_co_u32_e32 v30, vcc, v1, v30, vcc
	global_store_dwordx4 v[29:30], v[25:28], off
	s_and_saveexec_b64 s[8:9], s[4:5]
	s_cbranch_execz .LBB75_87
; %bb.86:
	v_ashrrev_i32_e32 v1, 31, v0
	v_lshlrev_b64 v[0:1], 3, v[0:1]
	v_mov_b32_e32 v10, s23
	v_add_co_u32_e32 v0, vcc, s22, v0
	v_addc_co_u32_e32 v1, vcc, v10, v1, vcc
	v_mov_b32_e32 v17, v2
	global_store_dwordx2 v[0:1], v[17:18], off
.LBB75_87:
	s_or_b64 exec, exec, s[8:9]
	s_and_b64 vcc, exec, s[0:1]
	v_mov_b32_e32 v1, 1.0
	s_cbranch_vccnz .LBB75_89
; %bb.88:
	v_div_scale_f32 v0, s[8:9], v11, v11, 1.0
	v_div_scale_f32 v1, vcc, 1.0, v11, 1.0
	v_rcp_f32_e32 v2, v0
	v_fma_f32 v10, -v0, v2, 1.0
	v_fmac_f32_e32 v2, v10, v2
	v_mul_f32_e32 v10, v1, v2
	v_fma_f32 v17, -v0, v10, v1
	v_fmac_f32_e32 v10, v17, v2
	v_fma_f32 v0, -v0, v10, v1
	v_div_fmas_f32 v0, v0, v2, v10
	v_div_fixup_f32 v1, v0, v11, 1.0
.LBB75_89:
	s_add_i32 s12, s28, 2
	v_add_u32_e32 v0, s12, v9
	v_mul_lo_u32 v0, s6, v0
	v_cvt_f32_f16_e32 v2, v54
	v_cvt_f32_f16_sdwa v17, v54 dst_sel:DWORD dst_unused:UNUSED_PAD src0_sel:WORD_1
	v_cvt_f32_f16_e32 v18, v55
	v_cvt_f32_f16_sdwa v28, v55 dst_sel:DWORD dst_unused:UNUSED_PAD src0_sel:WORD_1
	v_add_u32_e32 v0, s7, v0
	v_mov_b32_e32 v11, 0
	v_lshl_add_u32 v10, v0, 7, v41
	v_mul_f32_e32 v25, v1, v2
	v_mul_f32_e32 v26, v1, v17
	;; [unrolled: 1-line block ×4, first 2 shown]
	v_lshlrev_b64 v[1:2], 2, v[10:11]
	v_mov_b32_e32 v10, s21
	v_add_co_u32_e32 v1, vcc, s20, v1
	v_addc_co_u32_e32 v2, vcc, v10, v2, vcc
	global_store_dwordx4 v[1:2], v[25:28], off
	s_and_saveexec_b64 s[8:9], s[4:5]
	s_cbranch_execz .LBB75_91
; %bb.90:
	v_ashrrev_i32_e32 v1, 31, v0
	v_lshlrev_b64 v[0:1], 3, v[0:1]
	v_mov_b32_e32 v2, s23
	v_add_co_u32_e32 v0, vcc, s22, v0
	v_addc_co_u32_e32 v1, vcc, v2, v1, vcc
	v_mov_b32_e32 v18, v3
	global_store_dwordx2 v[0:1], v[18:19], off
.LBB75_91:
	s_or_b64 exec, exec, s[8:9]
	s_and_b64 vcc, exec, s[0:1]
	v_mov_b32_e32 v1, 1.0
	s_cbranch_vccnz .LBB75_93
; %bb.92:
	v_div_scale_f32 v0, s[8:9], v12, v12, 1.0
	v_div_scale_f32 v1, vcc, 1.0, v12, 1.0
	v_rcp_f32_e32 v2, v0
	v_fma_f32 v3, -v0, v2, 1.0
	v_fmac_f32_e32 v2, v3, v2
	v_mul_f32_e32 v3, v1, v2
	v_fma_f32 v10, -v0, v3, v1
	v_fmac_f32_e32 v3, v10, v2
	v_fma_f32 v0, -v0, v3, v1
	v_div_fmas_f32 v0, v0, v2, v3
	v_div_fixup_f32 v1, v0, v12, 1.0
.LBB75_93:
	s_add_i32 s11, s28, 3
	v_add_u32_e32 v0, s11, v9
	v_mul_lo_u32 v0, s6, v0
	v_cvt_f32_f16_e32 v9, v52
	v_cvt_f32_f16_sdwa v10, v52 dst_sel:DWORD dst_unused:UNUSED_PAD src0_sel:WORD_1
	v_cvt_f32_f16_e32 v11, v53
	v_cvt_f32_f16_sdwa v12, v53 dst_sel:DWORD dst_unused:UNUSED_PAD src0_sel:WORD_1
	v_add_u32_e32 v0, s7, v0
	v_mov_b32_e32 v3, 0
	v_lshl_add_u32 v2, v0, 7, v41
	v_mul_f32_e32 v9, v1, v9
	v_mul_f32_e32 v10, v1, v10
	;; [unrolled: 1-line block ×4, first 2 shown]
	v_lshlrev_b64 v[1:2], 2, v[2:3]
	v_mov_b32_e32 v3, s21
	v_add_co_u32_e32 v1, vcc, s20, v1
	v_addc_co_u32_e32 v2, vcc, v3, v2, vcc
	global_store_dwordx4 v[1:2], v[9:12], off
	s_and_saveexec_b64 s[8:9], s[4:5]
	s_cbranch_execz .LBB75_95
; %bb.94:
	v_ashrrev_i32_e32 v1, 31, v0
	v_lshlrev_b64 v[0:1], 3, v[0:1]
	v_mov_b32_e32 v2, s23
	v_add_co_u32_e32 v0, vcc, s22, v0
	v_addc_co_u32_e32 v1, vcc, v2, v1, vcc
	v_mov_b32_e32 v19, v4
	global_store_dwordx2 v[0:1], v[19:20], off
.LBB75_95:
	s_or_b64 exec, exec, s[8:9]
	v_cmp_gt_i32_e32 vcc, s2, v40
	s_and_b64 exec, exec, vcc
	s_cbranch_execz .LBB75_9
; %bb.96:
	s_and_b64 vcc, exec, s[0:1]
	v_mov_b32_e32 v1, 1.0
	s_cbranch_vccnz .LBB75_98
; %bb.97:
	v_div_scale_f32 v0, s[8:9], v13, v13, 1.0
	v_div_scale_f32 v1, vcc, 1.0, v13, 1.0
	v_rcp_f32_e32 v2, v0
	v_fma_f32 v3, -v0, v2, 1.0
	v_fmac_f32_e32 v2, v3, v2
	v_mul_f32_e32 v3, v1, v2
	v_fma_f32 v4, -v0, v3, v1
	v_fmac_f32_e32 v3, v4, v2
	v_fma_f32 v0, -v0, v3, v1
	v_div_fmas_f32 v0, v0, v2, v3
	v_div_fixup_f32 v1, v0, v13, 1.0
.LBB75_98:
	v_add_u32_e32 v0, s10, v39
	v_mul_lo_u32 v0, v0, s3
	v_cvt_f32_f16_e32 v2, v50
	v_cvt_f32_f16_sdwa v4, v50 dst_sel:DWORD dst_unused:UNUSED_PAD src0_sel:WORD_1
	v_cvt_f32_f16_e32 v11, v51
	v_add_u32_e32 v0, s28, v0
	v_mul_lo_u32 v0, s6, v0
	v_cvt_f32_f16_sdwa v12, v51 dst_sel:DWORD dst_unused:UNUSED_PAD src0_sel:WORD_1
	v_mov_b32_e32 v3, 0
	v_mul_f32_e32 v9, v1, v2
	v_add_u32_e32 v0, s7, v0
	v_lshl_add_u32 v2, v0, 7, v41
	v_mul_f32_e32 v10, v1, v4
	v_mul_f32_e32 v11, v1, v11
	;; [unrolled: 1-line block ×3, first 2 shown]
	v_lshlrev_b64 v[1:2], 2, v[2:3]
	v_mov_b32_e32 v3, s21
	v_add_co_u32_e32 v1, vcc, s20, v1
	v_addc_co_u32_e32 v2, vcc, v3, v2, vcc
	global_store_dwordx4 v[1:2], v[9:12], off
	s_and_saveexec_b64 s[8:9], s[4:5]
	s_cbranch_execz .LBB75_100
; %bb.99:
	v_ashrrev_i32_e32 v1, 31, v0
	v_lshlrev_b64 v[0:1], 3, v[0:1]
	v_mov_b32_e32 v2, s23
	v_add_co_u32_e32 v0, vcc, s22, v0
	v_addc_co_u32_e32 v1, vcc, v2, v1, vcc
	v_mov_b32_e32 v20, v5
	global_store_dwordx2 v[0:1], v[20:21], off
.LBB75_100:
	s_or_b64 exec, exec, s[8:9]
	v_cmp_gt_i32_e32 vcc, s2, v37
	s_and_b64 exec, exec, vcc
	s_cbranch_execz .LBB75_9
; %bb.101:
	s_and_b64 vcc, exec, s[0:1]
	v_mov_b32_e32 v1, 1.0
	s_cbranch_vccnz .LBB75_103
; %bb.102:
	v_div_scale_f32 v0, s[8:9], v14, v14, 1.0
	v_div_scale_f32 v1, vcc, 1.0, v14, 1.0
	v_rcp_f32_e32 v2, v0
	v_fma_f32 v3, -v0, v2, 1.0
	v_fmac_f32_e32 v2, v3, v2
	v_mul_f32_e32 v3, v1, v2
	v_fma_f32 v4, -v0, v3, v1
	v_fmac_f32_e32 v3, v4, v2
	v_fma_f32 v0, -v0, v3, v1
	v_div_fmas_f32 v0, v0, v2, v3
	v_div_fixup_f32 v1, v0, v14, 1.0
.LBB75_103:
	v_add_u32_e32 v0, s10, v35
	v_mul_lo_u32 v0, v0, s3
	v_cvt_f32_f16_e32 v2, v48
	v_cvt_f32_f16_sdwa v3, v48 dst_sel:DWORD dst_unused:UNUSED_PAD src0_sel:WORD_1
	v_cvt_f32_f16_e32 v4, v49
	v_add_u32_e32 v0, s13, v0
	v_mul_lo_u32 v0, s6, v0
	v_cvt_f32_f16_sdwa v5, v49 dst_sel:DWORD dst_unused:UNUSED_PAD src0_sel:WORD_1
	v_mov_b32_e32 v10, 0
	v_mul_f32_e32 v2, v1, v2
	v_add_u32_e32 v0, s7, v0
	v_lshl_add_u32 v9, v0, 7, v41
	v_lshlrev_b64 v[9:10], 2, v[9:10]
	v_mul_f32_e32 v3, v1, v3
	v_mul_f32_e32 v4, v1, v4
	v_mul_f32_e32 v5, v1, v5
	v_mov_b32_e32 v1, s21
	v_add_co_u32_e32 v9, vcc, s20, v9
	v_addc_co_u32_e32 v10, vcc, v1, v10, vcc
	global_store_dwordx4 v[9:10], v[2:5], off
	s_and_saveexec_b64 s[8:9], s[4:5]
	s_cbranch_execz .LBB75_105
; %bb.104:
	v_ashrrev_i32_e32 v1, 31, v0
	v_lshlrev_b64 v[0:1], 3, v[0:1]
	v_mov_b32_e32 v2, s23
	v_add_co_u32_e32 v0, vcc, s22, v0
	v_addc_co_u32_e32 v1, vcc, v2, v1, vcc
	v_mov_b32_e32 v21, v6
	global_store_dwordx2 v[0:1], v[21:22], off
.LBB75_105:
	s_or_b64 exec, exec, s[8:9]
	v_cmp_gt_i32_e32 vcc, s2, v38
	s_and_b64 exec, exec, vcc
	s_cbranch_execz .LBB75_9
; %bb.106:
	s_and_b64 vcc, exec, s[0:1]
	v_mov_b32_e32 v1, 1.0
	s_cbranch_vccnz .LBB75_108
; %bb.107:
	v_div_scale_f32 v0, s[8:9], v15, v15, 1.0
	v_div_scale_f32 v1, vcc, 1.0, v15, 1.0
	v_rcp_f32_e32 v2, v0
	v_fma_f32 v3, -v0, v2, 1.0
	v_fmac_f32_e32 v2, v3, v2
	v_mul_f32_e32 v3, v1, v2
	v_fma_f32 v4, -v0, v3, v1
	v_fmac_f32_e32 v3, v4, v2
	v_fma_f32 v0, -v0, v3, v1
	v_div_fmas_f32 v0, v0, v2, v3
	v_div_fixup_f32 v1, v0, v15, 1.0
.LBB75_108:
	v_add_u32_e32 v0, s10, v36
	v_mul_lo_u32 v0, v0, s3
	v_cvt_f32_f16_e32 v2, v46
	v_cvt_f32_f16_sdwa v3, v46 dst_sel:DWORD dst_unused:UNUSED_PAD src0_sel:WORD_1
	v_cvt_f32_f16_e32 v4, v47
	v_add_u32_e32 v0, s12, v0
	v_mul_lo_u32 v0, s6, v0
	v_cvt_f32_f16_sdwa v5, v47 dst_sel:DWORD dst_unused:UNUSED_PAD src0_sel:WORD_1
	v_mov_b32_e32 v10, 0
	v_mul_f32_e32 v2, v1, v2
	v_add_u32_e32 v0, s7, v0
	v_lshl_add_u32 v9, v0, 7, v41
	v_lshlrev_b64 v[9:10], 2, v[9:10]
	v_mul_f32_e32 v3, v1, v3
	v_mul_f32_e32 v4, v1, v4
	v_mul_f32_e32 v5, v1, v5
	;; [unrolled: 52-line block ×3, first 2 shown]
	v_mov_b32_e32 v1, s21
	v_add_co_u32_e32 v6, vcc, s20, v6
	v_addc_co_u32_e32 v7, vcc, v1, v7, vcc
	global_store_dwordx4 v[6:7], v[2:5], off
	s_and_b64 exec, exec, s[4:5]
	s_cbranch_execz .LBB75_9
; %bb.114:
	v_ashrrev_i32_e32 v1, 31, v0
	v_lshlrev_b64 v[0:1], 3, v[0:1]
	v_mov_b32_e32 v2, s23
	v_add_co_u32_e32 v0, vcc, s22, v0
	v_addc_co_u32_e32 v1, vcc, v2, v1, vcc
	v_mov_b32_e32 v23, v8
	global_store_dwordx2 v[0:1], v[23:24], off
	s_endpgm
	.section	.rodata,"a",@progbits
	.p2align	6, 0x0
	.amdhsa_kernel _ZL15flash_attn_tileILi128ELi128ELi16ELi4ELb1EEvPKcS1_S1_S1_S1_PKiPfP15HIP_vector_typeIfLj2EEffffjfiS5_IjLj3EEiiiiiiiiiiiliiliiiiil
		.amdhsa_group_segment_fixed_size 29696
		.amdhsa_private_segment_fixed_size 0
		.amdhsa_kernarg_size 464
		.amdhsa_user_sgpr_count 6
		.amdhsa_user_sgpr_private_segment_buffer 1
		.amdhsa_user_sgpr_dispatch_ptr 0
		.amdhsa_user_sgpr_queue_ptr 0
		.amdhsa_user_sgpr_kernarg_segment_ptr 1
		.amdhsa_user_sgpr_dispatch_id 0
		.amdhsa_user_sgpr_flat_scratch_init 0
		.amdhsa_user_sgpr_private_segment_size 0
		.amdhsa_uses_dynamic_stack 0
		.amdhsa_system_sgpr_private_segment_wavefront_offset 0
		.amdhsa_system_sgpr_workgroup_id_x 1
		.amdhsa_system_sgpr_workgroup_id_y 1
		.amdhsa_system_sgpr_workgroup_id_z 1
		.amdhsa_system_sgpr_workgroup_info 0
		.amdhsa_system_vgpr_workitem_id 1
		.amdhsa_next_free_vgpr 120
		.amdhsa_next_free_sgpr 98
		.amdhsa_reserve_vcc 1
		.amdhsa_reserve_flat_scratch 0
		.amdhsa_float_round_mode_32 0
		.amdhsa_float_round_mode_16_64 0
		.amdhsa_float_denorm_mode_32 3
		.amdhsa_float_denorm_mode_16_64 3
		.amdhsa_dx10_clamp 1
		.amdhsa_ieee_mode 1
		.amdhsa_fp16_overflow 0
		.amdhsa_exception_fp_ieee_invalid_op 0
		.amdhsa_exception_fp_denorm_src 0
		.amdhsa_exception_fp_ieee_div_zero 0
		.amdhsa_exception_fp_ieee_overflow 0
		.amdhsa_exception_fp_ieee_underflow 0
		.amdhsa_exception_fp_ieee_inexact 0
		.amdhsa_exception_int_div_zero 0
	.end_amdhsa_kernel
	.section	.text._ZL15flash_attn_tileILi128ELi128ELi16ELi4ELb1EEvPKcS1_S1_S1_S1_PKiPfP15HIP_vector_typeIfLj2EEffffjfiS5_IjLj3EEiiiiiiiiiiiliiliiiiil,"axG",@progbits,_ZL15flash_attn_tileILi128ELi128ELi16ELi4ELb1EEvPKcS1_S1_S1_S1_PKiPfP15HIP_vector_typeIfLj2EEffffjfiS5_IjLj3EEiiiiiiiiiiiliiliiiiil,comdat
.Lfunc_end75:
	.size	_ZL15flash_attn_tileILi128ELi128ELi16ELi4ELb1EEvPKcS1_S1_S1_S1_PKiPfP15HIP_vector_typeIfLj2EEffffjfiS5_IjLj3EEiiiiiiiiiiiliiliiiiil, .Lfunc_end75-_ZL15flash_attn_tileILi128ELi128ELi16ELi4ELb1EEvPKcS1_S1_S1_S1_PKiPfP15HIP_vector_typeIfLj2EEffffjfiS5_IjLj3EEiiiiiiiiiiiliiliiiiil
                                        ; -- End function
	.set _ZL15flash_attn_tileILi128ELi128ELi16ELi4ELb1EEvPKcS1_S1_S1_S1_PKiPfP15HIP_vector_typeIfLj2EEffffjfiS5_IjLj3EEiiiiiiiiiiiliiliiiiil.num_vgpr, 120
	.set _ZL15flash_attn_tileILi128ELi128ELi16ELi4ELb1EEvPKcS1_S1_S1_S1_PKiPfP15HIP_vector_typeIfLj2EEffffjfiS5_IjLj3EEiiiiiiiiiiiliiliiiiil.num_agpr, 0
	.set _ZL15flash_attn_tileILi128ELi128ELi16ELi4ELb1EEvPKcS1_S1_S1_S1_PKiPfP15HIP_vector_typeIfLj2EEffffjfiS5_IjLj3EEiiiiiiiiiiiliiliiiiil.numbered_sgpr, 45
	.set _ZL15flash_attn_tileILi128ELi128ELi16ELi4ELb1EEvPKcS1_S1_S1_S1_PKiPfP15HIP_vector_typeIfLj2EEffffjfiS5_IjLj3EEiiiiiiiiiiiliiliiiiil.num_named_barrier, 0
	.set _ZL15flash_attn_tileILi128ELi128ELi16ELi4ELb1EEvPKcS1_S1_S1_S1_PKiPfP15HIP_vector_typeIfLj2EEffffjfiS5_IjLj3EEiiiiiiiiiiiliiliiiiil.private_seg_size, 0
	.set _ZL15flash_attn_tileILi128ELi128ELi16ELi4ELb1EEvPKcS1_S1_S1_S1_PKiPfP15HIP_vector_typeIfLj2EEffffjfiS5_IjLj3EEiiiiiiiiiiiliiliiiiil.uses_vcc, 1
	.set _ZL15flash_attn_tileILi128ELi128ELi16ELi4ELb1EEvPKcS1_S1_S1_S1_PKiPfP15HIP_vector_typeIfLj2EEffffjfiS5_IjLj3EEiiiiiiiiiiiliiliiiiil.uses_flat_scratch, 0
	.set _ZL15flash_attn_tileILi128ELi128ELi16ELi4ELb1EEvPKcS1_S1_S1_S1_PKiPfP15HIP_vector_typeIfLj2EEffffjfiS5_IjLj3EEiiiiiiiiiiiliiliiiiil.has_dyn_sized_stack, 0
	.set _ZL15flash_attn_tileILi128ELi128ELi16ELi4ELb1EEvPKcS1_S1_S1_S1_PKiPfP15HIP_vector_typeIfLj2EEffffjfiS5_IjLj3EEiiiiiiiiiiiliiliiiiil.has_recursion, 0
	.set _ZL15flash_attn_tileILi128ELi128ELi16ELi4ELb1EEvPKcS1_S1_S1_S1_PKiPfP15HIP_vector_typeIfLj2EEffffjfiS5_IjLj3EEiiiiiiiiiiiliiliiiiil.has_indirect_call, 0
	.section	.AMDGPU.csdata,"",@progbits
; Kernel info:
; codeLenInByte = 37736
; TotalNumSgprs: 49
; NumVgprs: 120
; ScratchSize: 0
; MemoryBound: 0
; FloatMode: 240
; IeeeMode: 1
; LDSByteSize: 29696 bytes/workgroup (compile time only)
; SGPRBlocks: 12
; VGPRBlocks: 29
; NumSGPRsForWavesPerEU: 102
; NumVGPRsForWavesPerEU: 120
; Occupancy: 2
; WaveLimiterHint : 1
; COMPUTE_PGM_RSRC2:SCRATCH_EN: 0
; COMPUTE_PGM_RSRC2:USER_SGPR: 6
; COMPUTE_PGM_RSRC2:TRAP_HANDLER: 0
; COMPUTE_PGM_RSRC2:TGID_X_EN: 1
; COMPUTE_PGM_RSRC2:TGID_Y_EN: 1
; COMPUTE_PGM_RSRC2:TGID_Z_EN: 1
; COMPUTE_PGM_RSRC2:TIDIG_COMP_CNT: 1
	.section	.text._ZL15flash_attn_tileILi128ELi128ELi8ELi4ELb1EEvPKcS1_S1_S1_S1_PKiPfP15HIP_vector_typeIfLj2EEffffjfiS5_IjLj3EEiiiiiiiiiiiliiliiiiil,"axG",@progbits,_ZL15flash_attn_tileILi128ELi128ELi8ELi4ELb1EEvPKcS1_S1_S1_S1_PKiPfP15HIP_vector_typeIfLj2EEffffjfiS5_IjLj3EEiiiiiiiiiiiliiliiiiil,comdat
	.globl	_ZL15flash_attn_tileILi128ELi128ELi8ELi4ELb1EEvPKcS1_S1_S1_S1_PKiPfP15HIP_vector_typeIfLj2EEffffjfiS5_IjLj3EEiiiiiiiiiiiliiliiiiil ; -- Begin function _ZL15flash_attn_tileILi128ELi128ELi8ELi4ELb1EEvPKcS1_S1_S1_S1_PKiPfP15HIP_vector_typeIfLj2EEffffjfiS5_IjLj3EEiiiiiiiiiiiliiliiiiil
	.p2align	8
	.type	_ZL15flash_attn_tileILi128ELi128ELi8ELi4ELb1EEvPKcS1_S1_S1_S1_PKiPfP15HIP_vector_typeIfLj2EEffffjfiS5_IjLj3EEiiiiiiiiiiiliiliiiiil,@function
_ZL15flash_attn_tileILi128ELi128ELi8ELi4ELb1EEvPKcS1_S1_S1_S1_PKiPfP15HIP_vector_typeIfLj2EEffffjfiS5_IjLj3EEiiiiiiiiiiiliiliiiiil: ; @_ZL15flash_attn_tileILi128ELi128ELi8ELi4ELb1EEvPKcS1_S1_S1_S1_PKiPfP15HIP_vector_typeIfLj2EEffffjfiS5_IjLj3EEiiiiiiiiiiiliiliiiiil
; %bb.0:
	s_load_dwordx4 s[0:3], s[4:5], 0x5c
	s_load_dwordx2 s[30:31], s[4:5], 0x80
	s_load_dwordx2 s[36:37], s[4:5], 0xb8
	s_mov_b64 s[34:35], 0
	s_waitcnt lgkmcnt(0)
	s_ashr_i32 s9, s3, 31
	s_lshr_b32 s9, s9, 30
	s_add_i32 s9, s3, s9
	s_ashr_i32 s9, s9, 2
	v_cvt_f32_u32_e32 v2, s9
	s_sub_i32 s10, 0, s9
	v_rcp_iflag_f32_e32 v2, v2
	v_mul_f32_e32 v2, 0x4f7ffffe, v2
	v_cvt_u32_f32_e32 v2, v2
	v_readfirstlane_b32 s11, v2
	s_mul_i32 s10, s10, s11
	s_mul_hi_u32 s10, s11, s10
	s_add_i32 s11, s11, s10
	s_mul_hi_u32 s10, s8, s11
	s_mul_i32 s11, s10, s9
	s_sub_i32 s11, s8, s11
	s_add_i32 s12, s10, 1
	s_sub_i32 s13, s11, s9
	s_cmp_ge_u32 s11, s9
	s_cselect_b32 s10, s12, s10
	s_cselect_b32 s11, s13, s11
	s_add_i32 s12, s10, 1
	s_cmp_ge_u32 s11, s9
	s_cselect_b32 s33, s12, s10
	s_abs_i32 s9, s31
	v_cvt_f32_u32_e32 v2, s9
	s_lshl_b32 s8, s8, 2
	s_mul_i32 s12, s33, s3
	s_sub_i32 s13, 0, s9
	v_rcp_iflag_f32_e32 v2, v2
	s_sub_i32 s28, s8, s12
	s_abs_i32 s11, s3
	s_xor_b32 s10, s3, s31
	v_mul_f32_e32 v2, 0x4f7ffffe, v2
	v_cvt_u32_f32_e32 v2, v2
	s_ashr_i32 s10, s10, 31
	v_readfirstlane_b32 s8, v2
	s_mul_i32 s13, s13, s8
	s_mul_hi_u32 s12, s8, s13
	s_add_i32 s8, s8, s12
	s_mul_hi_u32 s8, s11, s8
	s_mul_i32 s12, s8, s9
	s_sub_i32 s11, s11, s12
	s_add_i32 s13, s8, 1
	s_sub_i32 s12, s11, s9
	s_cmp_ge_u32 s11, s9
	s_cselect_b32 s8, s13, s8
	s_cselect_b32 s11, s12, s11
	s_add_i32 s12, s8, 1
	s_cmp_ge_u32 s11, s9
	s_cselect_b32 s8, s12, s8
	s_xor_b32 s8, s8, s10
	s_sub_i32 s31, s8, s10
	s_abs_i32 s29, s31
	v_cvt_f32_u32_e32 v2, s29
	s_load_dwordx16 s[8:23], s[4:5], 0x0
	v_rcp_iflag_f32_e32 v2, v2
	s_waitcnt lgkmcnt(0)
	s_cmp_eq_u64 s[14:15], 0
	v_mul_f32_e32 v2, 0x4f7ffffe, v2
	v_cvt_u32_f32_e32 v2, v2
	v_readfirstlane_b32 s38, v2
	s_cbranch_scc1 .LBB76_2
; %bb.1:
	s_abs_i32 s26, s36
	v_cvt_f32_u32_e32 v2, s26
	s_sub_i32 s35, 0, s26
	s_abs_i32 s34, s33
	s_ashr_i32 s27, s33, 31
	v_rcp_iflag_f32_e32 v2, v2
	s_load_dwordx2 s[24:25], s[4:5], 0xc8
	v_mul_f32_e32 v2, 0x4f7ffffe, v2
	v_cvt_u32_f32_e32 v2, v2
	v_readfirstlane_b32 s36, v2
	s_mul_i32 s35, s35, s36
	s_mul_hi_u32 s35, s36, s35
	s_add_i32 s36, s36, s35
	s_mul_hi_u32 s35, s34, s36
	s_mul_i32 s35, s35, s26
	s_sub_i32 s34, s34, s35
	s_sub_i32 s35, s34, s26
	s_cmp_ge_u32 s34, s26
	s_cselect_b32 s34, s35, s34
	s_sub_i32 s35, s34, s26
	s_cmp_ge_u32 s34, s26
	s_cselect_b32 s26, s35, s34
	s_xor_b32 s26, s26, s27
	s_sub_i32 s26, s26, s27
	s_ashr_i32 s27, s26, 31
	s_waitcnt lgkmcnt(0)
	s_mul_hi_u32 s34, s24, s26
	s_mul_i32 s27, s24, s27
	s_mul_i32 s25, s25, s26
	s_add_i32 s27, s34, s27
	s_add_i32 s27, s27, s25
	s_mul_i32 s24, s24, s26
	s_add_u32 s34, s14, s24
	s_addc_u32 s35, s15, s27
.LBB76_2:
	s_load_dwordx4 s[24:27], s[4:5], 0x70
	v_lshl_add_u32 v14, s6, 3, v1
	v_mul_hi_u32 v2, s0, v14
	s_waitcnt lgkmcnt(0)
	s_mul_i32 s0, s33, s26
	v_add_u32_e32 v2, v14, v2
	s_ashr_i32 s15, s0, 31
	v_lshrrev_b32_e32 v2, s1, v2
	s_mul_i32 s14, s28, s25
	s_add_u32 s0, s8, s0
	v_mul_lo_u32 v2, v2, s2
	s_addc_u32 s8, s9, s15
	s_ashr_i32 s1, s14, 31
	s_add_u32 s14, s0, s14
	s_addc_u32 s15, s8, s1
	s_ashr_i32 s1, s24, 31
	s_mov_b32 s0, s24
	v_sub_u32_e32 v2, v14, v2
	s_lshr_b64 s[8:9], s[0:1], 2
	v_mad_u64_u32 v[3:4], s[8:9], s8, v2, 0
	s_lshr_b32 s0, s1, 2
	v_mad_u64_u32 v[4:5], s[0:1], s0, v2, v[4:5]
	v_mov_b32_e32 v5, s15
	s_ashr_i32 s1, s25, 31
	v_lshlrev_b64 v[3:4], 2, v[3:4]
	s_mov_b32 s0, s25
	v_add_co_u32_e32 v3, vcc, s14, v3
	v_addc_co_u32_e32 v4, vcc, v5, v4, vcc
	v_lshlrev_b32_e32 v5, 4, v0
	v_add_co_u32_e32 v11, vcc, v3, v5
	s_lshr_b64 s[8:9], s[0:1], 2
	v_addc_co_u32_e32 v12, vcc, 0, v4, vcc
	s_and_b32 s0, s25, -4
	v_mov_b32_e32 v8, s1
	v_add_co_u32_e32 v7, vcc, s0, v11
	v_addc_co_u32_e32 v8, vcc, v12, v8, vcc
	s_lshl_b64 s[14:15], s[8:9], 3
	v_mov_b32_e32 v13, s15
	v_add_co_u32_e32 v15, vcc, s14, v11
	global_load_dwordx4 v[3:6], v[11:12], off
	v_addc_co_u32_e32 v16, vcc, v12, v13, vcc
	global_load_dwordx4 v[7:10], v[7:8], off
	v_mad_u64_u32 v[11:12], s[8:9], s8, 12, v[11:12]
	global_load_dwordx4 v[18:21], v[15:16], off
	s_cmp_eq_u64 s[18:19], 0
	v_mad_u64_u32 v[12:13], s[0:1], s1, 12, v[12:13]
	s_load_dword s0, s[4:5], 0x40
	global_load_dwordx4 v[22:25], v[11:12], off
	v_mov_b32_e32 v11, 0x2400
	v_lshlrev_b32_e32 v16, 3, v0
	v_lshl_add_u32 v17, v1, 10, v11
	v_add_u32_e32 v11, v17, v16
	s_waitcnt vmcnt(3) lgkmcnt(0)
	v_fma_mixlo_f16 v3, s0, v3, 0
	v_fma_mixlo_f16 v4, s0, v4, 0
	;; [unrolled: 1-line block ×4, first 2 shown]
	v_lshlrev_b32_e32 v4, 16, v4
	v_and_b32_e32 v3, 0xffff, v3
	v_lshlrev_b32_e32 v6, 16, v6
	v_and_b32_e32 v5, 0xffff, v5
	s_waitcnt vmcnt(2)
	v_fma_mixlo_f16 v7, s0, v7, 0
	v_fma_mixlo_f16 v8, s0, v8, 0
	;; [unrolled: 1-line block ×4, first 2 shown]
	v_or_b32_e32 v3, v4, v3
	v_or3_b32 v4, v6, v5, 0
	v_lshlrev_b32_e32 v5, 16, v8
	v_and_b32_e32 v6, 0xffff, v7
	v_lshlrev_b32_e32 v7, 16, v10
	v_and_b32_e32 v8, 0xffff, v9
	v_or_b32_e32 v5, v5, v6
	v_or3_b32 v3, 0, 0, v3
	v_or3_b32 v6, v7, v8, 0
	;; [unrolled: 1-line block ×3, first 2 shown]
	s_waitcnt vmcnt(1)
	v_fma_mixlo_f16 v12, s0, v18, 0
	v_fma_mixlo_f16 v13, s0, v19, 0
	ds_write2_b64 v11, v[3:4], v[5:6] offset1:32
	s_waitcnt vmcnt(0)
	v_fma_mixlo_f16 v3, s0, v22, 0
	v_fma_mixlo_f16 v4, s0, v23, 0
	;; [unrolled: 1-line block ×4, first 2 shown]
	v_lshlrev_b32_e32 v9, 16, v13
	v_and_b32_e32 v10, 0xffff, v12
	v_fma_mixlo_f16 v5, s0, v24, 0
	v_fma_mixlo_f16 v6, s0, v25, 0
	v_lshlrev_b32_e32 v4, 16, v4
	v_and_b32_e32 v3, 0xffff, v3
	v_lshlrev_b32_e32 v12, 16, v18
	v_and_b32_e32 v13, 0xffff, v15
	v_or_b32_e32 v7, v9, v10
	v_lshlrev_b32_e32 v6, 16, v6
	v_and_b32_e32 v5, 0xffff, v5
	v_or_b32_e32 v3, v4, v3
	v_or3_b32 v8, v12, v13, 0
	v_or3_b32 v7, 0, 0, v7
	;; [unrolled: 1-line block ×4, first 2 shown]
	ds_write2_b64 v11, v[7:8], v[3:4] offset0:64 offset1:96
	s_waitcnt lgkmcnt(0)
	s_barrier
	s_cbranch_scc1 .LBB76_4
; %bb.3:
	s_load_dword s0, s[4:5], 0xd0
	s_mov_b32 s1, 0
	s_waitcnt lgkmcnt(0)
	s_mul_i32 s0, s0, s33
	s_add_i32 s0, s0, s6
	s_lshl_b64 s[0:1], s[0:1], 2
	s_add_u32 s0, s18, s0
	s_addc_u32 s1, s19, s1
	s_load_dword s30, s[0:1], 0x0
.LBB76_4:
	s_lshl_b32 s6, s7, 6
	s_waitcnt lgkmcnt(0)
	s_cmp_lt_i32 s6, s30
	v_mbcnt_lo_u32_b32 v3, -1, 0
	s_cbranch_scc1 .LBB76_10
; %bb.5:
	v_mbcnt_hi_u32_b32 v18, -1, v3
	v_and_b32_e32 v4, 0x60, v18
	v_add_u32_e32 v47, 32, v4
	v_xor_b32_e32 v50, 16, v18
	v_xor_b32_e32 v48, 8, v18
	;; [unrolled: 1-line block ×5, first 2 shown]
	v_lshlrev_b32_e32 v15, 2, v0
	s_cbranch_execz .LBB76_11
; %bb.6:
	v_mov_b32_e32 v34, 0
	v_mov_b32_e32 v56, 0
	;; [unrolled: 1-line block ×16, first 2 shown]
.LBB76_7:
	v_cmp_lt_i32_e32 vcc, v50, v47
	v_cndmask_b32_e32 v5, v18, v50, vcc
	v_lshlrev_b32_e32 v5, 2, v5
	ds_bpermute_b32 v6, v5, v53
	ds_bpermute_b32 v12, v5, v54
	ds_bpermute_b32 v13, v5, v55
	ds_bpermute_b32 v5, v5, v56
	v_cmp_lt_i32_e32 vcc, v48, v47
	v_cndmask_b32_e32 v7, v18, v48, vcc
	v_lshlrev_b32_e32 v7, 2, v7
	s_waitcnt lgkmcnt(3)
	v_add_f32_e32 v6, v53, v6
	s_waitcnt lgkmcnt(2)
	v_add_f32_e32 v12, v54, v12
	s_waitcnt lgkmcnt(1)
	v_add_f32_e32 v13, v55, v13
	s_waitcnt lgkmcnt(0)
	v_add_f32_e32 v5, v56, v5
	ds_bpermute_b32 v8, v7, v6
	ds_bpermute_b32 v16, v7, v12
	ds_bpermute_b32 v17, v7, v13
	ds_bpermute_b32 v7, v7, v5
	v_cmp_lt_i32_e32 vcc, v49, v47
	v_cndmask_b32_e32 v9, v18, v49, vcc
	v_lshlrev_b32_e32 v9, 2, v9
	s_waitcnt lgkmcnt(3)
	v_add_f32_e32 v6, v6, v8
	s_waitcnt lgkmcnt(2)
	v_add_f32_e32 v12, v12, v16
	s_waitcnt lgkmcnt(1)
	v_add_f32_e32 v13, v13, v17
	s_waitcnt lgkmcnt(0)
	v_add_f32_e32 v5, v5, v7
	ds_bpermute_b32 v8, v9, v6
	ds_bpermute_b32 v16, v9, v12
	ds_bpermute_b32 v17, v9, v13
	ds_bpermute_b32 v7, v9, v5
	v_cmp_lt_i32_e32 vcc, v51, v47
	v_cndmask_b32_e32 v10, v18, v51, vcc
	v_lshlrev_b32_e32 v10, 2, v10
	s_waitcnt lgkmcnt(3)
	v_add_f32_e32 v6, v6, v8
	s_waitcnt lgkmcnt(2)
	v_add_f32_e32 v9, v12, v16
	s_waitcnt lgkmcnt(1)
	v_add_f32_e32 v13, v13, v17
	s_waitcnt lgkmcnt(0)
	v_add_f32_e32 v5, v5, v7
	ds_bpermute_b32 v8, v10, v6
	ds_bpermute_b32 v12, v10, v9
	ds_bpermute_b32 v16, v10, v13
	ds_bpermute_b32 v7, v10, v5
	v_cmp_lt_i32_e32 vcc, v52, v47
	v_cndmask_b32_e32 v11, v18, v52, vcc
	v_lshlrev_b32_e32 v11, 2, v11
	s_waitcnt lgkmcnt(3)
	v_add_f32_e32 v6, v6, v8
	s_waitcnt lgkmcnt(2)
	v_add_f32_e32 v9, v9, v12
	s_waitcnt lgkmcnt(1)
	v_add_f32_e32 v12, v13, v16
	s_waitcnt lgkmcnt(0)
	v_add_f32_e32 v16, v5, v7
	ds_bpermute_b32 v8, v11, v6
	ds_bpermute_b32 v10, v11, v9
	ds_bpermute_b32 v13, v11, v12
	ds_bpermute_b32 v11, v11, v16
	s_cmp_lg_u64 s[16:17], 0
	s_cselect_b64 s[0:1], -1, 0
	s_cmp_eq_u32 s7, 0
	s_cselect_b64 s[8:9], -1, 0
	s_and_b64 s[0:1], s[8:9], s[0:1]
	s_waitcnt lgkmcnt(3)
	v_add_f32_e32 v5, v6, v8
	s_waitcnt lgkmcnt(2)
	v_add_f32_e32 v6, v9, v10
	;; [unrolled: 2-line block ×4, first 2 shown]
	s_and_b64 vcc, exec, s[0:1]
	s_cbranch_vccz .LBB76_46
; %bb.8:
	s_ashr_i32 s29, s28, 31
	s_lshl_b64 s[0:1], s[28:29], 2
	s_add_u32 s0, s16, s0
	s_addc_u32 s1, s17, s1
	v_mov_b32_e32 v9, 0
	global_load_dwordx4 v[9:12], v9, s[0:1]
	v_max_f32_e32 v13, v1, v1
	v_max_f32_e32 v17, v2, v2
	s_mov_b32 s6, 0x3fb8aa3b
	v_max_f32_e32 v18, v3, v3
	s_mov_b32 s1, 0xc2ce8ed0
	s_mov_b32 s0, 0x42b17218
	v_mov_b32_e32 v20, 0x7f800000
	s_waitcnt vmcnt(0)
	v_max_f32_e32 v16, v9, v9
	v_max_f32_e32 v16, v13, v16
	;; [unrolled: 1-line block ×3, first 2 shown]
	v_sub_f32_e32 v1, v1, v16
	v_max_f32_e32 v17, v17, v19
	v_sub_f32_e32 v9, v9, v16
	v_mul_f32_e32 v13, 0x3fb8aa3b, v1
	v_max_f32_e32 v21, v11, v11
	v_sub_f32_e32 v2, v2, v17
	v_mul_f32_e32 v19, 0x3fb8aa3b, v9
	v_fma_f32 v25, v1, s6, -v13
	v_rndne_f32_e32 v26, v13
	v_max_f32_e32 v18, v18, v21
	v_sub_f32_e32 v10, v10, v17
	v_mul_f32_e32 v21, 0x3fb8aa3b, v2
	v_fma_f32 v27, v9, s6, -v19
	v_rndne_f32_e32 v28, v19
	v_fmac_f32_e32 v25, 0x32a5705f, v1
	v_sub_f32_e32 v13, v13, v26
	v_mul_f32_e32 v22, 0x3fb8aa3b, v10
	v_fma_f32 v29, v2, s6, -v21
	v_rndne_f32_e32 v30, v21
	v_fmac_f32_e32 v27, 0x32a5705f, v9
	v_sub_f32_e32 v19, v19, v28
	v_add_f32_e32 v13, v13, v25
	v_fma_f32 v39, v10, s6, -v22
	v_rndne_f32_e32 v40, v22
	v_cvt_i32_f32_e32 v26, v26
	v_fmac_f32_e32 v29, 0x32a5705f, v2
	v_sub_f32_e32 v21, v21, v30
	v_add_f32_e32 v19, v19, v27
	v_exp_f32_e32 v13, v13
	v_cvt_i32_f32_e32 v28, v28
	v_fmac_f32_e32 v39, 0x32a5705f, v10
	v_sub_f32_e32 v22, v22, v40
	v_add_f32_e32 v21, v21, v29
	v_exp_f32_e32 v19, v19
	v_cvt_i32_f32_e32 v30, v30
	v_add_f32_e32 v22, v22, v39
	v_exp_f32_e32 v21, v21
	v_cvt_i32_f32_e32 v40, v40
	v_exp_f32_e32 v22, v22
	v_ldexp_f32 v13, v13, v26
	v_cmp_ngt_f32_e32 vcc, s1, v1
	v_ldexp_f32 v19, v19, v28
	v_cndmask_b32_e32 v13, 0, v13, vcc
	v_cmp_ngt_f32_e32 vcc, s1, v9
	v_sub_f32_e32 v3, v3, v18
	v_ldexp_f32 v21, v21, v30
	v_cndmask_b32_e32 v19, 0, v19, vcc
	v_cmp_ngt_f32_e32 vcc, s1, v2
	v_mul_f32_e32 v23, 0x3fb8aa3b, v3
	v_ldexp_f32 v22, v22, v40
	v_cndmask_b32_e32 v21, 0, v21, vcc
	v_cmp_ngt_f32_e32 vcc, s1, v10
	v_sub_f32_e32 v11, v11, v18
	v_fma_f32 v41, v3, s6, -v23
	v_rndne_f32_e32 v42, v23
	v_cndmask_b32_e32 v22, 0, v22, vcc
	v_cmp_nlt_f32_e32 vcc, s0, v1
	v_mul_f32_e32 v24, 0x3fb8aa3b, v11
	v_fmac_f32_e32 v41, 0x32a5705f, v3
	v_sub_f32_e32 v23, v23, v42
	v_cndmask_b32_e32 v1, v20, v13, vcc
	v_cmp_nlt_f32_e32 vcc, s0, v9
	v_fma_f32 v43, v11, s6, -v24
	v_rndne_f32_e32 v44, v24
	v_add_f32_e32 v23, v23, v41
	v_cndmask_b32_e32 v9, v20, v19, vcc
	v_cmp_nlt_f32_e32 vcc, s0, v2
	v_cvt_i32_f32_e32 v42, v42
	v_fmac_f32_e32 v43, 0x32a5705f, v11
	v_sub_f32_e32 v24, v24, v44
	v_exp_f32_e32 v23, v23
	v_cndmask_b32_e32 v2, v20, v21, vcc
	v_cvt_f16_f32_e32 v13, v1
	v_add_f32_e32 v24, v24, v43
	v_cvt_f16_f32_e32 v19, v2
	v_cvt_i32_f32_e32 v44, v44
	v_exp_f32_e32 v24, v24
	v_cmp_nlt_f32_e32 vcc, s0, v10
	v_ldexp_f32 v23, v23, v42
	v_cndmask_b32_e32 v10, v20, v22, vcc
	v_fmac_f32_e32 v9, v5, v1
	v_mul_u32_u24_e32 v1, 0x10001, v13
	v_cmp_ngt_f32_e32 vcc, s1, v3
	v_fmac_f32_e32 v10, v6, v2
	v_mul_u32_u24_e32 v2, 0x10001, v19
	v_pk_mul_f16 v34, v34, v1
	v_pk_mul_f16 v38, v38, v1
	v_cndmask_b32_e32 v1, 0, v23, vcc
	v_cmp_nlt_f32_e32 vcc, s0, v3
	v_pk_mul_f16 v32, v32, v2
	v_pk_mul_f16 v37, v37, v2
	v_cndmask_b32_e32 v1, v20, v1, vcc
	v_ldexp_f32 v2, v24, v44
	v_cmp_ngt_f32_e32 vcc, s1, v11
	v_cndmask_b32_e32 v2, 0, v2, vcc
	v_cmp_nlt_f32_e32 vcc, s0, v11
	v_cndmask_b32_e32 v11, v20, v2, vcc
	v_max_f32_e32 v2, v12, v12
	v_max_f32_e32 v3, v4, v4
	;; [unrolled: 1-line block ×3, first 2 shown]
	v_sub_f32_e32 v2, v4, v19
	v_mul_f32_e32 v3, 0x3fb8aa3b, v2
	v_fma_f32 v4, v2, s6, -v3
	v_rndne_f32_e32 v5, v3
	v_fmac_f32_e32 v4, 0x32a5705f, v2
	v_sub_f32_e32 v3, v3, v5
	v_fmac_f32_e32 v11, v7, v1
	v_cvt_f16_f32_e32 v1, v1
	v_add_f32_e32 v3, v3, v4
	v_exp_f32_e32 v3, v3
	v_cvt_i32_f32_e32 v4, v5
	v_mul_u32_u24_e32 v1, 0x10001, v1
	v_pk_mul_f16 v31, v31, v1
	v_pk_mul_f16 v36, v36, v1
	v_ldexp_f32 v1, v3, v4
	v_sub_f32_e32 v3, v12, v19
	v_mul_f32_e32 v4, 0x3fb8aa3b, v3
	v_fma_f32 v5, v3, s6, -v4
	v_rndne_f32_e32 v6, v4
	v_fmac_f32_e32 v5, 0x32a5705f, v3
	v_sub_f32_e32 v4, v4, v6
	v_add_f32_e32 v4, v4, v5
	v_exp_f32_e32 v4, v4
	v_cvt_i32_f32_e32 v5, v6
	v_cmp_ngt_f32_e32 vcc, s1, v2
	v_cndmask_b32_e32 v1, 0, v1, vcc
	v_cmp_nlt_f32_e32 vcc, s0, v2
	v_cndmask_b32_e32 v1, v20, v1, vcc
	v_ldexp_f32 v2, v4, v5
	v_cvt_f16_f32_e32 v4, v1
	v_cmp_ngt_f32_e32 vcc, s1, v3
	v_cndmask_b32_e32 v2, 0, v2, vcc
	v_cmp_nlt_f32_e32 vcc, s0, v3
	v_cndmask_b32_e32 v12, v20, v2, vcc
	v_fmac_f32_e32 v12, v8, v1
	v_mul_u32_u24_e32 v1, 0x10001, v4
	v_pk_mul_f16 v35, v35, v1
	v_pk_mul_f16 v33, v33, v1
	v_mov_b32_e32 v1, v16
	v_mov_b32_e32 v2, v17
	v_mov_b32_e32 v3, v18
	v_mov_b32_e32 v4, v19
	v_mov_b32_e32 v5, v9
	v_mov_b32_e32 v6, v10
	v_mov_b32_e32 v7, v11
	v_mov_b32_e32 v8, v12
	v_cmp_gt_i32_e32 vcc, s2, v14
	s_and_saveexec_b64 s[0:1], vcc
	s_cbranch_execnz .LBB76_47
.LBB76_9:
	s_endpgm
.LBB76_10:
                                        ; implicit-def: $vgpr18
                                        ; implicit-def: $vgpr47
                                        ; implicit-def: $vgpr50
                                        ; implicit-def: $vgpr48
                                        ; implicit-def: $vgpr49
                                        ; implicit-def: $vgpr51
                                        ; implicit-def: $vgpr52
	v_lshlrev_b32_e32 v15, 2, v0
.LBB76_11:
	s_sub_i32 s0, 0, s29
	s_mul_i32 s0, s0, s38
	s_mul_hi_u32 s0, s38, s0
	s_add_i32 s38, s38, s0
	s_load_dwordx4 s[24:27], s[4:5], 0x98
	s_load_dword s14, s[4:5], 0x54
	s_load_dwordx2 s[0:1], s[4:5], 0x8c
	s_abs_i32 s19, s28
	s_mul_hi_u32 s36, s19, s38
	s_waitcnt lgkmcnt(0)
	s_ashr_i32 s15, s26, 2
	s_ashr_i32 s26, s37, 1
	;; [unrolled: 1-line block ×4, first 2 shown]
	s_mul_hi_u32 s37, s24, s33
	s_mul_i32 s39, s24, s0
	s_add_i32 s37, s37, s39
	s_mul_i32 s25, s25, s33
	s_ashr_i32 s38, s28, 31
	s_ashr_i32 s31, s31, 31
	s_add_i32 s37, s37, s25
	s_mul_i32 s24, s24, s33
	s_add_u32 s10, s10, s24
	s_mul_i32 s25, s36, s29
	s_addc_u32 s11, s11, s37
	s_sub_i32 s19, s19, s25
	s_xor_b32 s24, s38, s31
	s_add_i32 s25, s36, 1
	s_sub_i32 s31, s19, s29
	s_cmp_ge_u32 s19, s29
	s_cselect_b32 s25, s25, s36
	s_cselect_b32 s19, s31, s19
	s_add_i32 s31, s25, 1
	s_cmp_ge_u32 s19, s29
	s_load_dwordx2 s[8:9], s[4:5], 0xa8
	s_cselect_b32 s19, s31, s25
	s_xor_b32 s19, s19, s24
	s_sub_i32 s19, s19, s24
	s_mul_i32 s1, s19, s1
	s_ashr_i32 s24, s1, 31
	s_add_u32 s10, s10, s1
	s_waitcnt lgkmcnt(0)
	s_mul_hi_u32 s1, s8, s33
	s_mul_i32 s0, s8, s0
	s_addc_u32 s11, s11, s24
	s_add_i32 s0, s1, s0
	s_mul_i32 s1, s9, s33
	s_add_i32 s0, s0, s1
	s_mul_i32 s1, s8, s33
	s_add_u32 s1, s12, s1
	s_mul_i32 s19, s19, s27
	s_addc_u32 s0, s13, s0
	s_ashr_i32 s8, s19, 31
	s_add_u32 s12, s1, s19
	v_lshrrev_b32_e32 v4, 3, v0
	v_and_b32_e32 v11, 28, v15
	s_addc_u32 s13, s0, s8
	v_lshl_add_u32 v4, v1, 2, v4
	v_lshlrev_b32_e32 v5, 2, v11
	s_movk_i32 s0, 0x90
	v_mad_u32_u24 v19, v4, s0, v5
	v_mad_u64_u32 v[5:6], s[0:1], v2, s26, v[0:1]
	v_mov_b32_e32 v2, 0x4400
	v_lshl_add_u32 v22, v1, 9, v2
	v_lshrrev_b32_e32 v2, 4, v0
	v_lshl_add_u32 v2, v1, 1, v2
	v_mul_lo_u32 v7, s18, v4
	v_mul_lo_u32 v1, s15, v2
	v_and_b32_e32 v4, 60, v15
	v_lshlrev_b32_e32 v6, 2, v4
	v_lshl_add_u32 v9, s18, 5, v7
	v_lshl_add_u32 v12, s15, 4, v1
	v_ashrrev_i32_e32 v8, 31, v7
	v_ashrrev_i32_e32 v10, 31, v9
	v_lshl_or_b32 v23, v2, 8, v6
	v_ashrrev_i32_e32 v2, 31, v1
	v_ashrrev_i32_e32 v13, 31, v12
	s_add_u32 s0, s4, 0xd0
	v_lshlrev_b64 v[6:7], 2, v[7:8]
	v_lshlrev_b32_e32 v25, 2, v11
	v_lshlrev_b64 v[8:9], 2, v[9:10]
	v_lshlrev_b64 v[10:11], 2, v[1:2]
	;; [unrolled: 1-line block ×3, first 2 shown]
	v_mov_b32_e32 v33, 0
	v_add_u32_e32 v20, 0x1200, v19
	v_mul_u32_u24_e32 v21, 0x90, v0
	v_add_u32_e32 v24, 0x1000, v23
	s_addc_u32 s1, s5, 0
	v_mov_b32_e32 v46, 0xfeffffff
	s_mov_b32 s19, 0x3f200000
	s_mov_b32 s24, 0x3fb8aa3b
	s_mov_b32 s25, 0xc2ce8ed0
	s_mov_b32 s26, 0x42b17218
	v_mov_b32_e32 v26, 0xbd5c1c4e
	v_mov_b32_e32 v27, 0x3e088382
	;; [unrolled: 1-line block ×3, first 2 shown]
	s_brev_b32 s27, -2
	s_mov_b32 s29, 0x10001
	v_lshlrev_b32_e32 v29, 2, v4
	v_mov_b32_e32 v30, 0x7f800000
	v_mbcnt_hi_u32_b32 v18, -1, v3
	v_mov_b32_e32 v35, 0
	v_mov_b32_e32 v36, 0
	v_mov_b32_e32 v31, 0
	v_mov_b32_e32 v37, 0
	v_mov_b32_e32 v32, 0
	v_mov_b32_e32 v38, 0
	v_mov_b32_e32 v34, 0
	v_mov_b32_e32 v44, 0xfeffffff
	v_mov_b32_e32 v42, 0xfeffffff
	v_mov_b32_e32 v40, 0xfeffffff
	v_mov_b32_e32 v45, 0
	v_mov_b32_e32 v43, 0
	v_mov_b32_e32 v41, 0
	v_mov_b32_e32 v39, 0
.LBB76_12:                              ; =>This Inner Loop Header: Depth=1
	s_mul_hi_i32 s9, s6, s18
	s_mul_i32 s8, s6, s18
	s_lshl_b64 s[8:9], s[8:9], 2
	s_add_u32 s8, s10, s8
	s_addc_u32 s9, s11, s9
	v_mov_b32_e32 v1, s9
	v_add_co_u32_e32 v2, vcc, s8, v6
	v_addc_co_u32_e32 v3, vcc, v1, v7, vcc
	v_add_co_u32_e32 v1, vcc, v2, v25
	v_addc_co_u32_e32 v2, vcc, 0, v3, vcc
	v_mov_b32_e32 v3, s9
	v_add_co_u32_e32 v4, vcc, s8, v8
	v_addc_co_u32_e32 v47, vcc, v3, v9, vcc
	v_add_co_u32_e32 v3, vcc, v4, v25
	v_addc_co_u32_e32 v4, vcc, 0, v47, vcc
	global_load_dwordx4 v[49:52], v[1:2], off
	global_load_dwordx4 v[59:62], v[3:4], off
	v_mov_b32_e32 v47, 0
	v_mov_b32_e32 v57, 0
	;; [unrolled: 1-line block ×8, first 2 shown]
	s_waitcnt vmcnt(1)
	ds_write_b128 v19, v[49:52]
	s_waitcnt vmcnt(0)
	ds_write_b128 v20, v[59:62]
	s_waitcnt lgkmcnt(0)
	s_barrier
	ds_read_b128 v[49:52], v17
	ds_read_b128 v[59:62], v21
	ds_read_b128 v[63:66], v21 offset:4608
	ds_read_b128 v[67:70], v17 offset:256
	;; [unrolled: 1-line block ×4, first 2 shown]
	s_waitcnt lgkmcnt(4)
	;;#ASMSTART
	v_dot2_f32_f16 v47, v59, v49, v47
	;;#ASMEND
	;;#ASMSTART
	v_dot2_f32_f16 v47, v60, v50, v47
	;;#ASMEND
	;;#ASMSTART
	v_dot2_f32_f16 v47, v61, v51, v47
	;;#ASMEND
	;;#ASMSTART
	v_dot2_f32_f16 v47, v62, v52, v47
	;;#ASMEND
	s_waitcnt lgkmcnt(2)
	;;#ASMSTART
	v_dot2_f32_f16 v57, v59, v67, v57
	;;#ASMEND
	;;#ASMSTART
	v_dot2_f32_f16 v57, v60, v68, v57
	;;#ASMEND
	;;#ASMSTART
	v_dot2_f32_f16 v57, v61, v69, v57
	;;#ASMEND
	;;#ASMSTART
	v_dot2_f32_f16 v57, v62, v70, v57
	;;#ASMEND
	;; [unrolled: 13-line block ×4, first 2 shown]
	;;#ASMSTART
	v_dot2_f32_f16 v48, v63, v49, v48
	;;#ASMEND
	;;#ASMSTART
	v_dot2_f32_f16 v48, v64, v50, v48
	;;#ASMEND
	;; [unrolled: 3-line block ×16, first 2 shown]
	ds_read_b128 v[49:52], v17 offset:16
	ds_read_b128 v[59:62], v21 offset:16
	;; [unrolled: 1-line block ×6, first 2 shown]
	s_waitcnt lgkmcnt(4)
	;;#ASMSTART
	v_dot2_f32_f16 v47, v59, v49, v47
	;;#ASMEND
	;;#ASMSTART
	v_dot2_f32_f16 v47, v60, v50, v47
	;;#ASMEND
	;;#ASMSTART
	v_dot2_f32_f16 v47, v61, v51, v47
	;;#ASMEND
	;;#ASMSTART
	v_dot2_f32_f16 v47, v62, v52, v47
	;;#ASMEND
	s_waitcnt lgkmcnt(2)
	;;#ASMSTART
	v_dot2_f32_f16 v57, v59, v67, v57
	;;#ASMEND
	;;#ASMSTART
	v_dot2_f32_f16 v57, v60, v68, v57
	;;#ASMEND
	;;#ASMSTART
	v_dot2_f32_f16 v57, v61, v69, v57
	;;#ASMEND
	;;#ASMSTART
	v_dot2_f32_f16 v57, v62, v70, v57
	;;#ASMEND
	;; [unrolled: 13-line block ×4, first 2 shown]
	;;#ASMSTART
	v_dot2_f32_f16 v48, v63, v49, v48
	;;#ASMEND
	;;#ASMSTART
	v_dot2_f32_f16 v48, v64, v50, v48
	;;#ASMEND
	;; [unrolled: 3-line block ×16, first 2 shown]
	ds_read_b128 v[49:52], v17 offset:32
	ds_read_b128 v[59:62], v21 offset:32
	;; [unrolled: 1-line block ×6, first 2 shown]
	s_waitcnt lgkmcnt(4)
	;;#ASMSTART
	v_dot2_f32_f16 v47, v59, v49, v47
	;;#ASMEND
	;;#ASMSTART
	v_dot2_f32_f16 v47, v60, v50, v47
	;;#ASMEND
	;;#ASMSTART
	v_dot2_f32_f16 v47, v61, v51, v47
	;;#ASMEND
	;;#ASMSTART
	v_dot2_f32_f16 v47, v62, v52, v47
	;;#ASMEND
	s_waitcnt lgkmcnt(2)
	;;#ASMSTART
	v_dot2_f32_f16 v57, v59, v67, v57
	;;#ASMEND
	;;#ASMSTART
	v_dot2_f32_f16 v57, v60, v68, v57
	;;#ASMEND
	;;#ASMSTART
	v_dot2_f32_f16 v57, v61, v69, v57
	;;#ASMEND
	;;#ASMSTART
	v_dot2_f32_f16 v57, v62, v70, v57
	;;#ASMEND
	;; [unrolled: 13-line block ×4, first 2 shown]
	;;#ASMSTART
	v_dot2_f32_f16 v48, v63, v49, v48
	;;#ASMEND
	;;#ASMSTART
	v_dot2_f32_f16 v48, v64, v50, v48
	;;#ASMEND
	;; [unrolled: 3-line block ×16, first 2 shown]
	ds_read_b128 v[49:52], v17 offset:48
	ds_read_b128 v[59:62], v21 offset:48
	;; [unrolled: 1-line block ×6, first 2 shown]
	s_waitcnt lgkmcnt(4)
	;;#ASMSTART
	v_dot2_f32_f16 v47, v59, v49, v47
	;;#ASMEND
	;;#ASMSTART
	v_dot2_f32_f16 v47, v60, v50, v47
	;;#ASMEND
	;;#ASMSTART
	v_dot2_f32_f16 v47, v61, v51, v47
	;;#ASMEND
	;;#ASMSTART
	v_dot2_f32_f16 v47, v62, v52, v47
	;;#ASMEND
	s_waitcnt lgkmcnt(2)
	;;#ASMSTART
	v_dot2_f32_f16 v57, v59, v67, v57
	;;#ASMEND
	;;#ASMSTART
	v_dot2_f32_f16 v57, v60, v68, v57
	;;#ASMEND
	;;#ASMSTART
	v_dot2_f32_f16 v57, v61, v69, v57
	;;#ASMEND
	;;#ASMSTART
	v_dot2_f32_f16 v57, v62, v70, v57
	;;#ASMEND
	;; [unrolled: 13-line block ×4, first 2 shown]
	;;#ASMSTART
	v_dot2_f32_f16 v48, v63, v49, v48
	;;#ASMEND
	;;#ASMSTART
	v_dot2_f32_f16 v48, v64, v50, v48
	;;#ASMEND
	;; [unrolled: 3-line block ×16, first 2 shown]
	ds_read_b128 v[49:52], v17 offset:64
	ds_read_b128 v[59:62], v21 offset:64
	ds_read_b128 v[63:66], v21 offset:4672
	ds_read_b128 v[67:70], v17 offset:320
	ds_read_b128 v[71:74], v17 offset:576
	ds_read_b128 v[75:78], v17 offset:832
	s_waitcnt lgkmcnt(4)
	;;#ASMSTART
	v_dot2_f32_f16 v47, v59, v49, v47
	;;#ASMEND
	;;#ASMSTART
	v_dot2_f32_f16 v47, v60, v50, v47
	;;#ASMEND
	;;#ASMSTART
	v_dot2_f32_f16 v47, v61, v51, v47
	;;#ASMEND
	;;#ASMSTART
	v_dot2_f32_f16 v47, v62, v52, v47
	;;#ASMEND
	s_waitcnt lgkmcnt(2)
	;;#ASMSTART
	v_dot2_f32_f16 v57, v59, v67, v57
	;;#ASMEND
	;;#ASMSTART
	v_dot2_f32_f16 v57, v60, v68, v57
	;;#ASMEND
	;;#ASMSTART
	v_dot2_f32_f16 v57, v61, v69, v57
	;;#ASMEND
	;;#ASMSTART
	v_dot2_f32_f16 v57, v62, v70, v57
	;;#ASMEND
	;; [unrolled: 13-line block ×4, first 2 shown]
	;;#ASMSTART
	v_dot2_f32_f16 v48, v63, v49, v48
	;;#ASMEND
	;;#ASMSTART
	v_dot2_f32_f16 v48, v64, v50, v48
	;;#ASMEND
	;; [unrolled: 3-line block ×16, first 2 shown]
	ds_read_b128 v[49:52], v17 offset:80
	ds_read_b128 v[59:62], v21 offset:80
	;; [unrolled: 1-line block ×6, first 2 shown]
	s_waitcnt lgkmcnt(4)
	;;#ASMSTART
	v_dot2_f32_f16 v47, v59, v49, v47
	;;#ASMEND
	;;#ASMSTART
	v_dot2_f32_f16 v47, v60, v50, v47
	;;#ASMEND
	;;#ASMSTART
	v_dot2_f32_f16 v47, v61, v51, v47
	;;#ASMEND
	;;#ASMSTART
	v_dot2_f32_f16 v47, v62, v52, v47
	;;#ASMEND
	s_waitcnt lgkmcnt(2)
	;;#ASMSTART
	v_dot2_f32_f16 v57, v59, v67, v57
	;;#ASMEND
	;;#ASMSTART
	v_dot2_f32_f16 v57, v60, v68, v57
	;;#ASMEND
	;;#ASMSTART
	v_dot2_f32_f16 v57, v61, v69, v57
	;;#ASMEND
	;;#ASMSTART
	v_dot2_f32_f16 v57, v62, v70, v57
	;;#ASMEND
	;; [unrolled: 13-line block ×4, first 2 shown]
	;;#ASMSTART
	v_dot2_f32_f16 v48, v63, v49, v48
	;;#ASMEND
	;;#ASMSTART
	v_dot2_f32_f16 v48, v64, v50, v48
	;;#ASMEND
	;; [unrolled: 3-line block ×16, first 2 shown]
	ds_read_b128 v[49:52], v17 offset:96
	ds_read_b128 v[59:62], v21 offset:96
	;; [unrolled: 1-line block ×6, first 2 shown]
	s_waitcnt lgkmcnt(4)
	;;#ASMSTART
	v_dot2_f32_f16 v47, v59, v49, v47
	;;#ASMEND
	;;#ASMSTART
	v_dot2_f32_f16 v47, v60, v50, v47
	;;#ASMEND
	;;#ASMSTART
	v_dot2_f32_f16 v47, v61, v51, v47
	;;#ASMEND
	;;#ASMSTART
	v_dot2_f32_f16 v47, v62, v52, v47
	;;#ASMEND
	s_waitcnt lgkmcnt(2)
	;;#ASMSTART
	v_dot2_f32_f16 v57, v59, v67, v57
	;;#ASMEND
	;;#ASMSTART
	v_dot2_f32_f16 v57, v60, v68, v57
	;;#ASMEND
	;;#ASMSTART
	v_dot2_f32_f16 v57, v61, v69, v57
	;;#ASMEND
	;;#ASMSTART
	v_dot2_f32_f16 v57, v62, v70, v57
	;;#ASMEND
	;; [unrolled: 13-line block ×4, first 2 shown]
	;;#ASMSTART
	v_dot2_f32_f16 v48, v63, v49, v48
	;;#ASMEND
	;;#ASMSTART
	v_dot2_f32_f16 v48, v64, v50, v48
	;;#ASMEND
	;; [unrolled: 3-line block ×16, first 2 shown]
	ds_read_b128 v[49:52], v17 offset:112
	ds_read_b128 v[59:62], v21 offset:112
	;; [unrolled: 1-line block ×6, first 2 shown]
	s_waitcnt lgkmcnt(4)
	;;#ASMSTART
	v_dot2_f32_f16 v47, v59, v49, v47
	;;#ASMEND
	;;#ASMSTART
	v_dot2_f32_f16 v47, v60, v50, v47
	;;#ASMEND
	;;#ASMSTART
	v_dot2_f32_f16 v47, v61, v51, v47
	;;#ASMEND
	;;#ASMSTART
	v_dot2_f32_f16 v47, v62, v52, v47
	;;#ASMEND
	s_waitcnt lgkmcnt(2)
	;;#ASMSTART
	v_dot2_f32_f16 v57, v59, v67, v57
	;;#ASMEND
	;;#ASMSTART
	v_dot2_f32_f16 v57, v60, v68, v57
	;;#ASMEND
	;;#ASMSTART
	v_dot2_f32_f16 v57, v61, v69, v57
	;;#ASMEND
	;;#ASMSTART
	v_dot2_f32_f16 v57, v62, v70, v57
	;;#ASMEND
	;; [unrolled: 13-line block ×4, first 2 shown]
	;;#ASMSTART
	v_dot2_f32_f16 v48, v63, v49, v48
	;;#ASMEND
	;;#ASMSTART
	v_dot2_f32_f16 v48, v64, v50, v48
	;;#ASMEND
	;; [unrolled: 3-line block ×16, first 2 shown]
	s_barrier
	global_load_dwordx4 v[49:52], v[1:2], off offset:128
	s_nop 0
	global_load_dwordx4 v[1:4], v[3:4], off offset:128
	s_waitcnt vmcnt(1)
	ds_write_b128 v19, v[49:52]
	s_waitcnt vmcnt(0)
	ds_write_b128 v20, v[1:4]
	s_waitcnt lgkmcnt(0)
	s_barrier
	ds_read_b128 v[1:4], v17 offset:128
	ds_read_b128 v[49:52], v21
	ds_read_b128 v[59:62], v21 offset:4608
	ds_read_b128 v[63:66], v17 offset:384
	;; [unrolled: 1-line block ×4, first 2 shown]
	s_waitcnt lgkmcnt(4)
	;;#ASMSTART
	v_dot2_f32_f16 v47, v49, v1, v47
	;;#ASMEND
	;;#ASMSTART
	v_dot2_f32_f16 v47, v50, v2, v47
	;;#ASMEND
	;;#ASMSTART
	v_dot2_f32_f16 v47, v51, v3, v47
	;;#ASMEND
	;;#ASMSTART
	v_dot2_f32_f16 v47, v52, v4, v47
	;;#ASMEND
	s_waitcnt lgkmcnt(2)
	;;#ASMSTART
	v_dot2_f32_f16 v57, v49, v63, v57
	;;#ASMEND
	;;#ASMSTART
	v_dot2_f32_f16 v57, v50, v64, v57
	;;#ASMEND
	;;#ASMSTART
	v_dot2_f32_f16 v57, v51, v65, v57
	;;#ASMEND
	;;#ASMSTART
	v_dot2_f32_f16 v57, v52, v66, v57
	;;#ASMEND
	;; [unrolled: 13-line block ×4, first 2 shown]
	;;#ASMSTART
	v_dot2_f32_f16 v48, v59, v1, v48
	;;#ASMEND
	;;#ASMSTART
	v_dot2_f32_f16 v48, v60, v2, v48
	;;#ASMEND
	;; [unrolled: 3-line block ×16, first 2 shown]
	ds_read_b128 v[1:4], v17 offset:144
	ds_read_b128 v[49:52], v21 offset:16
	;; [unrolled: 1-line block ×6, first 2 shown]
	s_waitcnt lgkmcnt(4)
	;;#ASMSTART
	v_dot2_f32_f16 v47, v49, v1, v47
	;;#ASMEND
	;;#ASMSTART
	v_dot2_f32_f16 v47, v50, v2, v47
	;;#ASMEND
	;;#ASMSTART
	v_dot2_f32_f16 v47, v51, v3, v47
	;;#ASMEND
	;;#ASMSTART
	v_dot2_f32_f16 v47, v52, v4, v47
	;;#ASMEND
	s_waitcnt lgkmcnt(2)
	;;#ASMSTART
	v_dot2_f32_f16 v57, v49, v63, v57
	;;#ASMEND
	;;#ASMSTART
	v_dot2_f32_f16 v57, v50, v64, v57
	;;#ASMEND
	;;#ASMSTART
	v_dot2_f32_f16 v57, v51, v65, v57
	;;#ASMEND
	;;#ASMSTART
	v_dot2_f32_f16 v57, v52, v66, v57
	;;#ASMEND
	;; [unrolled: 13-line block ×4, first 2 shown]
	;;#ASMSTART
	v_dot2_f32_f16 v48, v59, v1, v48
	;;#ASMEND
	;;#ASMSTART
	v_dot2_f32_f16 v48, v60, v2, v48
	;;#ASMEND
	;; [unrolled: 3-line block ×16, first 2 shown]
	ds_read_b128 v[1:4], v17 offset:160
	ds_read_b128 v[49:52], v21 offset:32
	;; [unrolled: 1-line block ×6, first 2 shown]
	s_waitcnt lgkmcnt(4)
	;;#ASMSTART
	v_dot2_f32_f16 v47, v49, v1, v47
	;;#ASMEND
	;;#ASMSTART
	v_dot2_f32_f16 v47, v50, v2, v47
	;;#ASMEND
	;;#ASMSTART
	v_dot2_f32_f16 v47, v51, v3, v47
	;;#ASMEND
	;;#ASMSTART
	v_dot2_f32_f16 v47, v52, v4, v47
	;;#ASMEND
	s_waitcnt lgkmcnt(2)
	;;#ASMSTART
	v_dot2_f32_f16 v57, v49, v63, v57
	;;#ASMEND
	;;#ASMSTART
	v_dot2_f32_f16 v57, v50, v64, v57
	;;#ASMEND
	;;#ASMSTART
	v_dot2_f32_f16 v57, v51, v65, v57
	;;#ASMEND
	;;#ASMSTART
	v_dot2_f32_f16 v57, v52, v66, v57
	;;#ASMEND
	;; [unrolled: 13-line block ×4, first 2 shown]
	;;#ASMSTART
	v_dot2_f32_f16 v48, v59, v1, v48
	;;#ASMEND
	;;#ASMSTART
	v_dot2_f32_f16 v48, v60, v2, v48
	;;#ASMEND
	;;#ASMSTART
	v_dot2_f32_f16 v48, v61, v3, v48
	;;#ASMEND
	;;#ASMSTART
	v_dot2_f32_f16 v48, v62, v4, v48
	;;#ASMEND
	;;#ASMSTART
	v_dot2_f32_f16 v58, v59, v63, v58
	;;#ASMEND
	;;#ASMSTART
	v_dot2_f32_f16 v58, v60, v64, v58
	;;#ASMEND
	;;#ASMSTART
	v_dot2_f32_f16 v58, v61, v65, v58
	;;#ASMEND
	;;#ASMSTART
	v_dot2_f32_f16 v58, v62, v66, v58
	;;#ASMEND
	;;#ASMSTART
	v_dot2_f32_f16 v56, v59, v67, v56
	;;#ASMEND
	;;#ASMSTART
	v_dot2_f32_f16 v56, v60, v68, v56
	;;#ASMEND
	;;#ASMSTART
	v_dot2_f32_f16 v56, v61, v69, v56
	;;#ASMEND
	;;#ASMSTART
	v_dot2_f32_f16 v56, v62, v70, v56
	;;#ASMEND
	;;#ASMSTART
	v_dot2_f32_f16 v54, v59, v71, v54
	;;#ASMEND
	;;#ASMSTART
	v_dot2_f32_f16 v54, v60, v72, v54
	;;#ASMEND
	;;#ASMSTART
	v_dot2_f32_f16 v54, v61, v73, v54
	;;#ASMEND
	;;#ASMSTART
	v_dot2_f32_f16 v54, v62, v74, v54
	;;#ASMEND
	ds_read_b128 v[1:4], v17 offset:176
	ds_read_b128 v[49:52], v21 offset:48
	;; [unrolled: 1-line block ×6, first 2 shown]
	s_waitcnt lgkmcnt(4)
	;;#ASMSTART
	v_dot2_f32_f16 v47, v49, v1, v47
	;;#ASMEND
	;;#ASMSTART
	v_dot2_f32_f16 v47, v50, v2, v47
	;;#ASMEND
	;;#ASMSTART
	v_dot2_f32_f16 v47, v51, v3, v47
	;;#ASMEND
	;;#ASMSTART
	v_dot2_f32_f16 v47, v52, v4, v47
	;;#ASMEND
	s_waitcnt lgkmcnt(2)
	;;#ASMSTART
	v_dot2_f32_f16 v57, v49, v63, v57
	;;#ASMEND
	;;#ASMSTART
	v_dot2_f32_f16 v57, v50, v64, v57
	;;#ASMEND
	;;#ASMSTART
	v_dot2_f32_f16 v57, v51, v65, v57
	;;#ASMEND
	;;#ASMSTART
	v_dot2_f32_f16 v57, v52, v66, v57
	;;#ASMEND
	;; [unrolled: 13-line block ×4, first 2 shown]
	;;#ASMSTART
	v_dot2_f32_f16 v48, v59, v1, v48
	;;#ASMEND
	;;#ASMSTART
	v_dot2_f32_f16 v48, v60, v2, v48
	;;#ASMEND
	;; [unrolled: 3-line block ×16, first 2 shown]
	ds_read_b128 v[1:4], v17 offset:192
	ds_read_b128 v[49:52], v21 offset:64
	;; [unrolled: 1-line block ×6, first 2 shown]
	s_waitcnt lgkmcnt(4)
	;;#ASMSTART
	v_dot2_f32_f16 v47, v49, v1, v47
	;;#ASMEND
	;;#ASMSTART
	v_dot2_f32_f16 v47, v50, v2, v47
	;;#ASMEND
	;;#ASMSTART
	v_dot2_f32_f16 v47, v51, v3, v47
	;;#ASMEND
	;;#ASMSTART
	v_dot2_f32_f16 v47, v52, v4, v47
	;;#ASMEND
	s_waitcnt lgkmcnt(2)
	;;#ASMSTART
	v_dot2_f32_f16 v57, v49, v63, v57
	;;#ASMEND
	;;#ASMSTART
	v_dot2_f32_f16 v57, v50, v64, v57
	;;#ASMEND
	;;#ASMSTART
	v_dot2_f32_f16 v57, v51, v65, v57
	;;#ASMEND
	;;#ASMSTART
	v_dot2_f32_f16 v57, v52, v66, v57
	;;#ASMEND
	;; [unrolled: 13-line block ×4, first 2 shown]
	;;#ASMSTART
	v_dot2_f32_f16 v48, v59, v1, v48
	;;#ASMEND
	;;#ASMSTART
	v_dot2_f32_f16 v48, v60, v2, v48
	;;#ASMEND
	;; [unrolled: 3-line block ×16, first 2 shown]
	ds_read_b128 v[1:4], v17 offset:208
	ds_read_b128 v[49:52], v21 offset:80
	;; [unrolled: 1-line block ×6, first 2 shown]
	s_waitcnt lgkmcnt(4)
	;;#ASMSTART
	v_dot2_f32_f16 v47, v49, v1, v47
	;;#ASMEND
	;;#ASMSTART
	v_dot2_f32_f16 v47, v50, v2, v47
	;;#ASMEND
	;;#ASMSTART
	v_dot2_f32_f16 v47, v51, v3, v47
	;;#ASMEND
	;;#ASMSTART
	v_dot2_f32_f16 v47, v52, v4, v47
	;;#ASMEND
	s_waitcnt lgkmcnt(2)
	;;#ASMSTART
	v_dot2_f32_f16 v57, v49, v63, v57
	;;#ASMEND
	;;#ASMSTART
	v_dot2_f32_f16 v57, v50, v64, v57
	;;#ASMEND
	;;#ASMSTART
	v_dot2_f32_f16 v57, v51, v65, v57
	;;#ASMEND
	;;#ASMSTART
	v_dot2_f32_f16 v57, v52, v66, v57
	;;#ASMEND
	;; [unrolled: 13-line block ×4, first 2 shown]
	;;#ASMSTART
	v_dot2_f32_f16 v48, v59, v1, v48
	;;#ASMEND
	;;#ASMSTART
	v_dot2_f32_f16 v48, v60, v2, v48
	;;#ASMEND
	;;#ASMSTART
	v_dot2_f32_f16 v48, v61, v3, v48
	;;#ASMEND
	;;#ASMSTART
	v_dot2_f32_f16 v48, v62, v4, v48
	;;#ASMEND
	;;#ASMSTART
	v_dot2_f32_f16 v58, v59, v63, v58
	;;#ASMEND
	;;#ASMSTART
	v_dot2_f32_f16 v58, v60, v64, v58
	;;#ASMEND
	;;#ASMSTART
	v_dot2_f32_f16 v58, v61, v65, v58
	;;#ASMEND
	;;#ASMSTART
	v_dot2_f32_f16 v58, v62, v66, v58
	;;#ASMEND
	;;#ASMSTART
	v_dot2_f32_f16 v56, v59, v67, v56
	;;#ASMEND
	;;#ASMSTART
	v_dot2_f32_f16 v56, v60, v68, v56
	;;#ASMEND
	;;#ASMSTART
	v_dot2_f32_f16 v56, v61, v69, v56
	;;#ASMEND
	;;#ASMSTART
	v_dot2_f32_f16 v56, v62, v70, v56
	;;#ASMEND
	;;#ASMSTART
	v_dot2_f32_f16 v54, v59, v71, v54
	;;#ASMEND
	;;#ASMSTART
	v_dot2_f32_f16 v54, v60, v72, v54
	;;#ASMEND
	;;#ASMSTART
	v_dot2_f32_f16 v54, v61, v73, v54
	;;#ASMEND
	;;#ASMSTART
	v_dot2_f32_f16 v54, v62, v74, v54
	;;#ASMEND
	ds_read_b128 v[1:4], v17 offset:224
	ds_read_b128 v[49:52], v21 offset:96
	;; [unrolled: 1-line block ×6, first 2 shown]
	s_waitcnt lgkmcnt(4)
	;;#ASMSTART
	v_dot2_f32_f16 v47, v49, v1, v47
	;;#ASMEND
	;;#ASMSTART
	v_dot2_f32_f16 v47, v50, v2, v47
	;;#ASMEND
	;;#ASMSTART
	v_dot2_f32_f16 v47, v51, v3, v47
	;;#ASMEND
	;;#ASMSTART
	v_dot2_f32_f16 v47, v52, v4, v47
	;;#ASMEND
	s_waitcnt lgkmcnt(2)
	;;#ASMSTART
	v_dot2_f32_f16 v57, v49, v63, v57
	;;#ASMEND
	;;#ASMSTART
	v_dot2_f32_f16 v57, v50, v64, v57
	;;#ASMEND
	;;#ASMSTART
	v_dot2_f32_f16 v57, v51, v65, v57
	;;#ASMEND
	;;#ASMSTART
	v_dot2_f32_f16 v57, v52, v66, v57
	;;#ASMEND
	;; [unrolled: 13-line block ×4, first 2 shown]
	;;#ASMSTART
	v_dot2_f32_f16 v48, v59, v1, v48
	;;#ASMEND
	;;#ASMSTART
	v_dot2_f32_f16 v48, v60, v2, v48
	;;#ASMEND
	;; [unrolled: 3-line block ×16, first 2 shown]
	ds_read_b128 v[1:4], v17 offset:240
	ds_read_b128 v[49:52], v21 offset:112
	;; [unrolled: 1-line block ×6, first 2 shown]
	s_waitcnt lgkmcnt(4)
	;;#ASMSTART
	v_dot2_f32_f16 v47, v49, v1, v47
	;;#ASMEND
	;;#ASMSTART
	v_dot2_f32_f16 v47, v50, v2, v47
	;;#ASMEND
	;;#ASMSTART
	v_dot2_f32_f16 v47, v51, v3, v47
	;;#ASMEND
	;;#ASMSTART
	v_dot2_f32_f16 v47, v52, v4, v47
	;;#ASMEND
	s_waitcnt lgkmcnt(2)
	;;#ASMSTART
	v_dot2_f32_f16 v57, v49, v63, v57
	;;#ASMEND
	;;#ASMSTART
	v_dot2_f32_f16 v57, v50, v64, v57
	;;#ASMEND
	;;#ASMSTART
	v_dot2_f32_f16 v57, v51, v65, v57
	;;#ASMEND
	;;#ASMSTART
	v_dot2_f32_f16 v57, v52, v66, v57
	;;#ASMEND
	s_waitcnt lgkmcnt(1)
	;;#ASMSTART
	v_dot2_f32_f16 v55, v49, v67, v55
	;;#ASMEND
	;;#ASMSTART
	v_dot2_f32_f16 v55, v50, v68, v55
	;;#ASMEND
	;;#ASMSTART
	v_dot2_f32_f16 v55, v51, v69, v55
	;;#ASMEND
	;;#ASMSTART
	v_dot2_f32_f16 v55, v52, v70, v55
	;;#ASMEND
	s_waitcnt lgkmcnt(0)
	;;#ASMSTART
	v_dot2_f32_f16 v53, v49, v71, v53
	;;#ASMEND
	;;#ASMSTART
	v_dot2_f32_f16 v53, v50, v72, v53
	;;#ASMEND
	;;#ASMSTART
	v_dot2_f32_f16 v53, v51, v73, v53
	;;#ASMEND
	;;#ASMSTART
	v_dot2_f32_f16 v53, v52, v74, v53
	;;#ASMEND
	;;#ASMSTART
	v_dot2_f32_f16 v48, v59, v1, v48
	;;#ASMEND
	;;#ASMSTART
	v_dot2_f32_f16 v48, v60, v2, v48
	;;#ASMEND
	;; [unrolled: 3-line block ×15, first 2 shown]
	v_cmp_nlt_f32_e64 s[8:9], |v47|, s19
	;;#ASMSTART
	v_dot2_f32_f16 v54, v62, v74, v54
	;;#ASMEND
                                        ; implicit-def: $vgpr4
	s_and_saveexec_b64 s[36:37], s[8:9]
	s_xor_b64 s[8:9], exec, s[36:37]
	s_cbranch_execz .LBB76_14
; %bb.13:                               ;   in Loop: Header=BB76_12 Depth=1
	v_add_f32_e64 v1, |v47|, |v47|
	v_mul_f32_e32 v2, 0x3fb8aa3b, v1
	v_rndne_f32_e32 v3, v2
	v_sub_f32_e32 v4, v2, v3
	v_fma_f32 v2, v1, s24, -v2
	v_fmac_f32_e32 v2, 0x32a5705f, v1
	v_add_f32_e32 v2, v4, v2
	v_cvt_i32_f32_e32 v3, v3
	v_exp_f32_e32 v2, v2
	v_cmp_ngt_f32_e32 vcc, s25, v1
	v_ldexp_f32 v2, v2, v3
	v_cndmask_b32_e32 v2, 0, v2, vcc
	v_cmp_nlt_f32_e32 vcc, s26, v1
	v_cndmask_b32_e32 v1, v30, v2, vcc
	v_add_f32_e32 v1, 1.0, v1
	v_rcp_f32_e32 v1, v1
	v_fma_f32 v4, v1, -2.0, 1.0
.LBB76_14:                              ;   in Loop: Header=BB76_12 Depth=1
	s_andn2_saveexec_b64 s[8:9], s[8:9]
; %bb.15:                               ;   in Loop: Header=BB76_12 Depth=1
	v_mul_f32_e32 v1, v47, v47
	v_mov_b32_e32 v2, 0x3ca908c9
	v_fmac_f32_e32 v2, 0xbbbac73d, v1
	v_fma_f32 v2, v1, v2, v26
	v_fma_f32 v2, v1, v2, v27
	;; [unrolled: 1-line block ×3, first 2 shown]
	v_mul_f32_e64 v2, |v47|, v2
	v_fma_f32 v4, v1, v2, |v47|
; %bb.16:                               ;   in Loop: Header=BB76_12 Depth=1
	s_or_b64 exec, exec, s[8:9]
	v_add_u32_e32 v1, s6, v5
	v_ashrrev_i32_e32 v2, 31, v1
	v_lshlrev_b64 v[1:2], 1, v[1:2]
	v_mov_b32_e32 v3, s35
	v_add_co_u32_e32 v1, vcc, s34, v1
	v_addc_co_u32_e32 v2, vcc, v3, v2, vcc
	global_load_ushort v3, v[1:2], off
	v_cmp_nlt_f32_e64 s[8:9], |v48|, s19
                                        ; implicit-def: $vgpr49
	s_and_saveexec_b64 s[36:37], s[8:9]
	s_xor_b64 s[8:9], exec, s[36:37]
	s_cbranch_execz .LBB76_18
; %bb.17:                               ;   in Loop: Header=BB76_12 Depth=1
	v_add_f32_e64 v49, |v48|, |v48|
	v_mul_f32_e32 v50, 0x3fb8aa3b, v49
	v_rndne_f32_e32 v51, v50
	v_sub_f32_e32 v52, v50, v51
	v_fma_f32 v50, v49, s24, -v50
	v_fmac_f32_e32 v50, 0x32a5705f, v49
	v_add_f32_e32 v50, v52, v50
	v_cvt_i32_f32_e32 v51, v51
	v_exp_f32_e32 v50, v50
	v_cmp_ngt_f32_e32 vcc, s25, v49
	v_ldexp_f32 v50, v50, v51
	v_cndmask_b32_e32 v50, 0, v50, vcc
	v_cmp_nlt_f32_e32 vcc, s26, v49
	v_cndmask_b32_e32 v49, v30, v50, vcc
	v_add_f32_e32 v49, 1.0, v49
	v_rcp_f32_e32 v49, v49
	v_fma_f32 v49, v49, -2.0, 1.0
.LBB76_18:                              ;   in Loop: Header=BB76_12 Depth=1
	s_andn2_saveexec_b64 s[8:9], s[8:9]
; %bb.19:                               ;   in Loop: Header=BB76_12 Depth=1
	v_mul_f32_e32 v49, v48, v48
	v_mov_b32_e32 v50, 0x3ca908c9
	v_fmac_f32_e32 v50, 0xbbbac73d, v49
	v_fma_f32 v50, v49, v50, v26
	v_fma_f32 v50, v49, v50, v27
	;; [unrolled: 1-line block ×3, first 2 shown]
	v_mul_f32_e64 v50, |v48|, v50
	v_fma_f32 v49, v49, v50, |v48|
; %bb.20:                               ;   in Loop: Header=BB76_12 Depth=1
	s_or_b64 exec, exec, s[8:9]
	global_load_ushort v2, v[1:2], off offset:64
	v_bfi_b32 v1, s27, v4, v47
	v_and_b32_e32 v4, 0x60, v18
	v_add_u32_e32 v47, 32, v4
	v_xor_b32_e32 v50, 16, v18
	v_bfi_b32 v48, s27, v49, v48
	s_waitcnt vmcnt(1)
	v_fma_mix_f32 v62, s14, v1, v3 op_sel_hi:[0,0,1]
	v_cmp_lt_i32_e32 vcc, v50, v47
	v_add_f32_e32 v1, 0x40051340, v62
	v_cndmask_b32_e32 v4, v18, v50, vcc
	v_lshlrev_b32_e32 v4, 2, v4
	v_cmp_nlt_f32_e64 s[8:9], |v57|, s19
                                        ; implicit-def: $vgpr68
	s_waitcnt vmcnt(0)
	v_fma_mix_f32 v61, s14, v48, v2 op_sel_hi:[0,0,1]
	v_add_f32_e32 v48, 0x40051340, v61
	v_max3_f32 v1, v46, v1, v48
	ds_bpermute_b32 v49, v4, v1
	v_xor_b32_e32 v48, 8, v18
	v_cmp_lt_i32_e32 vcc, v48, v47
	v_cndmask_b32_e32 v51, v18, v48, vcc
	v_lshlrev_b32_e32 v63, 2, v51
	s_waitcnt lgkmcnt(0)
	v_max_f32_e32 v49, v49, v49
	v_max_f32_e32 v1, v1, v49
	ds_bpermute_b32 v51, v63, v1
	v_xor_b32_e32 v49, 4, v18
	v_cmp_lt_i32_e32 vcc, v49, v47
	v_cndmask_b32_e32 v52, v18, v49, vcc
	v_lshlrev_b32_e32 v64, 2, v52
	s_waitcnt lgkmcnt(0)
	v_max_f32_e32 v51, v51, v51
	v_max_f32_e32 v1, v1, v51
	;; [unrolled: 8-line block ×4, first 2 shown]
	ds_bpermute_b32 v67, v66, v1
	s_and_saveexec_b64 s[36:37], s[8:9]
	s_xor_b64 s[8:9], exec, s[36:37]
	s_cbranch_execz .LBB76_22
; %bb.21:                               ;   in Loop: Header=BB76_12 Depth=1
	v_add_f32_e64 v59, |v57|, |v57|
	v_mul_f32_e32 v60, 0x3fb8aa3b, v59
	v_rndne_f32_e32 v68, v60
	v_sub_f32_e32 v69, v60, v68
	v_fma_f32 v60, v59, s24, -v60
	v_fmac_f32_e32 v60, 0x32a5705f, v59
	v_add_f32_e32 v60, v69, v60
	v_cvt_i32_f32_e32 v68, v68
	v_exp_f32_e32 v60, v60
	v_cmp_ngt_f32_e32 vcc, s25, v59
	v_ldexp_f32 v60, v60, v68
	v_cndmask_b32_e32 v60, 0, v60, vcc
	v_cmp_nlt_f32_e32 vcc, s26, v59
	v_cndmask_b32_e32 v59, v30, v60, vcc
	v_add_f32_e32 v59, 1.0, v59
	v_rcp_f32_e32 v59, v59
	v_fma_f32 v68, v59, -2.0, 1.0
.LBB76_22:                              ;   in Loop: Header=BB76_12 Depth=1
	s_andn2_saveexec_b64 s[8:9], s[8:9]
; %bb.23:                               ;   in Loop: Header=BB76_12 Depth=1
	v_mul_f32_e32 v59, v57, v57
	v_mov_b32_e32 v60, 0x3ca908c9
	v_fmac_f32_e32 v60, 0xbbbac73d, v59
	v_fma_f32 v60, v59, v60, v26
	v_fma_f32 v60, v59, v60, v27
	;; [unrolled: 1-line block ×3, first 2 shown]
	v_mul_f32_e64 v60, |v57|, v60
	v_fma_f32 v68, v59, v60, |v57|
; %bb.24:                               ;   in Loop: Header=BB76_12 Depth=1
	s_or_b64 exec, exec, s[8:9]
	v_cmp_nlt_f32_e64 s[8:9], |v58|, s19
                                        ; implicit-def: $vgpr69
	s_and_saveexec_b64 s[36:37], s[8:9]
	s_xor_b64 s[8:9], exec, s[36:37]
	s_cbranch_execz .LBB76_26
; %bb.25:                               ;   in Loop: Header=BB76_12 Depth=1
	v_add_f32_e64 v59, |v58|, |v58|
	v_mul_f32_e32 v60, 0x3fb8aa3b, v59
	v_rndne_f32_e32 v69, v60
	v_sub_f32_e32 v70, v60, v69
	v_fma_f32 v60, v59, s24, -v60
	v_fmac_f32_e32 v60, 0x32a5705f, v59
	v_add_f32_e32 v60, v70, v60
	v_cvt_i32_f32_e32 v69, v69
	v_exp_f32_e32 v60, v60
	v_cmp_ngt_f32_e32 vcc, s25, v59
	v_ldexp_f32 v60, v60, v69
	v_cndmask_b32_e32 v60, 0, v60, vcc
	v_cmp_nlt_f32_e32 vcc, s26, v59
	v_cndmask_b32_e32 v59, v30, v60, vcc
	v_add_f32_e32 v59, 1.0, v59
	v_rcp_f32_e32 v59, v59
	v_fma_f32 v69, v59, -2.0, 1.0
.LBB76_26:                              ;   in Loop: Header=BB76_12 Depth=1
	s_andn2_saveexec_b64 s[8:9], s[8:9]
; %bb.27:                               ;   in Loop: Header=BB76_12 Depth=1
	v_mul_f32_e32 v59, v58, v58
	v_mov_b32_e32 v60, 0x3ca908c9
	v_fmac_f32_e32 v60, 0xbbbac73d, v59
	v_fma_f32 v60, v59, v60, v26
	v_fma_f32 v60, v59, v60, v27
	;; [unrolled: 1-line block ×3, first 2 shown]
	v_mul_f32_e64 v60, |v58|, v60
	v_fma_f32 v69, v59, v60, |v58|
; %bb.28:                               ;   in Loop: Header=BB76_12 Depth=1
	s_or_b64 exec, exec, s[8:9]
	v_cvt_f32_f16_e32 v60, v3
	v_cvt_f32_f16_e32 v59, v2
	v_bfi_b32 v2, s27, v68, v57
	v_bfi_b32 v3, s27, v69, v58
	v_fma_f32 v58, s14, v2, v60
	v_fma_f32 v57, s14, v3, v59
	v_add_f32_e32 v2, 0x40051340, v58
	v_add_f32_e32 v3, 0x40051340, v57
	v_max3_f32 v2, v44, v2, v3
	ds_bpermute_b32 v3, v4, v2
	v_cmp_nlt_f32_e64 s[8:9], |v55|, s19
	s_waitcnt lgkmcnt(0)
	v_max_f32_e32 v3, v3, v3
	v_max_f32_e32 v2, v2, v3
	ds_bpermute_b32 v3, v63, v2
	s_waitcnt lgkmcnt(0)
	v_max_f32_e32 v3, v3, v3
	v_max_f32_e32 v2, v2, v3
	ds_bpermute_b32 v3, v64, v2
	s_waitcnt lgkmcnt(0)
	v_max_f32_e32 v3, v3, v3
	v_max_f32_e32 v2, v2, v3
	ds_bpermute_b32 v3, v65, v2
	s_waitcnt lgkmcnt(0)
	v_max_f32_e32 v3, v3, v3
	v_max_f32_e32 v2, v2, v3
	ds_bpermute_b32 v69, v66, v2
                                        ; implicit-def: $vgpr3
	s_and_saveexec_b64 s[36:37], s[8:9]
	s_xor_b64 s[8:9], exec, s[36:37]
	s_cbranch_execz .LBB76_30
; %bb.29:                               ;   in Loop: Header=BB76_12 Depth=1
	v_add_f32_e64 v3, |v55|, |v55|
	v_mul_f32_e32 v68, 0x3fb8aa3b, v3
	v_rndne_f32_e32 v70, v68
	v_sub_f32_e32 v71, v68, v70
	v_fma_f32 v68, v3, s24, -v68
	v_fmac_f32_e32 v68, 0x32a5705f, v3
	v_add_f32_e32 v68, v71, v68
	v_cvt_i32_f32_e32 v70, v70
	v_exp_f32_e32 v68, v68
	v_cmp_ngt_f32_e32 vcc, s25, v3
	v_ldexp_f32 v68, v68, v70
	v_cndmask_b32_e32 v68, 0, v68, vcc
	v_cmp_nlt_f32_e32 vcc, s26, v3
	v_cndmask_b32_e32 v3, v30, v68, vcc
	v_add_f32_e32 v3, 1.0, v3
	v_rcp_f32_e32 v3, v3
	v_fma_f32 v3, v3, -2.0, 1.0
.LBB76_30:                              ;   in Loop: Header=BB76_12 Depth=1
	s_andn2_saveexec_b64 s[8:9], s[8:9]
; %bb.31:                               ;   in Loop: Header=BB76_12 Depth=1
	v_mul_f32_e32 v3, v55, v55
	v_mov_b32_e32 v68, 0x3ca908c9
	v_fmac_f32_e32 v68, 0xbbbac73d, v3
	v_fma_f32 v68, v3, v68, v26
	v_fma_f32 v68, v3, v68, v27
	;; [unrolled: 1-line block ×3, first 2 shown]
	v_mul_f32_e64 v68, |v55|, v68
	v_fma_f32 v3, v3, v68, |v55|
; %bb.32:                               ;   in Loop: Header=BB76_12 Depth=1
	s_or_b64 exec, exec, s[8:9]
	v_cmp_nlt_f32_e64 s[8:9], |v56|, s19
                                        ; implicit-def: $vgpr70
	s_and_saveexec_b64 s[36:37], s[8:9]
	s_xor_b64 s[8:9], exec, s[36:37]
	s_cbranch_execz .LBB76_34
; %bb.33:                               ;   in Loop: Header=BB76_12 Depth=1
	v_add_f32_e64 v68, |v56|, |v56|
	v_mul_f32_e32 v70, 0x3fb8aa3b, v68
	v_rndne_f32_e32 v71, v70
	v_sub_f32_e32 v72, v70, v71
	v_fma_f32 v70, v68, s24, -v70
	v_fmac_f32_e32 v70, 0x32a5705f, v68
	v_add_f32_e32 v70, v72, v70
	v_cvt_i32_f32_e32 v71, v71
	v_exp_f32_e32 v70, v70
	v_cmp_ngt_f32_e32 vcc, s25, v68
	v_ldexp_f32 v70, v70, v71
	v_cndmask_b32_e32 v70, 0, v70, vcc
	v_cmp_nlt_f32_e32 vcc, s26, v68
	v_cndmask_b32_e32 v68, v30, v70, vcc
	v_add_f32_e32 v68, 1.0, v68
	v_rcp_f32_e32 v68, v68
	v_fma_f32 v70, v68, -2.0, 1.0
.LBB76_34:                              ;   in Loop: Header=BB76_12 Depth=1
	s_andn2_saveexec_b64 s[8:9], s[8:9]
; %bb.35:                               ;   in Loop: Header=BB76_12 Depth=1
	v_mul_f32_e32 v68, v56, v56
	v_mov_b32_e32 v70, 0x3ca908c9
	v_fmac_f32_e32 v70, 0xbbbac73d, v68
	v_fma_f32 v70, v68, v70, v26
	v_fma_f32 v70, v68, v70, v27
	;; [unrolled: 1-line block ×3, first 2 shown]
	v_mul_f32_e64 v70, |v56|, v70
	v_fma_f32 v70, v68, v70, |v56|
; %bb.36:                               ;   in Loop: Header=BB76_12 Depth=1
	s_or_b64 exec, exec, s[8:9]
	v_bfi_b32 v3, s27, v3, v55
	v_bfi_b32 v55, s27, v70, v56
	v_fma_f32 v68, s14, v3, v60
	v_fma_f32 v55, s14, v55, v59
	v_add_f32_e32 v3, 0x40051340, v68
	v_add_f32_e32 v56, 0x40051340, v55
	v_max3_f32 v3, v42, v3, v56
	ds_bpermute_b32 v56, v4, v3
	v_cmp_nlt_f32_e64 s[8:9], |v53|, s19
                                        ; implicit-def: $vgpr70
	s_waitcnt lgkmcnt(0)
	v_max_f32_e32 v56, v56, v56
	v_max_f32_e32 v3, v3, v56
	ds_bpermute_b32 v56, v63, v3
	s_waitcnt lgkmcnt(0)
	v_max_f32_e32 v56, v56, v56
	v_max_f32_e32 v3, v3, v56
	ds_bpermute_b32 v56, v64, v3
	;; [unrolled: 4-line block ×4, first 2 shown]
	s_and_saveexec_b64 s[36:37], s[8:9]
	s_xor_b64 s[8:9], exec, s[36:37]
	s_cbranch_execz .LBB76_38
; %bb.37:                               ;   in Loop: Header=BB76_12 Depth=1
	v_add_f32_e64 v70, |v53|, |v53|
	v_mul_f32_e32 v71, 0x3fb8aa3b, v70
	v_rndne_f32_e32 v72, v71
	v_sub_f32_e32 v73, v71, v72
	v_fma_f32 v71, v70, s24, -v71
	v_fmac_f32_e32 v71, 0x32a5705f, v70
	v_add_f32_e32 v71, v73, v71
	v_cvt_i32_f32_e32 v72, v72
	v_exp_f32_e32 v71, v71
	v_cmp_ngt_f32_e32 vcc, s25, v70
	v_ldexp_f32 v71, v71, v72
	v_cndmask_b32_e32 v71, 0, v71, vcc
	v_cmp_nlt_f32_e32 vcc, s26, v70
	v_cndmask_b32_e32 v70, v30, v71, vcc
	v_add_f32_e32 v70, 1.0, v70
	v_rcp_f32_e32 v70, v70
	v_fma_f32 v70, v70, -2.0, 1.0
.LBB76_38:                              ;   in Loop: Header=BB76_12 Depth=1
	s_andn2_saveexec_b64 s[8:9], s[8:9]
; %bb.39:                               ;   in Loop: Header=BB76_12 Depth=1
	v_mul_f32_e32 v70, v53, v53
	v_mov_b32_e32 v71, 0x3ca908c9
	v_fmac_f32_e32 v71, 0xbbbac73d, v70
	v_fma_f32 v71, v70, v71, v26
	v_fma_f32 v71, v70, v71, v27
	;; [unrolled: 1-line block ×3, first 2 shown]
	v_mul_f32_e64 v71, |v53|, v71
	v_fma_f32 v70, v70, v71, |v53|
; %bb.40:                               ;   in Loop: Header=BB76_12 Depth=1
	s_or_b64 exec, exec, s[8:9]
	v_cmp_nlt_f32_e64 s[8:9], |v54|, s19
                                        ; implicit-def: $vgpr71
	s_and_saveexec_b64 s[36:37], s[8:9]
	s_xor_b64 s[8:9], exec, s[36:37]
	s_cbranch_execz .LBB76_42
; %bb.41:                               ;   in Loop: Header=BB76_12 Depth=1
	v_add_f32_e64 v71, |v54|, |v54|
	v_mul_f32_e32 v72, 0x3fb8aa3b, v71
	v_rndne_f32_e32 v73, v72
	v_sub_f32_e32 v74, v72, v73
	v_fma_f32 v72, v71, s24, -v72
	v_fmac_f32_e32 v72, 0x32a5705f, v71
	v_add_f32_e32 v72, v74, v72
	v_cvt_i32_f32_e32 v73, v73
	v_exp_f32_e32 v72, v72
	v_cmp_ngt_f32_e32 vcc, s25, v71
	v_ldexp_f32 v72, v72, v73
	v_cndmask_b32_e32 v72, 0, v72, vcc
	v_cmp_nlt_f32_e32 vcc, s26, v71
	v_cndmask_b32_e32 v71, v30, v72, vcc
	v_add_f32_e32 v71, 1.0, v71
	v_rcp_f32_e32 v71, v71
	v_fma_f32 v71, v71, -2.0, 1.0
.LBB76_42:                              ;   in Loop: Header=BB76_12 Depth=1
	s_andn2_saveexec_b64 s[8:9], s[8:9]
; %bb.43:                               ;   in Loop: Header=BB76_12 Depth=1
	v_mul_f32_e32 v71, v54, v54
	v_mov_b32_e32 v72, 0x3ca908c9
	v_fmac_f32_e32 v72, 0xbbbac73d, v71
	v_fma_f32 v72, v71, v72, v26
	v_fma_f32 v72, v71, v72, v27
	;; [unrolled: 1-line block ×3, first 2 shown]
	v_mul_f32_e64 v72, |v54|, v72
	v_fma_f32 v71, v71, v72, |v54|
; %bb.44:                               ;   in Loop: Header=BB76_12 Depth=1
	s_or_b64 exec, exec, s[8:9]
	v_bfi_b32 v53, s27, v70, v53
	v_bfi_b32 v54, s27, v71, v54
	v_fmac_f32_e32 v60, s14, v53
	v_fmac_f32_e32 v59, s14, v54
	v_add_f32_e32 v53, 0x40051340, v60
	v_add_f32_e32 v54, 0x40051340, v59
	v_max3_f32 v53, v40, v53, v54
	ds_bpermute_b32 v4, v4, v53
	s_waitcnt lgkmcnt(1)
	v_max_f32_e32 v56, v56, v56
	v_max_f32_e32 v3, v3, v3
	;; [unrolled: 1-line block ×4, first 2 shown]
	s_waitcnt lgkmcnt(0)
	v_max_f32_e32 v4, v4, v4
	v_max_f32_e32 v4, v53, v4
	ds_bpermute_b32 v53, v63, v4
	v_max_f32_e32 v2, v2, v2
	v_max_f32_e32 v2, v2, v56
	;; [unrolled: 1-line block ×4, first 2 shown]
	s_waitcnt lgkmcnt(0)
	v_max_f32_e32 v53, v53, v53
	v_max_f32_e32 v4, v4, v53
	ds_bpermute_b32 v53, v64, v4
	v_max_f32_e32 v1, v1, v56
	v_sub_f32_e32 v46, v46, v1
	v_sub_f32_e32 v44, v44, v2
	;; [unrolled: 1-line block ×3, first 2 shown]
	s_waitcnt lgkmcnt(0)
	v_max_f32_e32 v53, v53, v53
	v_max_f32_e32 v4, v4, v53
	ds_bpermute_b32 v53, v65, v4
	v_sub_f32_e32 v42, v42, v3
	s_mul_hi_i32 s9, s6, s15
	s_mul_i32 s8, s6, s15
	s_lshl_b64 s[8:9], s[8:9], 2
	s_waitcnt lgkmcnt(0)
	v_max_f32_e32 v53, v53, v53
	v_max_f32_e32 v4, v4, v53
	ds_bpermute_b32 v53, v66, v4
	s_add_u32 s8, s12, s8
	s_addc_u32 s9, s13, s9
	s_waitcnt lgkmcnt(0)
	s_barrier
	v_max_f32_e32 v53, v53, v53
	v_max_f32_e32 v4, v4, v53
	v_sub_f32_e32 v53, v62, v1
	v_mul_f32_e32 v54, 0x3fb8aa3b, v53
	v_fma_f32 v56, v53, s24, -v54
	v_rndne_f32_e32 v62, v54
	v_fmac_f32_e32 v56, 0x32a5705f, v53
	v_sub_f32_e32 v54, v54, v62
	v_add_f32_e32 v54, v54, v56
	v_exp_f32_e32 v54, v54
	v_cvt_i32_f32_e32 v56, v62
	v_cmp_ngt_f32_e32 vcc, s25, v53
	v_sub_f32_e32 v40, v40, v4
	v_ldexp_f32 v54, v54, v56
	v_cndmask_b32_e32 v54, 0, v54, vcc
	v_cmp_nlt_f32_e32 vcc, s26, v53
	v_cndmask_b32_e32 v53, v30, v54, vcc
	v_sub_f32_e32 v54, v61, v1
	v_mul_f32_e32 v56, 0x3fb8aa3b, v54
	v_fma_f32 v61, v54, s24, -v56
	v_rndne_f32_e32 v63, v56
	v_fmac_f32_e32 v61, 0x32a5705f, v54
	v_sub_f32_e32 v56, v56, v63
	v_add_f32_e32 v56, v56, v61
	v_exp_f32_e32 v56, v56
	v_cvt_i32_f32_e32 v61, v63
	v_cmp_ngt_f32_e32 vcc, s25, v54
	v_cvt_f16_f32_e32 v62, v53
	v_ldexp_f32 v56, v56, v61
	v_cndmask_b32_e32 v56, 0, v56, vcc
	v_cmp_nlt_f32_e32 vcc, s26, v54
	v_cndmask_b32_e32 v54, v30, v56, vcc
	v_add_f32_e32 v53, v53, v54
	v_cvt_f16_f32_e32 v61, v54
	v_mul_f32_e32 v54, 0x3fb8aa3b, v46
	v_fma_f32 v56, v46, s24, -v54
	v_rndne_f32_e32 v63, v54
	v_fmac_f32_e32 v56, 0x32a5705f, v46
	v_sub_f32_e32 v54, v54, v63
	v_add_f32_e32 v54, v54, v56
	v_exp_f32_e32 v54, v54
	v_cvt_i32_f32_e32 v56, v63
	v_cmp_ngt_f32_e32 vcc, s25, v46
	v_ldexp_f32 v54, v54, v56
	v_cndmask_b32_e32 v54, 0, v54, vcc
	v_cmp_nlt_f32_e32 vcc, s26, v46
	v_cndmask_b32_e32 v46, v30, v54, vcc
	v_fmac_f32_e32 v53, v45, v46
	v_cvt_f16_f32_e32 v45, v46
	v_sub_f32_e32 v46, v58, v2
	v_mul_f32_e32 v54, 0x3fb8aa3b, v46
	v_fma_f32 v56, v46, s24, -v54
	v_rndne_f32_e32 v58, v54
	v_fmac_f32_e32 v56, 0x32a5705f, v46
	v_sub_f32_e32 v54, v54, v58
	v_add_f32_e32 v54, v54, v56
	v_exp_f32_e32 v54, v54
	v_cvt_i32_f32_e32 v56, v58
	v_cmp_ngt_f32_e32 vcc, s25, v46
	v_mul_u32_u24_e32 v45, 0x10001, v45
	v_pk_mul_f16 v38, v38, v45
	v_ldexp_f32 v54, v54, v56
	v_cndmask_b32_e32 v54, 0, v54, vcc
	v_cmp_nlt_f32_e32 vcc, s26, v46
	v_cndmask_b32_e32 v46, v30, v54, vcc
	v_sub_f32_e32 v54, v57, v2
	v_mul_f32_e32 v56, 0x3fb8aa3b, v54
	v_fma_f32 v57, v54, s24, -v56
	v_rndne_f32_e32 v63, v56
	v_fmac_f32_e32 v57, 0x32a5705f, v54
	v_sub_f32_e32 v56, v56, v63
	v_add_f32_e32 v56, v56, v57
	v_exp_f32_e32 v56, v56
	v_cvt_i32_f32_e32 v57, v63
	v_cmp_ngt_f32_e32 vcc, s25, v54
	v_cvt_f16_f32_e32 v58, v46
	v_ldexp_f32 v56, v56, v57
	v_cndmask_b32_e32 v56, 0, v56, vcc
	v_cmp_nlt_f32_e32 vcc, s26, v54
	v_cndmask_b32_e32 v56, v30, v56, vcc
	v_add_f32_e32 v54, v46, v56
	v_cvt_f16_f32_e32 v46, v56
	v_mul_f32_e32 v56, 0x3fb8aa3b, v44
	v_fma_f32 v57, v44, s24, -v56
	v_rndne_f32_e32 v63, v56
	v_fmac_f32_e32 v57, 0x32a5705f, v44
	v_sub_f32_e32 v56, v56, v63
	v_add_f32_e32 v56, v56, v57
	v_exp_f32_e32 v56, v56
	v_cvt_i32_f32_e32 v57, v63
	v_cmp_ngt_f32_e32 vcc, s25, v44
	v_ldexp_f32 v56, v56, v57
	v_cndmask_b32_e32 v56, 0, v56, vcc
	v_cmp_nlt_f32_e32 vcc, s26, v44
	v_cndmask_b32_e32 v44, v30, v56, vcc
	v_fmac_f32_e32 v54, v43, v44
	v_cvt_f16_f32_e32 v43, v44
	v_sub_f32_e32 v44, v68, v3
	v_mul_f32_e32 v56, 0x3fb8aa3b, v44
	v_fma_f32 v57, v44, s24, -v56
	v_rndne_f32_e32 v63, v56
	v_fmac_f32_e32 v57, 0x32a5705f, v44
	v_sub_f32_e32 v56, v56, v63
	v_add_f32_e32 v56, v56, v57
	v_exp_f32_e32 v56, v56
	v_cvt_i32_f32_e32 v57, v63
	v_cmp_ngt_f32_e32 vcc, s25, v44
	v_mul_u32_u24_e32 v43, 0x10001, v43
	v_pk_mul_f16 v37, v37, v43
	v_ldexp_f32 v56, v56, v57
	v_cndmask_b32_e32 v56, 0, v56, vcc
	v_cmp_nlt_f32_e32 vcc, s26, v44
	v_cndmask_b32_e32 v44, v30, v56, vcc
	v_mul_f32_e32 v56, 0x3fb8aa3b, v55
	v_fma_f32 v63, v55, s24, -v56
	v_rndne_f32_e32 v64, v56
	v_fmac_f32_e32 v63, 0x32a5705f, v55
	v_sub_f32_e32 v56, v56, v64
	v_add_f32_e32 v56, v56, v63
	v_exp_f32_e32 v56, v56
	v_cvt_i32_f32_e32 v63, v64
	v_cmp_ngt_f32_e32 vcc, s25, v55
	v_cvt_f16_f32_e32 v57, v44
	v_ldexp_f32 v56, v56, v63
	v_cndmask_b32_e32 v56, 0, v56, vcc
	v_cmp_nlt_f32_e32 vcc, s26, v55
	v_cndmask_b32_e32 v56, v30, v56, vcc
	v_add_f32_e32 v55, v44, v56
	v_cvt_f16_f32_e32 v44, v56
	v_mul_f32_e32 v56, 0x3fb8aa3b, v42
	v_fma_f32 v63, v42, s24, -v56
	v_rndne_f32_e32 v64, v56
	v_fmac_f32_e32 v63, 0x32a5705f, v42
	v_sub_f32_e32 v56, v56, v64
	v_add_f32_e32 v56, v56, v63
	v_exp_f32_e32 v56, v56
	v_cvt_i32_f32_e32 v63, v64
	v_cmp_ngt_f32_e32 vcc, s25, v42
	v_ldexp_f32 v56, v56, v63
	v_cndmask_b32_e32 v56, 0, v56, vcc
	v_cmp_nlt_f32_e32 vcc, s26, v42
	v_cndmask_b32_e32 v42, v30, v56, vcc
	v_fmac_f32_e32 v55, v41, v42
	v_cvt_f16_f32_e32 v41, v42
	v_sub_f32_e32 v42, v60, v4
	v_mul_f32_e32 v56, 0x3fb8aa3b, v42
	v_fma_f32 v60, v42, s24, -v56
	v_rndne_f32_e32 v63, v56
	v_fmac_f32_e32 v60, 0x32a5705f, v42
	v_sub_f32_e32 v56, v56, v63
	v_add_f32_e32 v56, v56, v60
	v_exp_f32_e32 v56, v56
	v_cvt_i32_f32_e32 v60, v63
	v_cmp_ngt_f32_e32 vcc, s25, v42
	v_mul_u32_u24_e32 v41, 0x10001, v41
	v_pk_mul_f16 v36, v36, v41
	v_ldexp_f32 v56, v56, v60
	v_cndmask_b32_e32 v56, 0, v56, vcc
	v_cmp_nlt_f32_e32 vcc, s26, v42
	v_cndmask_b32_e32 v42, v30, v56, vcc
	v_sub_f32_e32 v56, v59, v4
	v_mul_f32_e32 v59, 0x3fb8aa3b, v56
	v_fma_f32 v63, v56, s24, -v59
	v_rndne_f32_e32 v64, v59
	v_fmac_f32_e32 v63, 0x32a5705f, v56
	v_sub_f32_e32 v59, v59, v64
	v_add_f32_e32 v59, v59, v63
	v_exp_f32_e32 v59, v59
	v_cvt_i32_f32_e32 v63, v64
	v_cmp_ngt_f32_e32 vcc, s25, v56
	v_cvt_f16_f32_e32 v60, v42
	v_ldexp_f32 v59, v59, v63
	v_cndmask_b32_e32 v59, 0, v59, vcc
	v_cmp_nlt_f32_e32 vcc, s26, v56
	v_cndmask_b32_e32 v59, v30, v59, vcc
	v_add_f32_e32 v56, v42, v59
	v_cvt_f16_f32_e32 v42, v59
	v_mul_f32_e32 v59, 0x3fb8aa3b, v40
	v_fma_f32 v63, v40, s24, -v59
	v_rndne_f32_e32 v64, v59
	v_fmac_f32_e32 v63, 0x32a5705f, v40
	v_sub_f32_e32 v59, v59, v64
	v_add_f32_e32 v59, v59, v63
	v_exp_f32_e32 v59, v59
	v_cvt_i32_f32_e32 v63, v64
	v_cmp_ngt_f32_e32 vcc, s25, v40
	v_ldexp_f32 v59, v59, v63
	v_cndmask_b32_e32 v59, 0, v59, vcc
	v_cmp_nlt_f32_e32 vcc, s26, v40
	v_cndmask_b32_e32 v40, v30, v59, vcc
	v_fmac_f32_e32 v56, v39, v40
	v_cvt_f16_f32_e32 v39, v40
	v_add_u32_e32 v59, v22, v16
	v_pack_b32_f16 v40, v57, v60
	v_pack_b32_f16 v57, v61, v46
	v_mul_u32_u24_e32 v39, 0x10001, v39
	v_pk_mul_f16 v35, v35, v39
	v_pk_mul_f16 v33, v33, v39
	v_pack_b32_f16 v39, v62, v58
	v_pack_b32_f16 v58, v44, v42
	ds_write2_b64 v59, v[39:40], v[57:58] offset1:32
	v_add_co_u32_e32 v39, vcc, s8, v10
	v_mov_b32_e32 v40, s9
	v_addc_co_u32_e32 v40, vcc, v40, v11, vcc
	v_add_co_u32_e32 v39, vcc, v39, v29
	v_addc_co_u32_e32 v40, vcc, 0, v40, vcc
	global_load_dwordx4 v[57:60], v[39:40], off
	v_add_co_u32_e32 v39, vcc, s8, v12
	v_mov_b32_e32 v40, s9
	v_addc_co_u32_e32 v40, vcc, v40, v13, vcc
	v_add_co_u32_e32 v39, vcc, v39, v29
	v_addc_co_u32_e32 v40, vcc, 0, v40, vcc
	s_or_b32 s8, s6, 32
	s_mul_hi_i32 s9, s8, s15
	s_mul_i32 s8, s8, s15
	s_lshl_b64 s[8:9], s[8:9], 2
	s_add_u32 s8, s12, s8
	s_addc_u32 s9, s13, s9
	s_waitcnt vmcnt(0)
	ds_write_b128 v23, v[57:60]
	global_load_dwordx4 v[57:60], v[39:40], off
	s_waitcnt vmcnt(0)
	ds_write_b128 v24, v[57:60]
	s_waitcnt lgkmcnt(0)
	s_barrier
	ds_read2_b64 v[57:60], v16 offset1:32
	ds_read_b128 v[61:64], v22
	ds_read_b128 v[65:68], v22 offset:16
	ds_read_b128 v[69:72], v22 offset:32
	;; [unrolled: 1-line block ×3, first 2 shown]
	s_waitcnt lgkmcnt(3)
	v_mul_u32_u24_sdwa v39, v61, s29 dst_sel:DWORD dst_unused:UNUSED_PAD src0_sel:WORD_0 src1_sel:DWORD
	v_mul_u32_u24_sdwa v40, v61, s29 dst_sel:DWORD dst_unused:UNUSED_PAD src0_sel:WORD_1 src1_sel:DWORD
	v_pk_mul_f16 v46, v57, v39
	v_mul_u32_u24_sdwa v42, v62, s29 dst_sel:DWORD dst_unused:UNUSED_PAD src0_sel:WORD_0 src1_sel:DWORD
	v_pk_fma_f16 v34, v34, v45, v46
	v_pk_mul_f16 v45, v57, v40
	v_mul_u32_u24_sdwa v44, v62, s29 dst_sel:DWORD dst_unused:UNUSED_PAD src0_sel:WORD_1 src1_sel:DWORD
	v_pk_fma_f16 v32, v32, v43, v45
	v_pk_mul_f16 v43, v57, v42
	v_pk_fma_f16 v31, v31, v41, v43
	v_pk_fma_f16 v38, v58, v39, v38
	;; [unrolled: 1-line block ×5, first 2 shown]
	v_mul_u32_u24_sdwa v39, v63, s29 dst_sel:DWORD dst_unused:UNUSED_PAD src0_sel:WORD_0 src1_sel:DWORD
	v_mul_u32_u24_sdwa v40, v63, s29 dst_sel:DWORD dst_unused:UNUSED_PAD src0_sel:WORD_1 src1_sel:DWORD
	v_mul_u32_u24_sdwa v41, v64, s29 dst_sel:DWORD dst_unused:UNUSED_PAD src0_sel:WORD_0 src1_sel:DWORD
	v_mul_u32_u24_sdwa v42, v64, s29 dst_sel:DWORD dst_unused:UNUSED_PAD src0_sel:WORD_1 src1_sel:DWORD
	v_pk_fma_f16 v35, v57, v44, v35
	v_pk_fma_f16 v43, v59, v39, v34
	;; [unrolled: 1-line block ×6, first 2 shown]
	ds_read2_b64 v[31:34], v16 offset0:64 offset1:96
	v_pk_fma_f16 v35, v59, v42, v35
	v_pk_fma_f16 v37, v60, v40, v37
	;; [unrolled: 1-line block ×3, first 2 shown]
	s_waitcnt lgkmcnt(3)
	v_mul_u32_u24_sdwa v40, v65, s29 dst_sel:DWORD dst_unused:UNUSED_PAD src0_sel:WORD_0 src1_sel:DWORD
	v_mul_u32_u24_sdwa v41, v65, s29 dst_sel:DWORD dst_unused:UNUSED_PAD src0_sel:WORD_1 src1_sel:DWORD
	v_mul_u32_u24_sdwa v42, v66, s29 dst_sel:DWORD dst_unused:UNUSED_PAD src0_sel:WORD_0 src1_sel:DWORD
	v_mul_u32_u24_sdwa v46, v66, s29 dst_sel:DWORD dst_unused:UNUSED_PAD src0_sel:WORD_1 src1_sel:DWORD
	s_waitcnt lgkmcnt(0)
	v_pk_fma_f16 v43, v31, v40, v43
	v_pk_fma_f16 v44, v31, v41, v44
	v_pk_fma_f16 v45, v31, v42, v45
	v_pk_fma_f16 v31, v31, v46, v35
	v_pk_fma_f16 v35, v32, v40, v38
	v_pk_fma_f16 v37, v32, v41, v37
	v_pk_fma_f16 v36, v32, v42, v36
	v_pk_fma_f16 v32, v32, v46, v39
	v_mul_u32_u24_sdwa v38, v67, s29 dst_sel:DWORD dst_unused:UNUSED_PAD src0_sel:WORD_0 src1_sel:DWORD
	v_mul_u32_u24_sdwa v39, v67, s29 dst_sel:DWORD dst_unused:UNUSED_PAD src0_sel:WORD_1 src1_sel:DWORD
	v_mul_u32_u24_sdwa v40, v68, s29 dst_sel:DWORD dst_unused:UNUSED_PAD src0_sel:WORD_0 src1_sel:DWORD
	v_mul_u32_u24_sdwa v41, v68, s29 dst_sel:DWORD dst_unused:UNUSED_PAD src0_sel:WORD_1 src1_sel:DWORD
	v_pk_fma_f16 v42, v33, v38, v43
	v_pk_fma_f16 v43, v33, v39, v44
	;; [unrolled: 1-line block ×8, first 2 shown]
	ds_read2_b64 v[31:34], v16 offset0:128 offset1:160
	v_mul_u32_u24_sdwa v39, v69, s29 dst_sel:DWORD dst_unused:UNUSED_PAD src0_sel:WORD_0 src1_sel:DWORD
	v_mul_u32_u24_sdwa v40, v69, s29 dst_sel:DWORD dst_unused:UNUSED_PAD src0_sel:WORD_1 src1_sel:DWORD
	v_mul_u32_u24_sdwa v41, v70, s29 dst_sel:DWORD dst_unused:UNUSED_PAD src0_sel:WORD_0 src1_sel:DWORD
	v_mul_u32_u24_sdwa v46, v70, s29 dst_sel:DWORD dst_unused:UNUSED_PAD src0_sel:WORD_1 src1_sel:DWORD
	s_waitcnt lgkmcnt(0)
	v_pk_fma_f16 v42, v31, v39, v42
	v_pk_fma_f16 v43, v31, v40, v43
	;; [unrolled: 1-line block ×8, first 2 shown]
	v_mul_u32_u24_sdwa v38, v71, s29 dst_sel:DWORD dst_unused:UNUSED_PAD src0_sel:WORD_0 src1_sel:DWORD
	v_mul_u32_u24_sdwa v39, v71, s29 dst_sel:DWORD dst_unused:UNUSED_PAD src0_sel:WORD_1 src1_sel:DWORD
	v_mul_u32_u24_sdwa v40, v72, s29 dst_sel:DWORD dst_unused:UNUSED_PAD src0_sel:WORD_0 src1_sel:DWORD
	v_mul_u32_u24_sdwa v41, v72, s29 dst_sel:DWORD dst_unused:UNUSED_PAD src0_sel:WORD_1 src1_sel:DWORD
	v_pk_fma_f16 v42, v33, v38, v42
	v_pk_fma_f16 v43, v33, v39, v43
	;; [unrolled: 1-line block ×8, first 2 shown]
	ds_read2_b64 v[31:34], v16 offset0:192 offset1:224
	v_mul_u32_u24_sdwa v39, v73, s29 dst_sel:DWORD dst_unused:UNUSED_PAD src0_sel:WORD_0 src1_sel:DWORD
	v_mul_u32_u24_sdwa v40, v73, s29 dst_sel:DWORD dst_unused:UNUSED_PAD src0_sel:WORD_1 src1_sel:DWORD
	v_mul_u32_u24_sdwa v41, v74, s29 dst_sel:DWORD dst_unused:UNUSED_PAD src0_sel:WORD_0 src1_sel:DWORD
	v_mul_u32_u24_sdwa v46, v74, s29 dst_sel:DWORD dst_unused:UNUSED_PAD src0_sel:WORD_1 src1_sel:DWORD
	s_waitcnt lgkmcnt(0)
	v_pk_fma_f16 v42, v31, v39, v42
	v_pk_fma_f16 v43, v31, v40, v43
	;; [unrolled: 1-line block ×5, first 2 shown]
	v_mul_u32_u24_sdwa v41, v76, s29 dst_sel:DWORD dst_unused:UNUSED_PAD src0_sel:WORD_1 src1_sel:DWORD
	v_pk_fma_f16 v35, v32, v39, v35
	v_pk_fma_f16 v37, v32, v40, v37
	;; [unrolled: 1-line block ×3, first 2 shown]
	v_mul_u32_u24_sdwa v38, v75, s29 dst_sel:DWORD dst_unused:UNUSED_PAD src0_sel:WORD_0 src1_sel:DWORD
	v_mul_u32_u24_sdwa v39, v75, s29 dst_sel:DWORD dst_unused:UNUSED_PAD src0_sel:WORD_1 src1_sel:DWORD
	v_mul_u32_u24_sdwa v40, v76, s29 dst_sel:DWORD dst_unused:UNUSED_PAD src0_sel:WORD_0 src1_sel:DWORD
	v_pk_fma_f16 v45, v33, v41, v31
	v_add_u32_e32 v31, 0x800, v16
	v_pk_fma_f16 v42, v33, v38, v42
	v_pk_fma_f16 v43, v33, v39, v43
	;; [unrolled: 1-line block ×7, first 2 shown]
	ds_read2_b64 v[32:35], v31 offset1:32
	ds_read_b128 v[36:39], v22 offset:64
	s_waitcnt lgkmcnt(0)
	v_mul_u32_u24_sdwa v58, v36, s29 dst_sel:DWORD dst_unused:UNUSED_PAD src0_sel:WORD_0 src1_sel:DWORD
	v_mul_u32_u24_sdwa v36, v36, s29 dst_sel:DWORD dst_unused:UNUSED_PAD src0_sel:WORD_1 src1_sel:DWORD
	v_mul_u32_u24_sdwa v59, v37, s29 dst_sel:DWORD dst_unused:UNUSED_PAD src0_sel:WORD_0 src1_sel:DWORD
	v_mul_u32_u24_sdwa v37, v37, s29 dst_sel:DWORD dst_unused:UNUSED_PAD src0_sel:WORD_1 src1_sel:DWORD
	v_pk_fma_f16 v42, v32, v58, v42
	v_pk_fma_f16 v43, v32, v36, v43
	v_pk_fma_f16 v44, v32, v59, v44
	v_pk_fma_f16 v32, v32, v37, v45
	v_pk_fma_f16 v45, v33, v58, v46
	v_pk_fma_f16 v36, v33, v36, v57
	v_pk_fma_f16 v40, v33, v59, v40
	v_pk_fma_f16 v33, v33, v37, v41
	v_mul_u32_u24_sdwa v37, v38, s29 dst_sel:DWORD dst_unused:UNUSED_PAD src0_sel:WORD_0 src1_sel:DWORD
	v_mul_u32_u24_sdwa v38, v38, s29 dst_sel:DWORD dst_unused:UNUSED_PAD src0_sel:WORD_1 src1_sel:DWORD
	v_mul_u32_u24_sdwa v41, v39, s29 dst_sel:DWORD dst_unused:UNUSED_PAD src0_sel:WORD_0 src1_sel:DWORD
	v_mul_u32_u24_sdwa v39, v39, s29 dst_sel:DWORD dst_unused:UNUSED_PAD src0_sel:WORD_1 src1_sel:DWORD
	v_pk_fma_f16 v42, v34, v37, v42
	v_pk_fma_f16 v43, v34, v38, v43
	v_pk_fma_f16 v44, v34, v41, v44
	v_pk_fma_f16 v46, v34, v39, v32
	v_pk_fma_f16 v45, v35, v37, v45
	v_pk_fma_f16 v57, v35, v38, v36
	v_pk_fma_f16 v40, v35, v41, v40
	v_pk_fma_f16 v41, v35, v39, v33
	ds_read2_b64 v[32:35], v31 offset0:64 offset1:96
	ds_read_b128 v[36:39], v22 offset:80
	s_waitcnt lgkmcnt(0)
	v_mul_u32_u24_sdwa v58, v36, s29 dst_sel:DWORD dst_unused:UNUSED_PAD src0_sel:WORD_0 src1_sel:DWORD
	v_mul_u32_u24_sdwa v36, v36, s29 dst_sel:DWORD dst_unused:UNUSED_PAD src0_sel:WORD_1 src1_sel:DWORD
	v_mul_u32_u24_sdwa v59, v37, s29 dst_sel:DWORD dst_unused:UNUSED_PAD src0_sel:WORD_0 src1_sel:DWORD
	v_mul_u32_u24_sdwa v37, v37, s29 dst_sel:DWORD dst_unused:UNUSED_PAD src0_sel:WORD_1 src1_sel:DWORD
	v_pk_fma_f16 v42, v32, v58, v42
	v_pk_fma_f16 v43, v32, v36, v43
	v_pk_fma_f16 v44, v32, v59, v44
	v_pk_fma_f16 v32, v32, v37, v46
	v_pk_fma_f16 v45, v33, v58, v45
	v_pk_fma_f16 v36, v33, v36, v57
	v_pk_fma_f16 v40, v33, v59, v40
	v_pk_fma_f16 v33, v33, v37, v41
	v_mul_u32_u24_sdwa v37, v38, s29 dst_sel:DWORD dst_unused:UNUSED_PAD src0_sel:WORD_0 src1_sel:DWORD
	v_mul_u32_u24_sdwa v38, v38, s29 dst_sel:DWORD dst_unused:UNUSED_PAD src0_sel:WORD_1 src1_sel:DWORD
	v_mul_u32_u24_sdwa v41, v39, s29 dst_sel:DWORD dst_unused:UNUSED_PAD src0_sel:WORD_0 src1_sel:DWORD
	v_mul_u32_u24_sdwa v39, v39, s29 dst_sel:DWORD dst_unused:UNUSED_PAD src0_sel:WORD_1 src1_sel:DWORD
	v_pk_fma_f16 v42, v34, v37, v42
	v_pk_fma_f16 v43, v34, v38, v43
	v_pk_fma_f16 v44, v34, v41, v44
	v_pk_fma_f16 v46, v34, v39, v32
	v_pk_fma_f16 v45, v35, v37, v45
	v_pk_fma_f16 v57, v35, v38, v36
	v_pk_fma_f16 v40, v35, v41, v40
	v_pk_fma_f16 v41, v35, v39, v33
	ds_read2_b64 v[32:35], v31 offset0:128 offset1:160
	;; [unrolled: 27-line block ×3, first 2 shown]
	ds_read_b128 v[36:39], v22 offset:112
	s_waitcnt lgkmcnt(0)
	v_mul_u32_u24_sdwa v58, v36, s29 dst_sel:DWORD dst_unused:UNUSED_PAD src0_sel:WORD_0 src1_sel:DWORD
	v_mul_u32_u24_sdwa v36, v36, s29 dst_sel:DWORD dst_unused:UNUSED_PAD src0_sel:WORD_1 src1_sel:DWORD
	v_mul_u32_u24_sdwa v59, v37, s29 dst_sel:DWORD dst_unused:UNUSED_PAD src0_sel:WORD_0 src1_sel:DWORD
	v_mul_u32_u24_sdwa v37, v37, s29 dst_sel:DWORD dst_unused:UNUSED_PAD src0_sel:WORD_1 src1_sel:DWORD
	v_pk_fma_f16 v42, v32, v58, v42
	v_pk_fma_f16 v43, v32, v36, v43
	;; [unrolled: 1-line block ×8, first 2 shown]
	v_mul_u32_u24_sdwa v41, v39, s29 dst_sel:DWORD dst_unused:UNUSED_PAD src0_sel:WORD_0 src1_sel:DWORD
	v_mul_u32_u24_sdwa v39, v39, s29 dst_sel:DWORD dst_unused:UNUSED_PAD src0_sel:WORD_1 src1_sel:DWORD
	v_mul_u32_u24_sdwa v37, v38, s29 dst_sel:DWORD dst_unused:UNUSED_PAD src0_sel:WORD_0 src1_sel:DWORD
	v_mul_u32_u24_sdwa v38, v38, s29 dst_sel:DWORD dst_unused:UNUSED_PAD src0_sel:WORD_1 src1_sel:DWORD
	v_pk_fma_f16 v46, v34, v39, v32
	v_add_u32_e32 v32, 0x1000, v16
	v_pk_fma_f16 v42, v34, v37, v42
	v_pk_fma_f16 v43, v34, v38, v43
	;; [unrolled: 1-line block ×7, first 2 shown]
	ds_read2_b64 v[33:36], v32 offset1:32
	ds_read_b128 v[37:40], v22 offset:128
	s_waitcnt lgkmcnt(0)
	v_mul_u32_u24_sdwa v59, v37, s29 dst_sel:DWORD dst_unused:UNUSED_PAD src0_sel:WORD_0 src1_sel:DWORD
	v_mul_u32_u24_sdwa v37, v37, s29 dst_sel:DWORD dst_unused:UNUSED_PAD src0_sel:WORD_1 src1_sel:DWORD
	v_mul_u32_u24_sdwa v60, v38, s29 dst_sel:DWORD dst_unused:UNUSED_PAD src0_sel:WORD_0 src1_sel:DWORD
	v_mul_u32_u24_sdwa v38, v38, s29 dst_sel:DWORD dst_unused:UNUSED_PAD src0_sel:WORD_1 src1_sel:DWORD
	v_pk_fma_f16 v42, v33, v59, v42
	v_pk_fma_f16 v43, v33, v37, v43
	v_pk_fma_f16 v44, v33, v60, v44
	v_pk_fma_f16 v33, v33, v38, v46
	v_pk_fma_f16 v45, v34, v59, v45
	v_pk_fma_f16 v37, v34, v37, v57
	v_pk_fma_f16 v41, v34, v60, v41
	v_pk_fma_f16 v34, v34, v38, v58
	v_mul_u32_u24_sdwa v38, v39, s29 dst_sel:DWORD dst_unused:UNUSED_PAD src0_sel:WORD_0 src1_sel:DWORD
	v_mul_u32_u24_sdwa v39, v39, s29 dst_sel:DWORD dst_unused:UNUSED_PAD src0_sel:WORD_1 src1_sel:DWORD
	v_mul_u32_u24_sdwa v46, v40, s29 dst_sel:DWORD dst_unused:UNUSED_PAD src0_sel:WORD_0 src1_sel:DWORD
	v_mul_u32_u24_sdwa v40, v40, s29 dst_sel:DWORD dst_unused:UNUSED_PAD src0_sel:WORD_1 src1_sel:DWORD
	v_pk_fma_f16 v42, v35, v38, v42
	v_pk_fma_f16 v43, v35, v39, v43
	v_pk_fma_f16 v44, v35, v46, v44
	v_pk_fma_f16 v57, v35, v40, v33
	v_pk_fma_f16 v45, v36, v38, v45
	v_pk_fma_f16 v58, v36, v39, v37
	v_pk_fma_f16 v41, v36, v46, v41
	v_pk_fma_f16 v46, v36, v40, v34
	ds_read2_b64 v[33:36], v32 offset0:64 offset1:96
	ds_read_b128 v[37:40], v22 offset:144
	s_waitcnt lgkmcnt(0)
	v_mul_u32_u24_sdwa v59, v37, s29 dst_sel:DWORD dst_unused:UNUSED_PAD src0_sel:WORD_0 src1_sel:DWORD
	v_mul_u32_u24_sdwa v37, v37, s29 dst_sel:DWORD dst_unused:UNUSED_PAD src0_sel:WORD_1 src1_sel:DWORD
	v_mul_u32_u24_sdwa v60, v38, s29 dst_sel:DWORD dst_unused:UNUSED_PAD src0_sel:WORD_0 src1_sel:DWORD
	v_mul_u32_u24_sdwa v38, v38, s29 dst_sel:DWORD dst_unused:UNUSED_PAD src0_sel:WORD_1 src1_sel:DWORD
	v_pk_fma_f16 v42, v33, v59, v42
	v_pk_fma_f16 v43, v33, v37, v43
	v_pk_fma_f16 v44, v33, v60, v44
	v_pk_fma_f16 v33, v33, v38, v57
	v_pk_fma_f16 v45, v34, v59, v45
	v_pk_fma_f16 v37, v34, v37, v58
	v_pk_fma_f16 v41, v34, v60, v41
	v_pk_fma_f16 v34, v34, v38, v46
	v_mul_u32_u24_sdwa v38, v39, s29 dst_sel:DWORD dst_unused:UNUSED_PAD src0_sel:WORD_0 src1_sel:DWORD
	v_mul_u32_u24_sdwa v39, v39, s29 dst_sel:DWORD dst_unused:UNUSED_PAD src0_sel:WORD_1 src1_sel:DWORD
	v_mul_u32_u24_sdwa v46, v40, s29 dst_sel:DWORD dst_unused:UNUSED_PAD src0_sel:WORD_0 src1_sel:DWORD
	v_mul_u32_u24_sdwa v40, v40, s29 dst_sel:DWORD dst_unused:UNUSED_PAD src0_sel:WORD_1 src1_sel:DWORD
	v_pk_fma_f16 v42, v35, v38, v42
	v_pk_fma_f16 v43, v35, v39, v43
	v_pk_fma_f16 v44, v35, v46, v44
	v_pk_fma_f16 v57, v35, v40, v33
	v_pk_fma_f16 v45, v36, v38, v45
	v_pk_fma_f16 v58, v36, v39, v37
	v_pk_fma_f16 v41, v36, v46, v41
	v_pk_fma_f16 v46, v36, v40, v34
	ds_read2_b64 v[33:36], v32 offset0:128 offset1:160
	;; [unrolled: 27-line block ×3, first 2 shown]
	ds_read_b128 v[37:40], v22 offset:176
	s_waitcnt lgkmcnt(0)
	v_mul_u32_u24_sdwa v59, v37, s29 dst_sel:DWORD dst_unused:UNUSED_PAD src0_sel:WORD_0 src1_sel:DWORD
	v_mul_u32_u24_sdwa v37, v37, s29 dst_sel:DWORD dst_unused:UNUSED_PAD src0_sel:WORD_1 src1_sel:DWORD
	v_mul_u32_u24_sdwa v60, v38, s29 dst_sel:DWORD dst_unused:UNUSED_PAD src0_sel:WORD_0 src1_sel:DWORD
	v_mul_u32_u24_sdwa v38, v38, s29 dst_sel:DWORD dst_unused:UNUSED_PAD src0_sel:WORD_1 src1_sel:DWORD
	v_pk_fma_f16 v42, v33, v59, v42
	v_pk_fma_f16 v43, v33, v37, v43
	;; [unrolled: 1-line block ×8, first 2 shown]
	v_mul_u32_u24_sdwa v46, v40, s29 dst_sel:DWORD dst_unused:UNUSED_PAD src0_sel:WORD_0 src1_sel:DWORD
	v_mul_u32_u24_sdwa v40, v40, s29 dst_sel:DWORD dst_unused:UNUSED_PAD src0_sel:WORD_1 src1_sel:DWORD
	v_mul_u32_u24_sdwa v38, v39, s29 dst_sel:DWORD dst_unused:UNUSED_PAD src0_sel:WORD_0 src1_sel:DWORD
	v_mul_u32_u24_sdwa v39, v39, s29 dst_sel:DWORD dst_unused:UNUSED_PAD src0_sel:WORD_1 src1_sel:DWORD
	v_pk_fma_f16 v57, v35, v40, v33
	v_add_u32_e32 v33, 0x1800, v16
	v_pk_fma_f16 v42, v35, v38, v42
	v_pk_fma_f16 v43, v35, v39, v43
	;; [unrolled: 1-line block ×7, first 2 shown]
	ds_read2_b64 v[34:37], v33 offset1:32
	ds_read_b128 v[38:41], v22 offset:192
	s_waitcnt lgkmcnt(0)
	v_mul_u32_u24_sdwa v60, v38, s29 dst_sel:DWORD dst_unused:UNUSED_PAD src0_sel:WORD_0 src1_sel:DWORD
	v_mul_u32_u24_sdwa v38, v38, s29 dst_sel:DWORD dst_unused:UNUSED_PAD src0_sel:WORD_1 src1_sel:DWORD
	v_mul_u32_u24_sdwa v61, v39, s29 dst_sel:DWORD dst_unused:UNUSED_PAD src0_sel:WORD_0 src1_sel:DWORD
	v_mul_u32_u24_sdwa v39, v39, s29 dst_sel:DWORD dst_unused:UNUSED_PAD src0_sel:WORD_1 src1_sel:DWORD
	v_pk_fma_f16 v42, v34, v60, v42
	v_pk_fma_f16 v43, v34, v38, v43
	v_pk_fma_f16 v44, v34, v61, v44
	v_pk_fma_f16 v34, v34, v39, v57
	v_pk_fma_f16 v45, v35, v60, v45
	v_pk_fma_f16 v38, v35, v38, v58
	v_pk_fma_f16 v46, v35, v61, v46
	v_pk_fma_f16 v35, v35, v39, v59
	v_mul_u32_u24_sdwa v39, v40, s29 dst_sel:DWORD dst_unused:UNUSED_PAD src0_sel:WORD_0 src1_sel:DWORD
	v_mul_u32_u24_sdwa v40, v40, s29 dst_sel:DWORD dst_unused:UNUSED_PAD src0_sel:WORD_1 src1_sel:DWORD
	v_mul_u32_u24_sdwa v57, v41, s29 dst_sel:DWORD dst_unused:UNUSED_PAD src0_sel:WORD_0 src1_sel:DWORD
	v_mul_u32_u24_sdwa v41, v41, s29 dst_sel:DWORD dst_unused:UNUSED_PAD src0_sel:WORD_1 src1_sel:DWORD
	v_pk_fma_f16 v42, v36, v39, v42
	v_pk_fma_f16 v43, v36, v40, v43
	v_pk_fma_f16 v44, v36, v57, v44
	v_pk_fma_f16 v58, v36, v41, v34
	v_pk_fma_f16 v45, v37, v39, v45
	v_pk_fma_f16 v59, v37, v40, v38
	v_pk_fma_f16 v46, v37, v57, v46
	v_pk_fma_f16 v57, v37, v41, v35
	ds_read2_b64 v[34:37], v33 offset0:64 offset1:96
	ds_read_b128 v[38:41], v22 offset:208
	s_waitcnt lgkmcnt(0)
	v_mul_u32_u24_sdwa v60, v38, s29 dst_sel:DWORD dst_unused:UNUSED_PAD src0_sel:WORD_0 src1_sel:DWORD
	v_mul_u32_u24_sdwa v38, v38, s29 dst_sel:DWORD dst_unused:UNUSED_PAD src0_sel:WORD_1 src1_sel:DWORD
	v_mul_u32_u24_sdwa v61, v39, s29 dst_sel:DWORD dst_unused:UNUSED_PAD src0_sel:WORD_0 src1_sel:DWORD
	v_mul_u32_u24_sdwa v39, v39, s29 dst_sel:DWORD dst_unused:UNUSED_PAD src0_sel:WORD_1 src1_sel:DWORD
	v_pk_fma_f16 v42, v34, v60, v42
	v_pk_fma_f16 v43, v34, v38, v43
	v_pk_fma_f16 v44, v34, v61, v44
	v_pk_fma_f16 v34, v34, v39, v58
	v_pk_fma_f16 v45, v35, v60, v45
	v_pk_fma_f16 v38, v35, v38, v59
	v_pk_fma_f16 v46, v35, v61, v46
	v_pk_fma_f16 v35, v35, v39, v57
	v_mul_u32_u24_sdwa v39, v40, s29 dst_sel:DWORD dst_unused:UNUSED_PAD src0_sel:WORD_0 src1_sel:DWORD
	v_mul_u32_u24_sdwa v40, v40, s29 dst_sel:DWORD dst_unused:UNUSED_PAD src0_sel:WORD_1 src1_sel:DWORD
	v_mul_u32_u24_sdwa v57, v41, s29 dst_sel:DWORD dst_unused:UNUSED_PAD src0_sel:WORD_0 src1_sel:DWORD
	v_mul_u32_u24_sdwa v41, v41, s29 dst_sel:DWORD dst_unused:UNUSED_PAD src0_sel:WORD_1 src1_sel:DWORD
	v_pk_fma_f16 v42, v36, v39, v42
	v_pk_fma_f16 v43, v36, v40, v43
	v_pk_fma_f16 v44, v36, v57, v44
	v_pk_fma_f16 v58, v36, v41, v34
	v_pk_fma_f16 v45, v37, v39, v45
	v_pk_fma_f16 v59, v37, v40, v38
	v_pk_fma_f16 v46, v37, v57, v46
	v_pk_fma_f16 v57, v37, v41, v35
	ds_read2_b64 v[34:37], v33 offset0:128 offset1:160
	;; [unrolled: 27-line block ×3, first 2 shown]
	ds_read_b128 v[38:41], v22 offset:240
	s_waitcnt lgkmcnt(0)
	s_barrier
	v_mul_u32_u24_sdwa v60, v38, s29 dst_sel:DWORD dst_unused:UNUSED_PAD src0_sel:WORD_0 src1_sel:DWORD
	v_mul_u32_u24_sdwa v38, v38, s29 dst_sel:DWORD dst_unused:UNUSED_PAD src0_sel:WORD_1 src1_sel:DWORD
	v_mul_u32_u24_sdwa v61, v39, s29 dst_sel:DWORD dst_unused:UNUSED_PAD src0_sel:WORD_0 src1_sel:DWORD
	v_mul_u32_u24_sdwa v39, v39, s29 dst_sel:DWORD dst_unused:UNUSED_PAD src0_sel:WORD_1 src1_sel:DWORD
	v_pk_fma_f16 v42, v34, v60, v42
	v_pk_fma_f16 v43, v34, v38, v43
	;; [unrolled: 1-line block ×8, first 2 shown]
	v_mul_u32_u24_sdwa v57, v41, s29 dst_sel:DWORD dst_unused:UNUSED_PAD src0_sel:WORD_0 src1_sel:DWORD
	v_mul_u32_u24_sdwa v41, v41, s29 dst_sel:DWORD dst_unused:UNUSED_PAD src0_sel:WORD_1 src1_sel:DWORD
	v_pk_fma_f16 v68, v36, v41, v34
	v_pk_fma_f16 v71, v37, v41, v35
	v_add_co_u32_e32 v34, vcc, s8, v10
	v_mov_b32_e32 v35, s9
	v_addc_co_u32_e32 v35, vcc, v35, v11, vcc
	v_add_co_u32_e32 v34, vcc, v34, v29
	v_mul_u32_u24_sdwa v39, v40, s29 dst_sel:DWORD dst_unused:UNUSED_PAD src0_sel:WORD_0 src1_sel:DWORD
	v_mul_u32_u24_sdwa v40, v40, s29 dst_sel:DWORD dst_unused:UNUSED_PAD src0_sel:WORD_1 src1_sel:DWORD
	v_addc_co_u32_e32 v35, vcc, 0, v35, vcc
	v_pk_fma_f16 v65, v36, v39, v42
	v_pk_fma_f16 v66, v36, v40, v43
	;; [unrolled: 1-line block ×6, first 2 shown]
	global_load_dwordx4 v[34:37], v[34:35], off
	s_waitcnt vmcnt(0)
	ds_write_b128 v23, v[34:37]
	v_add_co_u32_e32 v34, vcc, s8, v12
	v_mov_b32_e32 v35, s9
	v_addc_co_u32_e32 v35, vcc, v35, v13, vcc
	v_add_co_u32_e32 v34, vcc, v34, v29
	v_addc_co_u32_e32 v35, vcc, 0, v35, vcc
	global_load_dwordx4 v[34:37], v[34:35], off
	s_waitcnt vmcnt(0)
	ds_write_b128 v24, v[34:37]
	s_waitcnt lgkmcnt(0)
	s_barrier
	ds_read2_b64 v[34:37], v16 offset1:32
	ds_read_b128 v[38:41], v22 offset:256
	ds_read_b128 v[42:45], v22 offset:272
	;; [unrolled: 1-line block ×4, first 2 shown]
	s_waitcnt lgkmcnt(3)
	v_mul_u32_u24_sdwa v72, v38, s29 dst_sel:DWORD dst_unused:UNUSED_PAD src0_sel:WORD_0 src1_sel:DWORD
	v_mul_u32_u24_sdwa v38, v38, s29 dst_sel:DWORD dst_unused:UNUSED_PAD src0_sel:WORD_1 src1_sel:DWORD
	v_mul_u32_u24_sdwa v73, v39, s29 dst_sel:DWORD dst_unused:UNUSED_PAD src0_sel:WORD_0 src1_sel:DWORD
	v_mul_u32_u24_sdwa v39, v39, s29 dst_sel:DWORD dst_unused:UNUSED_PAD src0_sel:WORD_1 src1_sel:DWORD
	v_pk_fma_f16 v65, v34, v72, v65
	v_pk_fma_f16 v66, v34, v38, v66
	v_pk_fma_f16 v67, v34, v73, v67
	v_pk_fma_f16 v34, v34, v39, v68
	v_pk_fma_f16 v68, v35, v72, v69
	v_pk_fma_f16 v38, v35, v38, v70
	v_pk_fma_f16 v46, v35, v73, v46
	v_pk_fma_f16 v35, v35, v39, v71
	v_mul_u32_u24_sdwa v39, v40, s29 dst_sel:DWORD dst_unused:UNUSED_PAD src0_sel:WORD_0 src1_sel:DWORD
	v_mul_u32_u24_sdwa v40, v40, s29 dst_sel:DWORD dst_unused:UNUSED_PAD src0_sel:WORD_1 src1_sel:DWORD
	v_mul_u32_u24_sdwa v69, v41, s29 dst_sel:DWORD dst_unused:UNUSED_PAD src0_sel:WORD_0 src1_sel:DWORD
	v_mul_u32_u24_sdwa v41, v41, s29 dst_sel:DWORD dst_unused:UNUSED_PAD src0_sel:WORD_1 src1_sel:DWORD
	v_pk_fma_f16 v65, v36, v39, v65
	v_pk_fma_f16 v66, v36, v40, v66
	;; [unrolled: 1-line block ×8, first 2 shown]
	ds_read2_b64 v[34:37], v16 offset0:64 offset1:96
	s_waitcnt lgkmcnt(3)
	v_mul_u32_u24_sdwa v46, v42, s29 dst_sel:DWORD dst_unused:UNUSED_PAD src0_sel:WORD_0 src1_sel:DWORD
	v_mul_u32_u24_sdwa v42, v42, s29 dst_sel:DWORD dst_unused:UNUSED_PAD src0_sel:WORD_1 src1_sel:DWORD
	v_mul_u32_u24_sdwa v68, v43, s29 dst_sel:DWORD dst_unused:UNUSED_PAD src0_sel:WORD_0 src1_sel:DWORD
	v_mul_u32_u24_sdwa v43, v43, s29 dst_sel:DWORD dst_unused:UNUSED_PAD src0_sel:WORD_1 src1_sel:DWORD
	s_waitcnt lgkmcnt(0)
	v_pk_fma_f16 v65, v34, v46, v65
	v_pk_fma_f16 v66, v34, v42, v66
	;; [unrolled: 1-line block ×8, first 2 shown]
	v_mul_u32_u24_sdwa v41, v44, s29 dst_sel:DWORD dst_unused:UNUSED_PAD src0_sel:WORD_0 src1_sel:DWORD
	v_mul_u32_u24_sdwa v42, v44, s29 dst_sel:DWORD dst_unused:UNUSED_PAD src0_sel:WORD_1 src1_sel:DWORD
	v_mul_u32_u24_sdwa v43, v45, s29 dst_sel:DWORD dst_unused:UNUSED_PAD src0_sel:WORD_0 src1_sel:DWORD
	v_mul_u32_u24_sdwa v44, v45, s29 dst_sel:DWORD dst_unused:UNUSED_PAD src0_sel:WORD_1 src1_sel:DWORD
	v_pk_fma_f16 v45, v36, v41, v65
	v_pk_fma_f16 v46, v36, v42, v66
	;; [unrolled: 1-line block ×8, first 2 shown]
	ds_read2_b64 v[34:37], v16 offset0:128 offset1:160
	v_mul_u32_u24_sdwa v42, v57, s29 dst_sel:DWORD dst_unused:UNUSED_PAD src0_sel:WORD_0 src1_sel:DWORD
	v_mul_u32_u24_sdwa v43, v57, s29 dst_sel:DWORD dst_unused:UNUSED_PAD src0_sel:WORD_1 src1_sel:DWORD
	v_mul_u32_u24_sdwa v44, v58, s29 dst_sel:DWORD dst_unused:UNUSED_PAD src0_sel:WORD_0 src1_sel:DWORD
	v_mul_u32_u24_sdwa v57, v58, s29 dst_sel:DWORD dst_unused:UNUSED_PAD src0_sel:WORD_1 src1_sel:DWORD
	s_waitcnt lgkmcnt(0)
	v_pk_fma_f16 v45, v34, v42, v45
	v_pk_fma_f16 v46, v34, v43, v46
	;; [unrolled: 1-line block ×8, first 2 shown]
	v_mul_u32_u24_sdwa v41, v59, s29 dst_sel:DWORD dst_unused:UNUSED_PAD src0_sel:WORD_0 src1_sel:DWORD
	v_mul_u32_u24_sdwa v42, v59, s29 dst_sel:DWORD dst_unused:UNUSED_PAD src0_sel:WORD_1 src1_sel:DWORD
	v_mul_u32_u24_sdwa v43, v60, s29 dst_sel:DWORD dst_unused:UNUSED_PAD src0_sel:WORD_0 src1_sel:DWORD
	v_mul_u32_u24_sdwa v44, v60, s29 dst_sel:DWORD dst_unused:UNUSED_PAD src0_sel:WORD_1 src1_sel:DWORD
	v_pk_fma_f16 v45, v36, v41, v45
	v_pk_fma_f16 v46, v36, v42, v46
	;; [unrolled: 1-line block ×8, first 2 shown]
	ds_read2_b64 v[34:37], v16 offset0:192 offset1:224
	v_mul_u32_u24_sdwa v42, v61, s29 dst_sel:DWORD dst_unused:UNUSED_PAD src0_sel:WORD_0 src1_sel:DWORD
	v_mul_u32_u24_sdwa v43, v61, s29 dst_sel:DWORD dst_unused:UNUSED_PAD src0_sel:WORD_1 src1_sel:DWORD
	v_mul_u32_u24_sdwa v44, v62, s29 dst_sel:DWORD dst_unused:UNUSED_PAD src0_sel:WORD_0 src1_sel:DWORD
	v_mul_u32_u24_sdwa v59, v62, s29 dst_sel:DWORD dst_unused:UNUSED_PAD src0_sel:WORD_1 src1_sel:DWORD
	s_waitcnt lgkmcnt(0)
	v_pk_fma_f16 v45, v34, v42, v45
	v_pk_fma_f16 v46, v34, v43, v46
	v_pk_fma_f16 v57, v34, v44, v57
	v_pk_fma_f16 v34, v34, v59, v58
	v_pk_fma_f16 v39, v35, v42, v39
	v_pk_fma_f16 v38, v35, v43, v38
	v_pk_fma_f16 v40, v35, v44, v40
	v_pk_fma_f16 v35, v35, v59, v41
	v_mul_u32_u24_sdwa v41, v63, s29 dst_sel:DWORD dst_unused:UNUSED_PAD src0_sel:WORD_0 src1_sel:DWORD
	v_mul_u32_u24_sdwa v42, v63, s29 dst_sel:DWORD dst_unused:UNUSED_PAD src0_sel:WORD_1 src1_sel:DWORD
	v_mul_u32_u24_sdwa v43, v64, s29 dst_sel:DWORD dst_unused:UNUSED_PAD src0_sel:WORD_0 src1_sel:DWORD
	v_mul_u32_u24_sdwa v44, v64, s29 dst_sel:DWORD dst_unused:UNUSED_PAD src0_sel:WORD_1 src1_sel:DWORD
	v_pk_fma_f16 v45, v36, v41, v45
	v_pk_fma_f16 v46, v36, v42, v46
	;; [unrolled: 1-line block ×8, first 2 shown]
	ds_read2_b64 v[34:37], v31 offset1:32
	ds_read_b128 v[38:41], v22 offset:320
	s_waitcnt lgkmcnt(0)
	v_mul_u32_u24_sdwa v60, v38, s29 dst_sel:DWORD dst_unused:UNUSED_PAD src0_sel:WORD_0 src1_sel:DWORD
	v_mul_u32_u24_sdwa v38, v38, s29 dst_sel:DWORD dst_unused:UNUSED_PAD src0_sel:WORD_1 src1_sel:DWORD
	v_mul_u32_u24_sdwa v61, v39, s29 dst_sel:DWORD dst_unused:UNUSED_PAD src0_sel:WORD_0 src1_sel:DWORD
	v_mul_u32_u24_sdwa v39, v39, s29 dst_sel:DWORD dst_unused:UNUSED_PAD src0_sel:WORD_1 src1_sel:DWORD
	v_pk_fma_f16 v45, v34, v60, v45
	v_pk_fma_f16 v46, v34, v38, v46
	v_pk_fma_f16 v57, v34, v61, v57
	v_pk_fma_f16 v34, v34, v39, v58
	v_pk_fma_f16 v58, v35, v60, v59
	v_pk_fma_f16 v38, v35, v38, v42
	v_pk_fma_f16 v42, v35, v61, v43
	v_pk_fma_f16 v35, v35, v39, v44
	v_mul_u32_u24_sdwa v39, v40, s29 dst_sel:DWORD dst_unused:UNUSED_PAD src0_sel:WORD_0 src1_sel:DWORD
	v_mul_u32_u24_sdwa v40, v40, s29 dst_sel:DWORD dst_unused:UNUSED_PAD src0_sel:WORD_1 src1_sel:DWORD
	v_mul_u32_u24_sdwa v43, v41, s29 dst_sel:DWORD dst_unused:UNUSED_PAD src0_sel:WORD_0 src1_sel:DWORD
	v_mul_u32_u24_sdwa v41, v41, s29 dst_sel:DWORD dst_unused:UNUSED_PAD src0_sel:WORD_1 src1_sel:DWORD
	v_pk_fma_f16 v44, v36, v39, v45
	v_pk_fma_f16 v45, v36, v40, v46
	v_pk_fma_f16 v46, v36, v43, v57
	v_pk_fma_f16 v57, v36, v41, v34
	v_pk_fma_f16 v58, v37, v39, v58
	v_pk_fma_f16 v59, v37, v40, v38
	v_pk_fma_f16 v42, v37, v43, v42
	v_pk_fma_f16 v43, v37, v41, v35
	ds_read2_b64 v[34:37], v31 offset0:64 offset1:96
	ds_read_b128 v[38:41], v22 offset:336
	s_waitcnt lgkmcnt(0)
	v_mul_u32_u24_sdwa v60, v38, s29 dst_sel:DWORD dst_unused:UNUSED_PAD src0_sel:WORD_0 src1_sel:DWORD
	v_mul_u32_u24_sdwa v38, v38, s29 dst_sel:DWORD dst_unused:UNUSED_PAD src0_sel:WORD_1 src1_sel:DWORD
	v_mul_u32_u24_sdwa v61, v39, s29 dst_sel:DWORD dst_unused:UNUSED_PAD src0_sel:WORD_0 src1_sel:DWORD
	v_mul_u32_u24_sdwa v39, v39, s29 dst_sel:DWORD dst_unused:UNUSED_PAD src0_sel:WORD_1 src1_sel:DWORD
	v_pk_fma_f16 v44, v34, v60, v44
	v_pk_fma_f16 v45, v34, v38, v45
	v_pk_fma_f16 v46, v34, v61, v46
	v_pk_fma_f16 v34, v34, v39, v57
	v_pk_fma_f16 v57, v35, v60, v58
	v_pk_fma_f16 v38, v35, v38, v59
	v_pk_fma_f16 v42, v35, v61, v42
	v_pk_fma_f16 v35, v35, v39, v43
	v_mul_u32_u24_sdwa v39, v40, s29 dst_sel:DWORD dst_unused:UNUSED_PAD src0_sel:WORD_0 src1_sel:DWORD
	v_mul_u32_u24_sdwa v40, v40, s29 dst_sel:DWORD dst_unused:UNUSED_PAD src0_sel:WORD_1 src1_sel:DWORD
	v_mul_u32_u24_sdwa v43, v41, s29 dst_sel:DWORD dst_unused:UNUSED_PAD src0_sel:WORD_0 src1_sel:DWORD
	v_mul_u32_u24_sdwa v41, v41, s29 dst_sel:DWORD dst_unused:UNUSED_PAD src0_sel:WORD_1 src1_sel:DWORD
	v_pk_fma_f16 v44, v36, v39, v44
	v_pk_fma_f16 v45, v36, v40, v45
	v_pk_fma_f16 v46, v36, v43, v46
	v_pk_fma_f16 v58, v36, v41, v34
	v_pk_fma_f16 v57, v37, v39, v57
	v_pk_fma_f16 v59, v37, v40, v38
	v_pk_fma_f16 v42, v37, v43, v42
	v_pk_fma_f16 v43, v37, v41, v35
	ds_read2_b64 v[34:37], v31 offset0:128 offset1:160
	ds_read_b128 v[38:41], v22 offset:352
	s_waitcnt lgkmcnt(0)
	v_mul_u32_u24_sdwa v60, v38, s29 dst_sel:DWORD dst_unused:UNUSED_PAD src0_sel:WORD_0 src1_sel:DWORD
	v_mul_u32_u24_sdwa v38, v38, s29 dst_sel:DWORD dst_unused:UNUSED_PAD src0_sel:WORD_1 src1_sel:DWORD
	v_mul_u32_u24_sdwa v61, v39, s29 dst_sel:DWORD dst_unused:UNUSED_PAD src0_sel:WORD_0 src1_sel:DWORD
	v_mul_u32_u24_sdwa v39, v39, s29 dst_sel:DWORD dst_unused:UNUSED_PAD src0_sel:WORD_1 src1_sel:DWORD
	v_pk_fma_f16 v44, v34, v60, v44
	v_pk_fma_f16 v45, v34, v38, v45
	v_pk_fma_f16 v46, v34, v61, v46
	v_pk_fma_f16 v34, v34, v39, v58
	v_pk_fma_f16 v57, v35, v60, v57
	v_pk_fma_f16 v38, v35, v38, v59
	v_pk_fma_f16 v42, v35, v61, v42
	v_pk_fma_f16 v35, v35, v39, v43
	v_mul_u32_u24_sdwa v39, v40, s29 dst_sel:DWORD dst_unused:UNUSED_PAD src0_sel:WORD_0 src1_sel:DWORD
	v_mul_u32_u24_sdwa v40, v40, s29 dst_sel:DWORD dst_unused:UNUSED_PAD src0_sel:WORD_1 src1_sel:DWORD
	v_mul_u32_u24_sdwa v43, v41, s29 dst_sel:DWORD dst_unused:UNUSED_PAD src0_sel:WORD_0 src1_sel:DWORD
	v_mul_u32_u24_sdwa v41, v41, s29 dst_sel:DWORD dst_unused:UNUSED_PAD src0_sel:WORD_1 src1_sel:DWORD
	v_pk_fma_f16 v44, v36, v39, v44
	v_pk_fma_f16 v45, v36, v40, v45
	v_pk_fma_f16 v46, v36, v43, v46
	v_pk_fma_f16 v58, v36, v41, v34
	v_pk_fma_f16 v57, v37, v39, v57
	v_pk_fma_f16 v59, v37, v40, v38
	v_pk_fma_f16 v42, v37, v43, v42
	v_pk_fma_f16 v43, v37, v41, v35
	ds_read2_b64 v[34:37], v31 offset0:192 offset1:224
	ds_read_b128 v[38:41], v22 offset:368
	s_waitcnt lgkmcnt(0)
	v_mul_u32_u24_sdwa v31, v38, s29 dst_sel:DWORD dst_unused:UNUSED_PAD src0_sel:WORD_0 src1_sel:DWORD
	v_mul_u32_u24_sdwa v38, v38, s29 dst_sel:DWORD dst_unused:UNUSED_PAD src0_sel:WORD_1 src1_sel:DWORD
	v_mul_u32_u24_sdwa v60, v39, s29 dst_sel:DWORD dst_unused:UNUSED_PAD src0_sel:WORD_0 src1_sel:DWORD
	v_mul_u32_u24_sdwa v39, v39, s29 dst_sel:DWORD dst_unused:UNUSED_PAD src0_sel:WORD_1 src1_sel:DWORD
	v_pk_fma_f16 v44, v34, v31, v44
	v_pk_fma_f16 v45, v34, v38, v45
	;; [unrolled: 1-line block ×8, first 2 shown]
	v_mul_u32_u24_sdwa v39, v40, s29 dst_sel:DWORD dst_unused:UNUSED_PAD src0_sel:WORD_0 src1_sel:DWORD
	v_mul_u32_u24_sdwa v40, v40, s29 dst_sel:DWORD dst_unused:UNUSED_PAD src0_sel:WORD_1 src1_sel:DWORD
	v_mul_u32_u24_sdwa v43, v41, s29 dst_sel:DWORD dst_unused:UNUSED_PAD src0_sel:WORD_0 src1_sel:DWORD
	v_mul_u32_u24_sdwa v41, v41, s29 dst_sel:DWORD dst_unused:UNUSED_PAD src0_sel:WORD_1 src1_sel:DWORD
	v_pk_fma_f16 v44, v36, v39, v44
	v_pk_fma_f16 v45, v36, v40, v45
	;; [unrolled: 1-line block ×8, first 2 shown]
	ds_read2_b64 v[34:37], v32 offset1:32
	ds_read_b128 v[38:41], v22 offset:384
	s_waitcnt lgkmcnt(0)
	v_mul_u32_u24_sdwa v59, v38, s29 dst_sel:DWORD dst_unused:UNUSED_PAD src0_sel:WORD_0 src1_sel:DWORD
	v_mul_u32_u24_sdwa v38, v38, s29 dst_sel:DWORD dst_unused:UNUSED_PAD src0_sel:WORD_1 src1_sel:DWORD
	v_mul_u32_u24_sdwa v60, v39, s29 dst_sel:DWORD dst_unused:UNUSED_PAD src0_sel:WORD_0 src1_sel:DWORD
	v_mul_u32_u24_sdwa v39, v39, s29 dst_sel:DWORD dst_unused:UNUSED_PAD src0_sel:WORD_1 src1_sel:DWORD
	v_pk_fma_f16 v44, v34, v59, v44
	v_pk_fma_f16 v45, v34, v38, v45
	v_pk_fma_f16 v46, v34, v60, v46
	v_pk_fma_f16 v34, v34, v39, v57
	v_pk_fma_f16 v31, v35, v59, v31
	v_pk_fma_f16 v38, v35, v38, v58
	v_pk_fma_f16 v42, v35, v60, v42
	v_pk_fma_f16 v35, v35, v39, v43
	v_mul_u32_u24_sdwa v39, v40, s29 dst_sel:DWORD dst_unused:UNUSED_PAD src0_sel:WORD_0 src1_sel:DWORD
	v_mul_u32_u24_sdwa v40, v40, s29 dst_sel:DWORD dst_unused:UNUSED_PAD src0_sel:WORD_1 src1_sel:DWORD
	v_mul_u32_u24_sdwa v43, v41, s29 dst_sel:DWORD dst_unused:UNUSED_PAD src0_sel:WORD_0 src1_sel:DWORD
	v_mul_u32_u24_sdwa v41, v41, s29 dst_sel:DWORD dst_unused:UNUSED_PAD src0_sel:WORD_1 src1_sel:DWORD
	v_pk_fma_f16 v44, v36, v39, v44
	v_pk_fma_f16 v45, v36, v40, v45
	v_pk_fma_f16 v46, v36, v43, v46
	v_pk_fma_f16 v57, v36, v41, v34
	v_pk_fma_f16 v31, v37, v39, v31
	v_pk_fma_f16 v58, v37, v40, v38
	v_pk_fma_f16 v42, v37, v43, v42
	v_pk_fma_f16 v43, v37, v41, v35
	ds_read2_b64 v[34:37], v32 offset0:64 offset1:96
	ds_read_b128 v[38:41], v22 offset:400
	s_waitcnt lgkmcnt(0)
	v_mul_u32_u24_sdwa v59, v38, s29 dst_sel:DWORD dst_unused:UNUSED_PAD src0_sel:WORD_0 src1_sel:DWORD
	v_mul_u32_u24_sdwa v38, v38, s29 dst_sel:DWORD dst_unused:UNUSED_PAD src0_sel:WORD_1 src1_sel:DWORD
	v_mul_u32_u24_sdwa v60, v39, s29 dst_sel:DWORD dst_unused:UNUSED_PAD src0_sel:WORD_0 src1_sel:DWORD
	v_mul_u32_u24_sdwa v39, v39, s29 dst_sel:DWORD dst_unused:UNUSED_PAD src0_sel:WORD_1 src1_sel:DWORD
	v_pk_fma_f16 v44, v34, v59, v44
	v_pk_fma_f16 v45, v34, v38, v45
	v_pk_fma_f16 v46, v34, v60, v46
	v_pk_fma_f16 v34, v34, v39, v57
	v_pk_fma_f16 v31, v35, v59, v31
	v_pk_fma_f16 v38, v35, v38, v58
	v_pk_fma_f16 v42, v35, v60, v42
	v_pk_fma_f16 v35, v35, v39, v43
	v_mul_u32_u24_sdwa v39, v40, s29 dst_sel:DWORD dst_unused:UNUSED_PAD src0_sel:WORD_0 src1_sel:DWORD
	v_mul_u32_u24_sdwa v40, v40, s29 dst_sel:DWORD dst_unused:UNUSED_PAD src0_sel:WORD_1 src1_sel:DWORD
	v_mul_u32_u24_sdwa v43, v41, s29 dst_sel:DWORD dst_unused:UNUSED_PAD src0_sel:WORD_0 src1_sel:DWORD
	v_mul_u32_u24_sdwa v41, v41, s29 dst_sel:DWORD dst_unused:UNUSED_PAD src0_sel:WORD_1 src1_sel:DWORD
	v_pk_fma_f16 v44, v36, v39, v44
	v_pk_fma_f16 v45, v36, v40, v45
	v_pk_fma_f16 v46, v36, v43, v46
	v_pk_fma_f16 v57, v36, v41, v34
	v_pk_fma_f16 v31, v37, v39, v31
	v_pk_fma_f16 v58, v37, v40, v38
	v_pk_fma_f16 v42, v37, v43, v42
	v_pk_fma_f16 v43, v37, v41, v35
	ds_read2_b64 v[34:37], v32 offset0:128 offset1:160
	;; [unrolled: 27-line block ×3, first 2 shown]
	ds_read_b128 v[38:41], v22 offset:432
	s_waitcnt lgkmcnt(0)
	v_mul_u32_u24_sdwa v32, v38, s29 dst_sel:DWORD dst_unused:UNUSED_PAD src0_sel:WORD_0 src1_sel:DWORD
	v_mul_u32_u24_sdwa v38, v38, s29 dst_sel:DWORD dst_unused:UNUSED_PAD src0_sel:WORD_1 src1_sel:DWORD
	v_mul_u32_u24_sdwa v59, v39, s29 dst_sel:DWORD dst_unused:UNUSED_PAD src0_sel:WORD_0 src1_sel:DWORD
	v_mul_u32_u24_sdwa v39, v39, s29 dst_sel:DWORD dst_unused:UNUSED_PAD src0_sel:WORD_1 src1_sel:DWORD
	v_pk_fma_f16 v44, v34, v32, v44
	v_pk_fma_f16 v45, v34, v38, v45
	;; [unrolled: 1-line block ×8, first 2 shown]
	v_mul_u32_u24_sdwa v39, v40, s29 dst_sel:DWORD dst_unused:UNUSED_PAD src0_sel:WORD_0 src1_sel:DWORD
	v_mul_u32_u24_sdwa v40, v40, s29 dst_sel:DWORD dst_unused:UNUSED_PAD src0_sel:WORD_1 src1_sel:DWORD
	v_mul_u32_u24_sdwa v42, v41, s29 dst_sel:DWORD dst_unused:UNUSED_PAD src0_sel:WORD_0 src1_sel:DWORD
	v_mul_u32_u24_sdwa v41, v41, s29 dst_sel:DWORD dst_unused:UNUSED_PAD src0_sel:WORD_1 src1_sel:DWORD
	v_pk_fma_f16 v43, v36, v39, v44
	v_pk_fma_f16 v44, v36, v40, v45
	;; [unrolled: 1-line block ×8, first 2 shown]
	ds_read2_b64 v[34:37], v33 offset1:32
	ds_read_b128 v[38:41], v22 offset:448
	s_waitcnt lgkmcnt(0)
	v_mul_u32_u24_sdwa v58, v38, s29 dst_sel:DWORD dst_unused:UNUSED_PAD src0_sel:WORD_0 src1_sel:DWORD
	v_mul_u32_u24_sdwa v38, v38, s29 dst_sel:DWORD dst_unused:UNUSED_PAD src0_sel:WORD_1 src1_sel:DWORD
	v_mul_u32_u24_sdwa v59, v39, s29 dst_sel:DWORD dst_unused:UNUSED_PAD src0_sel:WORD_0 src1_sel:DWORD
	v_mul_u32_u24_sdwa v39, v39, s29 dst_sel:DWORD dst_unused:UNUSED_PAD src0_sel:WORD_1 src1_sel:DWORD
	v_pk_fma_f16 v43, v34, v58, v43
	v_pk_fma_f16 v44, v34, v38, v44
	v_pk_fma_f16 v45, v34, v59, v45
	v_pk_fma_f16 v34, v34, v39, v46
	v_pk_fma_f16 v31, v35, v58, v31
	v_pk_fma_f16 v32, v35, v38, v32
	v_pk_fma_f16 v38, v35, v59, v42
	v_pk_fma_f16 v35, v35, v39, v57
	v_mul_u32_u24_sdwa v39, v40, s29 dst_sel:DWORD dst_unused:UNUSED_PAD src0_sel:WORD_0 src1_sel:DWORD
	v_mul_u32_u24_sdwa v40, v40, s29 dst_sel:DWORD dst_unused:UNUSED_PAD src0_sel:WORD_1 src1_sel:DWORD
	v_mul_u32_u24_sdwa v42, v41, s29 dst_sel:DWORD dst_unused:UNUSED_PAD src0_sel:WORD_0 src1_sel:DWORD
	v_mul_u32_u24_sdwa v41, v41, s29 dst_sel:DWORD dst_unused:UNUSED_PAD src0_sel:WORD_1 src1_sel:DWORD
	v_pk_fma_f16 v43, v36, v39, v43
	v_pk_fma_f16 v44, v36, v40, v44
	v_pk_fma_f16 v45, v36, v42, v45
	v_pk_fma_f16 v46, v36, v41, v34
	v_pk_fma_f16 v31, v37, v39, v31
	v_pk_fma_f16 v32, v37, v40, v32
	v_pk_fma_f16 v42, v37, v42, v38
	v_pk_fma_f16 v57, v37, v41, v35
	ds_read2_b64 v[34:37], v33 offset0:64 offset1:96
	ds_read_b128 v[38:41], v22 offset:464
	s_waitcnt lgkmcnt(0)
	v_mul_u32_u24_sdwa v58, v38, s29 dst_sel:DWORD dst_unused:UNUSED_PAD src0_sel:WORD_0 src1_sel:DWORD
	v_mul_u32_u24_sdwa v38, v38, s29 dst_sel:DWORD dst_unused:UNUSED_PAD src0_sel:WORD_1 src1_sel:DWORD
	v_mul_u32_u24_sdwa v59, v39, s29 dst_sel:DWORD dst_unused:UNUSED_PAD src0_sel:WORD_0 src1_sel:DWORD
	v_mul_u32_u24_sdwa v39, v39, s29 dst_sel:DWORD dst_unused:UNUSED_PAD src0_sel:WORD_1 src1_sel:DWORD
	v_pk_fma_f16 v43, v34, v58, v43
	v_pk_fma_f16 v44, v34, v38, v44
	v_pk_fma_f16 v45, v34, v59, v45
	v_pk_fma_f16 v34, v34, v39, v46
	v_pk_fma_f16 v31, v35, v58, v31
	v_pk_fma_f16 v32, v35, v38, v32
	v_pk_fma_f16 v38, v35, v59, v42
	v_pk_fma_f16 v35, v35, v39, v57
	v_mul_u32_u24_sdwa v39, v40, s29 dst_sel:DWORD dst_unused:UNUSED_PAD src0_sel:WORD_0 src1_sel:DWORD
	v_mul_u32_u24_sdwa v40, v40, s29 dst_sel:DWORD dst_unused:UNUSED_PAD src0_sel:WORD_1 src1_sel:DWORD
	v_mul_u32_u24_sdwa v42, v41, s29 dst_sel:DWORD dst_unused:UNUSED_PAD src0_sel:WORD_0 src1_sel:DWORD
	v_mul_u32_u24_sdwa v41, v41, s29 dst_sel:DWORD dst_unused:UNUSED_PAD src0_sel:WORD_1 src1_sel:DWORD
	v_pk_fma_f16 v43, v36, v39, v43
	v_pk_fma_f16 v44, v36, v40, v44
	v_pk_fma_f16 v45, v36, v42, v45
	v_pk_fma_f16 v46, v36, v41, v34
	v_pk_fma_f16 v31, v37, v39, v31
	v_pk_fma_f16 v32, v37, v40, v32
	v_pk_fma_f16 v42, v37, v42, v38
	v_pk_fma_f16 v57, v37, v41, v35
	ds_read2_b64 v[34:37], v33 offset0:128 offset1:160
	ds_read_b128 v[38:41], v22 offset:480
	s_waitcnt lgkmcnt(0)
	v_mul_u32_u24_sdwa v58, v38, s29 dst_sel:DWORD dst_unused:UNUSED_PAD src0_sel:WORD_0 src1_sel:DWORD
	v_mul_u32_u24_sdwa v38, v38, s29 dst_sel:DWORD dst_unused:UNUSED_PAD src0_sel:WORD_1 src1_sel:DWORD
	v_mul_u32_u24_sdwa v59, v39, s29 dst_sel:DWORD dst_unused:UNUSED_PAD src0_sel:WORD_0 src1_sel:DWORD
	v_mul_u32_u24_sdwa v39, v39, s29 dst_sel:DWORD dst_unused:UNUSED_PAD src0_sel:WORD_1 src1_sel:DWORD
	v_pk_fma_f16 v43, v34, v58, v43
	v_pk_fma_f16 v44, v34, v38, v44
	v_pk_fma_f16 v45, v34, v59, v45
	v_pk_fma_f16 v34, v34, v39, v46
	v_pk_fma_f16 v31, v35, v58, v31
	v_pk_fma_f16 v32, v35, v38, v32
	v_pk_fma_f16 v38, v35, v59, v42
	v_pk_fma_f16 v35, v35, v39, v57
	v_mul_u32_u24_sdwa v39, v40, s29 dst_sel:DWORD dst_unused:UNUSED_PAD src0_sel:WORD_0 src1_sel:DWORD
	v_mul_u32_u24_sdwa v40, v40, s29 dst_sel:DWORD dst_unused:UNUSED_PAD src0_sel:WORD_1 src1_sel:DWORD
	v_mul_u32_u24_sdwa v42, v41, s29 dst_sel:DWORD dst_unused:UNUSED_PAD src0_sel:WORD_0 src1_sel:DWORD
	v_mul_u32_u24_sdwa v41, v41, s29 dst_sel:DWORD dst_unused:UNUSED_PAD src0_sel:WORD_1 src1_sel:DWORD
	v_pk_fma_f16 v43, v36, v39, v43
	v_pk_fma_f16 v44, v36, v40, v44
	v_pk_fma_f16 v45, v36, v42, v45
	v_pk_fma_f16 v46, v36, v41, v34
	v_pk_fma_f16 v57, v37, v39, v31
	v_pk_fma_f16 v40, v37, v40, v32
	v_pk_fma_f16 v42, v37, v42, v38
	v_pk_fma_f16 v35, v37, v41, v35
	ds_read2_b64 v[36:39], v33 offset0:192 offset1:224
	ds_read_b128 v[31:34], v22 offset:496
	s_waitcnt lgkmcnt(0)
	s_barrier
	s_load_dword s8, s[0:1], 0x4
	v_mul_u32_u24_sdwa v41, v31, s29 dst_sel:DWORD dst_unused:UNUSED_PAD src0_sel:WORD_0 src1_sel:DWORD
	v_mul_u32_u24_sdwa v31, v31, s29 dst_sel:DWORD dst_unused:UNUSED_PAD src0_sel:WORD_1 src1_sel:DWORD
	v_mul_u32_u24_sdwa v58, v32, s29 dst_sel:DWORD dst_unused:UNUSED_PAD src0_sel:WORD_0 src1_sel:DWORD
	v_mul_u32_u24_sdwa v32, v32, s29 dst_sel:DWORD dst_unused:UNUSED_PAD src0_sel:WORD_1 src1_sel:DWORD
	s_waitcnt lgkmcnt(0)
	s_lshl_b32 s8, s8, 6
	v_pk_fma_f16 v43, v36, v41, v43
	v_pk_fma_f16 v44, v36, v31, v44
	;; [unrolled: 1-line block ×8, first 2 shown]
	v_mul_u32_u24_sdwa v37, v33, s29 dst_sel:DWORD dst_unused:UNUSED_PAD src0_sel:WORD_0 src1_sel:DWORD
	v_mul_u32_u24_sdwa v33, v33, s29 dst_sel:DWORD dst_unused:UNUSED_PAD src0_sel:WORD_1 src1_sel:DWORD
	v_mul_u32_u24_sdwa v57, v34, s29 dst_sel:DWORD dst_unused:UNUSED_PAD src0_sel:WORD_0 src1_sel:DWORD
	v_mul_u32_u24_sdwa v58, v34, s29 dst_sel:DWORD dst_unused:UNUSED_PAD src0_sel:WORD_1 src1_sel:DWORD
	s_add_i32 s6, s8, s6
	v_pk_fma_f16 v34, v38, v37, v43
	v_pk_fma_f16 v32, v38, v33, v44
	;; [unrolled: 1-line block ×8, first 2 shown]
	s_cmp_ge_i32 s6, s30
	s_cbranch_scc1 .LBB76_7
; %bb.45:                               ;   in Loop: Header=BB76_12 Depth=1
	v_mov_b32_e32 v46, v1
	v_mov_b32_e32 v44, v2
	;; [unrolled: 1-line block ×8, first 2 shown]
	s_branch .LBB76_12
.LBB76_46:
	v_mov_b32_e32 v12, v8
	v_mov_b32_e32 v11, v7
	;; [unrolled: 1-line block ×4, first 2 shown]
	v_cmp_gt_i32_e32 vcc, s2, v14
	s_and_saveexec_b64 s[0:1], vcc
	s_cbranch_execz .LBB76_9
.LBB76_47:
	s_load_dword s6, s[4:5], 0xd4
	v_mov_b32_e32 v16, 1.0
	s_waitcnt lgkmcnt(0)
	s_cmp_lg_u32 s6, 1
	s_cselect_b64 s[0:1], -1, 0
	s_cmp_eq_u32 s6, 1
	s_cselect_b64 s[4:5], -1, 0
	s_and_b64 vcc, exec, s[0:1]
	s_cbranch_vccnz .LBB76_49
; %bb.48:
	v_div_scale_f32 v13, s[8:9], v5, v5, 1.0
	v_div_scale_f32 v16, vcc, 1.0, v5, 1.0
	v_rcp_f32_e32 v17, v13
	v_fma_f32 v18, -v13, v17, 1.0
	v_fmac_f32_e32 v17, v18, v17
	v_mul_f32_e32 v18, v16, v17
	v_fma_f32 v19, -v13, v18, v16
	v_fmac_f32_e32 v18, v19, v17
	v_fma_f32 v13, -v13, v18, v16
	v_div_fmas_f32 v13, v13, v17, v18
	v_div_fixup_f32 v16, v13, v5, 1.0
.LBB76_49:
	s_mul_i32 s33, s33, s2
	v_add_u32_e32 v5, s33, v14
	v_mul_lo_u32 v5, v5, s3
	v_cmp_eq_u32_e32 vcc, 0, v0
	v_cvt_f32_f16_e32 v0, v34
	v_mov_b32_e32 v22, 0
	v_add_u32_e32 v5, s28, v5
	v_mul_lo_u32 v5, s6, v5
	v_cvt_f32_f16_sdwa v14, v34 dst_sel:DWORD dst_unused:UNUSED_PAD src0_sel:WORD_1
	v_cvt_f32_f16_e32 v19, v38
	s_and_b64 s[2:3], vcc, s[0:1]
	v_add_u32_e32 v13, s7, v5
	v_lshl_add_u32 v21, v13, 7, v15
	v_cvt_f32_f16_sdwa v5, v38 dst_sel:DWORD dst_unused:UNUSED_PAD src0_sel:WORD_1
	v_lshlrev_b64 v[21:22], 2, v[21:22]
	v_mul_f32_e32 v17, v16, v0
	v_mov_b32_e32 v0, s21
	v_add_co_u32_e32 v21, vcc, s20, v21
	v_mul_f32_e32 v18, v16, v14
	v_mul_f32_e32 v19, v16, v19
	;; [unrolled: 1-line block ×3, first 2 shown]
	v_addc_co_u32_e32 v22, vcc, v0, v22, vcc
	global_store_dwordx4 v[21:22], v[17:20], off
	s_and_saveexec_b64 s[0:1], s[2:3]
	s_cbranch_execz .LBB76_51
; %bb.50:
	v_ashrrev_i32_e32 v14, 31, v13
	v_lshlrev_b64 v[16:17], 3, v[13:14]
	v_mov_b32_e32 v0, s23
	v_add_co_u32_e32 v16, vcc, s22, v16
	v_addc_co_u32_e32 v17, vcc, v0, v17, vcc
	v_mov_b32_e32 v0, v1
	v_mov_b32_e32 v1, v9
	global_store_dwordx2 v[16:17], v[0:1], off
.LBB76_51:
	s_or_b64 exec, exec, s[0:1]
	v_cndmask_b32_e64 v0, 0, 1, s[4:5]
	v_cmp_ne_u32_e64 s[0:1], 1, v0
	s_andn2_b64 vcc, exec, s[4:5]
	v_mov_b32_e32 v1, 1.0
	s_cbranch_vccnz .LBB76_53
; %bb.52:
	v_div_scale_f32 v0, s[4:5], v6, v6, 1.0
	v_div_scale_f32 v1, vcc, 1.0, v6, 1.0
	v_rcp_f32_e32 v5, v0
	v_fma_f32 v9, -v0, v5, 1.0
	v_fmac_f32_e32 v5, v9, v5
	v_mul_f32_e32 v9, v1, v5
	v_fma_f32 v14, -v0, v9, v1
	v_fmac_f32_e32 v9, v14, v5
	v_fma_f32 v0, -v0, v9, v1
	v_div_fmas_f32 v0, v0, v5, v9
	v_div_fixup_f32 v1, v0, v6, 1.0
.LBB76_53:
	v_add_u32_e32 v0, s6, v13
	v_cvt_f32_f16_e32 v9, v32
	v_cvt_f32_f16_sdwa v13, v32 dst_sel:DWORD dst_unused:UNUSED_PAD src0_sel:WORD_1
	v_cvt_f32_f16_e32 v14, v37
	v_cvt_f32_f16_sdwa v19, v37 dst_sel:DWORD dst_unused:UNUSED_PAD src0_sel:WORD_1
	v_lshl_add_u32 v5, v0, 7, v15
	v_mov_b32_e32 v6, 0
	v_lshlrev_b64 v[5:6], 2, v[5:6]
	v_mul_f32_e32 v16, v1, v9
	v_mul_f32_e32 v17, v1, v13
	;; [unrolled: 1-line block ×4, first 2 shown]
	v_mov_b32_e32 v1, s21
	v_add_co_u32_e32 v5, vcc, s20, v5
	v_addc_co_u32_e32 v6, vcc, v1, v6, vcc
	global_store_dwordx4 v[5:6], v[16:19], off
	s_and_saveexec_b64 s[4:5], s[2:3]
	s_cbranch_execz .LBB76_55
; %bb.54:
	v_ashrrev_i32_e32 v1, 31, v0
	v_lshlrev_b64 v[5:6], 3, v[0:1]
	v_mov_b32_e32 v1, s23
	v_add_co_u32_e32 v5, vcc, s22, v5
	v_addc_co_u32_e32 v6, vcc, v1, v6, vcc
	v_mov_b32_e32 v9, v2
	global_store_dwordx2 v[5:6], v[9:10], off
.LBB76_55:
	s_or_b64 exec, exec, s[4:5]
	s_and_b64 vcc, exec, s[0:1]
	v_mov_b32_e32 v1, 1.0
	s_cbranch_vccnz .LBB76_57
; %bb.56:
	v_div_scale_f32 v1, s[4:5], v7, v7, 1.0
	v_div_scale_f32 v2, vcc, 1.0, v7, 1.0
	v_rcp_f32_e32 v5, v1
	v_fma_f32 v6, -v1, v5, 1.0
	v_fmac_f32_e32 v5, v6, v5
	v_mul_f32_e32 v6, v2, v5
	v_fma_f32 v9, -v1, v6, v2
	v_fmac_f32_e32 v6, v9, v5
	v_fma_f32 v1, -v1, v6, v2
	v_div_fmas_f32 v1, v1, v5, v6
	v_div_fixup_f32 v1, v1, v7, 1.0
.LBB76_57:
	v_cvt_f32_f16_e32 v2, v31
	v_cvt_f32_f16_sdwa v7, v31 dst_sel:DWORD dst_unused:UNUSED_PAD src0_sel:WORD_1
	v_cvt_f32_f16_e32 v9, v36
	v_cvt_f32_f16_sdwa v10, v36 dst_sel:DWORD dst_unused:UNUSED_PAD src0_sel:WORD_1
	v_add_u32_e32 v0, s6, v0
	v_lshl_add_u32 v5, v0, 7, v15
	v_mov_b32_e32 v6, 0
	v_mul_f32_e32 v16, v1, v2
	v_mul_f32_e32 v17, v1, v7
	;; [unrolled: 1-line block ×4, first 2 shown]
	v_lshlrev_b64 v[1:2], 2, v[5:6]
	v_mov_b32_e32 v5, s21
	v_add_co_u32_e32 v1, vcc, s20, v1
	v_addc_co_u32_e32 v2, vcc, v5, v2, vcc
	global_store_dwordx4 v[1:2], v[16:19], off
	s_and_saveexec_b64 s[4:5], s[2:3]
	s_cbranch_execz .LBB76_59
; %bb.58:
	v_ashrrev_i32_e32 v1, 31, v0
	v_lshlrev_b64 v[1:2], 3, v[0:1]
	v_mov_b32_e32 v5, s23
	v_add_co_u32_e32 v1, vcc, s22, v1
	v_addc_co_u32_e32 v2, vcc, v5, v2, vcc
	v_mov_b32_e32 v10, v3
	global_store_dwordx2 v[1:2], v[10:11], off
.LBB76_59:
	s_or_b64 exec, exec, s[4:5]
	s_and_b64 vcc, exec, s[0:1]
	v_mov_b32_e32 v1, 1.0
	s_cbranch_vccnz .LBB76_61
; %bb.60:
	v_div_scale_f32 v1, s[0:1], v8, v8, 1.0
	v_div_scale_f32 v2, vcc, 1.0, v8, 1.0
	v_rcp_f32_e32 v3, v1
	v_fma_f32 v5, -v1, v3, 1.0
	v_fmac_f32_e32 v3, v5, v3
	v_mul_f32_e32 v5, v2, v3
	v_fma_f32 v6, -v1, v5, v2
	v_fmac_f32_e32 v5, v6, v3
	v_fma_f32 v1, -v1, v5, v2
	v_div_fmas_f32 v1, v1, v3, v5
	v_div_fixup_f32 v1, v1, v8, 1.0
.LBB76_61:
	v_cvt_f32_f16_e32 v5, v35
	v_cvt_f32_f16_sdwa v6, v35 dst_sel:DWORD dst_unused:UNUSED_PAD src0_sel:WORD_1
	v_cvt_f32_f16_e32 v7, v33
	v_cvt_f32_f16_sdwa v8, v33 dst_sel:DWORD dst_unused:UNUSED_PAD src0_sel:WORD_1
	v_add_u32_e32 v0, s6, v0
	v_lshl_add_u32 v2, v0, 7, v15
	v_mov_b32_e32 v3, 0
	v_mul_f32_e32 v5, v1, v5
	v_mul_f32_e32 v6, v1, v6
	;; [unrolled: 1-line block ×4, first 2 shown]
	v_lshlrev_b64 v[1:2], 2, v[2:3]
	v_mov_b32_e32 v3, s21
	v_add_co_u32_e32 v1, vcc, s20, v1
	v_addc_co_u32_e32 v2, vcc, v3, v2, vcc
	global_store_dwordx4 v[1:2], v[5:8], off
	s_and_b64 exec, exec, s[2:3]
	s_cbranch_execz .LBB76_9
; %bb.62:
	v_ashrrev_i32_e32 v1, 31, v0
	v_lshlrev_b64 v[0:1], 3, v[0:1]
	v_mov_b32_e32 v2, s23
	v_add_co_u32_e32 v0, vcc, s22, v0
	v_addc_co_u32_e32 v1, vcc, v2, v1, vcc
	v_mov_b32_e32 v11, v4
	global_store_dwordx2 v[0:1], v[11:12], off
	s_endpgm
	.section	.rodata,"a",@progbits
	.p2align	6, 0x0
	.amdhsa_kernel _ZL15flash_attn_tileILi128ELi128ELi8ELi4ELb1EEvPKcS1_S1_S1_S1_PKiPfP15HIP_vector_typeIfLj2EEffffjfiS5_IjLj3EEiiiiiiiiiiiliiliiiiil
		.amdhsa_group_segment_fixed_size 21504
		.amdhsa_private_segment_fixed_size 0
		.amdhsa_kernarg_size 464
		.amdhsa_user_sgpr_count 6
		.amdhsa_user_sgpr_private_segment_buffer 1
		.amdhsa_user_sgpr_dispatch_ptr 0
		.amdhsa_user_sgpr_queue_ptr 0
		.amdhsa_user_sgpr_kernarg_segment_ptr 1
		.amdhsa_user_sgpr_dispatch_id 0
		.amdhsa_user_sgpr_flat_scratch_init 0
		.amdhsa_user_sgpr_private_segment_size 0
		.amdhsa_uses_dynamic_stack 0
		.amdhsa_system_sgpr_private_segment_wavefront_offset 0
		.amdhsa_system_sgpr_workgroup_id_x 1
		.amdhsa_system_sgpr_workgroup_id_y 1
		.amdhsa_system_sgpr_workgroup_id_z 1
		.amdhsa_system_sgpr_workgroup_info 0
		.amdhsa_system_vgpr_workitem_id 1
		.amdhsa_next_free_vgpr 79
		.amdhsa_next_free_sgpr 98
		.amdhsa_reserve_vcc 1
		.amdhsa_reserve_flat_scratch 0
		.amdhsa_float_round_mode_32 0
		.amdhsa_float_round_mode_16_64 0
		.amdhsa_float_denorm_mode_32 3
		.amdhsa_float_denorm_mode_16_64 3
		.amdhsa_dx10_clamp 1
		.amdhsa_ieee_mode 1
		.amdhsa_fp16_overflow 0
		.amdhsa_exception_fp_ieee_invalid_op 0
		.amdhsa_exception_fp_denorm_src 0
		.amdhsa_exception_fp_ieee_div_zero 0
		.amdhsa_exception_fp_ieee_overflow 0
		.amdhsa_exception_fp_ieee_underflow 0
		.amdhsa_exception_fp_ieee_inexact 0
		.amdhsa_exception_int_div_zero 0
	.end_amdhsa_kernel
	.section	.text._ZL15flash_attn_tileILi128ELi128ELi8ELi4ELb1EEvPKcS1_S1_S1_S1_PKiPfP15HIP_vector_typeIfLj2EEffffjfiS5_IjLj3EEiiiiiiiiiiiliiliiiiil,"axG",@progbits,_ZL15flash_attn_tileILi128ELi128ELi8ELi4ELb1EEvPKcS1_S1_S1_S1_PKiPfP15HIP_vector_typeIfLj2EEffffjfiS5_IjLj3EEiiiiiiiiiiiliiliiiiil,comdat
.Lfunc_end76:
	.size	_ZL15flash_attn_tileILi128ELi128ELi8ELi4ELb1EEvPKcS1_S1_S1_S1_PKiPfP15HIP_vector_typeIfLj2EEffffjfiS5_IjLj3EEiiiiiiiiiiiliiliiiiil, .Lfunc_end76-_ZL15flash_attn_tileILi128ELi128ELi8ELi4ELb1EEvPKcS1_S1_S1_S1_PKiPfP15HIP_vector_typeIfLj2EEffffjfiS5_IjLj3EEiiiiiiiiiiiliiliiiiil
                                        ; -- End function
	.set _ZL15flash_attn_tileILi128ELi128ELi8ELi4ELb1EEvPKcS1_S1_S1_S1_PKiPfP15HIP_vector_typeIfLj2EEffffjfiS5_IjLj3EEiiiiiiiiiiiliiliiiiil.num_vgpr, 79
	.set _ZL15flash_attn_tileILi128ELi128ELi8ELi4ELb1EEvPKcS1_S1_S1_S1_PKiPfP15HIP_vector_typeIfLj2EEffffjfiS5_IjLj3EEiiiiiiiiiiiliiliiiiil.num_agpr, 0
	.set _ZL15flash_attn_tileILi128ELi128ELi8ELi4ELb1EEvPKcS1_S1_S1_S1_PKiPfP15HIP_vector_typeIfLj2EEffffjfiS5_IjLj3EEiiiiiiiiiiiliiliiiiil.numbered_sgpr, 40
	.set _ZL15flash_attn_tileILi128ELi128ELi8ELi4ELb1EEvPKcS1_S1_S1_S1_PKiPfP15HIP_vector_typeIfLj2EEffffjfiS5_IjLj3EEiiiiiiiiiiiliiliiiiil.num_named_barrier, 0
	.set _ZL15flash_attn_tileILi128ELi128ELi8ELi4ELb1EEvPKcS1_S1_S1_S1_PKiPfP15HIP_vector_typeIfLj2EEffffjfiS5_IjLj3EEiiiiiiiiiiiliiliiiiil.private_seg_size, 0
	.set _ZL15flash_attn_tileILi128ELi128ELi8ELi4ELb1EEvPKcS1_S1_S1_S1_PKiPfP15HIP_vector_typeIfLj2EEffffjfiS5_IjLj3EEiiiiiiiiiiiliiliiiiil.uses_vcc, 1
	.set _ZL15flash_attn_tileILi128ELi128ELi8ELi4ELb1EEvPKcS1_S1_S1_S1_PKiPfP15HIP_vector_typeIfLj2EEffffjfiS5_IjLj3EEiiiiiiiiiiiliiliiiiil.uses_flat_scratch, 0
	.set _ZL15flash_attn_tileILi128ELi128ELi8ELi4ELb1EEvPKcS1_S1_S1_S1_PKiPfP15HIP_vector_typeIfLj2EEffffjfiS5_IjLj3EEiiiiiiiiiiiliiliiiiil.has_dyn_sized_stack, 0
	.set _ZL15flash_attn_tileILi128ELi128ELi8ELi4ELb1EEvPKcS1_S1_S1_S1_PKiPfP15HIP_vector_typeIfLj2EEffffjfiS5_IjLj3EEiiiiiiiiiiiliiliiiiil.has_recursion, 0
	.set _ZL15flash_attn_tileILi128ELi128ELi8ELi4ELb1EEvPKcS1_S1_S1_S1_PKiPfP15HIP_vector_typeIfLj2EEffffjfiS5_IjLj3EEiiiiiiiiiiiliiliiiiil.has_indirect_call, 0
	.section	.AMDGPU.csdata,"",@progbits
; Kernel info:
; codeLenInByte = 19844
; TotalNumSgprs: 44
; NumVgprs: 79
; ScratchSize: 0
; MemoryBound: 0
; FloatMode: 240
; IeeeMode: 1
; LDSByteSize: 21504 bytes/workgroup (compile time only)
; SGPRBlocks: 12
; VGPRBlocks: 19
; NumSGPRsForWavesPerEU: 102
; NumVGPRsForWavesPerEU: 79
; Occupancy: 3
; WaveLimiterHint : 1
; COMPUTE_PGM_RSRC2:SCRATCH_EN: 0
; COMPUTE_PGM_RSRC2:USER_SGPR: 6
; COMPUTE_PGM_RSRC2:TRAP_HANDLER: 0
; COMPUTE_PGM_RSRC2:TGID_X_EN: 1
; COMPUTE_PGM_RSRC2:TGID_Y_EN: 1
; COMPUTE_PGM_RSRC2:TGID_Z_EN: 1
; COMPUTE_PGM_RSRC2:TIDIG_COMP_CNT: 1
	.section	.text._ZL15flash_attn_tileILi128ELi128ELi4ELi4ELb1EEvPKcS1_S1_S1_S1_PKiPfP15HIP_vector_typeIfLj2EEffffjfiS5_IjLj3EEiiiiiiiiiiiliiliiiiil,"axG",@progbits,_ZL15flash_attn_tileILi128ELi128ELi4ELi4ELb1EEvPKcS1_S1_S1_S1_PKiPfP15HIP_vector_typeIfLj2EEffffjfiS5_IjLj3EEiiiiiiiiiiiliiliiiiil,comdat
	.globl	_ZL15flash_attn_tileILi128ELi128ELi4ELi4ELb1EEvPKcS1_S1_S1_S1_PKiPfP15HIP_vector_typeIfLj2EEffffjfiS5_IjLj3EEiiiiiiiiiiiliiliiiiil ; -- Begin function _ZL15flash_attn_tileILi128ELi128ELi4ELi4ELb1EEvPKcS1_S1_S1_S1_PKiPfP15HIP_vector_typeIfLj2EEffffjfiS5_IjLj3EEiiiiiiiiiiiliiliiiiil
	.p2align	8
	.type	_ZL15flash_attn_tileILi128ELi128ELi4ELi4ELb1EEvPKcS1_S1_S1_S1_PKiPfP15HIP_vector_typeIfLj2EEffffjfiS5_IjLj3EEiiiiiiiiiiiliiliiiiil,@function
_ZL15flash_attn_tileILi128ELi128ELi4ELi4ELb1EEvPKcS1_S1_S1_S1_PKiPfP15HIP_vector_typeIfLj2EEffffjfiS5_IjLj3EEiiiiiiiiiiiliiliiiiil: ; @_ZL15flash_attn_tileILi128ELi128ELi4ELi4ELb1EEvPKcS1_S1_S1_S1_PKiPfP15HIP_vector_typeIfLj2EEffffjfiS5_IjLj3EEiiiiiiiiiiiliiliiiiil
; %bb.0:
	s_load_dwordx4 s[0:3], s[4:5], 0x5c
	s_load_dwordx2 s[28:29], s[4:5], 0x80
	s_load_dwordx2 s[34:35], s[4:5], 0xb8
	s_mov_b64 s[30:31], 0
	s_waitcnt lgkmcnt(0)
	s_ashr_i32 s9, s3, 31
	s_lshr_b32 s9, s9, 30
	s_add_i32 s9, s3, s9
	s_ashr_i32 s9, s9, 2
	v_cvt_f32_u32_e32 v2, s9
	s_sub_i32 s10, 0, s9
	v_rcp_iflag_f32_e32 v2, v2
	v_mul_f32_e32 v2, 0x4f7ffffe, v2
	v_cvt_u32_f32_e32 v2, v2
	v_readfirstlane_b32 s11, v2
	s_mul_i32 s10, s10, s11
	s_mul_hi_u32 s10, s11, s10
	s_add_i32 s11, s11, s10
	s_mul_hi_u32 s10, s8, s11
	s_mul_i32 s11, s10, s9
	s_sub_i32 s11, s8, s11
	s_add_i32 s12, s10, 1
	s_sub_i32 s13, s11, s9
	s_cmp_ge_u32 s11, s9
	s_cselect_b32 s10, s12, s10
	s_cselect_b32 s11, s13, s11
	s_add_i32 s12, s10, 1
	s_cmp_ge_u32 s11, s9
	s_cselect_b32 s33, s12, s10
	s_abs_i32 s9, s29
	v_cvt_f32_u32_e32 v2, s9
	s_lshl_b32 s8, s8, 2
	s_mul_i32 s12, s33, s3
	s_xor_b32 s10, s3, s29
	v_rcp_iflag_f32_e32 v2, v2
	s_sub_i32 s13, 0, s9
	s_sub_i32 s29, s8, s12
	s_abs_i32 s11, s3
	v_mul_f32_e32 v2, 0x4f7ffffe, v2
	v_cvt_u32_f32_e32 v2, v2
	s_ashr_i32 s10, s10, 31
	v_readfirstlane_b32 s8, v2
	s_mul_i32 s13, s13, s8
	s_mul_hi_u32 s12, s8, s13
	s_add_i32 s8, s8, s12
	s_mul_hi_u32 s8, s11, s8
	s_mul_i32 s12, s8, s9
	s_sub_i32 s11, s11, s12
	s_add_i32 s13, s8, 1
	s_sub_i32 s12, s11, s9
	s_cmp_ge_u32 s11, s9
	s_cselect_b32 s8, s13, s8
	s_cselect_b32 s11, s12, s11
	s_add_i32 s12, s8, 1
	s_cmp_ge_u32 s11, s9
	s_cselect_b32 s8, s12, s8
	s_xor_b32 s8, s8, s10
	s_sub_i32 s37, s8, s10
	s_abs_i32 s36, s37
	v_cvt_f32_u32_e32 v2, s36
	s_load_dwordx16 s[8:23], s[4:5], 0x0
	v_rcp_iflag_f32_e32 v2, v2
	s_waitcnt lgkmcnt(0)
	s_cmp_eq_u64 s[14:15], 0
	v_mul_f32_e32 v2, 0x4f7ffffe, v2
	v_cvt_u32_f32_e32 v2, v2
	v_readfirstlane_b32 s24, v2
	s_cbranch_scc1 .LBB77_2
; %bb.1:
	s_abs_i32 s25, s34
	v_cvt_f32_u32_e32 v2, s25
	s_sub_i32 s34, 0, s25
	s_abs_i32 s31, s33
	s_ashr_i32 s30, s33, 31
	v_rcp_iflag_f32_e32 v2, v2
	s_load_dwordx2 s[26:27], s[4:5], 0xc8
	v_mul_f32_e32 v2, 0x4f7ffffe, v2
	v_cvt_u32_f32_e32 v2, v2
	v_readfirstlane_b32 s38, v2
	s_mul_i32 s34, s34, s38
	s_mul_hi_u32 s34, s38, s34
	s_add_i32 s38, s38, s34
	s_mul_hi_u32 s34, s31, s38
	s_mul_i32 s34, s34, s25
	s_sub_i32 s31, s31, s34
	s_sub_i32 s34, s31, s25
	s_cmp_ge_u32 s31, s25
	s_cselect_b32 s31, s34, s31
	s_sub_i32 s34, s31, s25
	s_cmp_ge_u32 s31, s25
	s_cselect_b32 s25, s34, s31
	s_xor_b32 s25, s25, s30
	s_sub_i32 s25, s25, s30
	s_ashr_i32 s30, s25, 31
	s_waitcnt lgkmcnt(0)
	s_mul_hi_u32 s31, s26, s25
	s_mul_i32 s30, s26, s30
	s_mul_i32 s27, s27, s25
	s_add_i32 s30, s31, s30
	s_add_i32 s27, s30, s27
	s_mul_i32 s25, s26, s25
	s_add_u32 s30, s14, s25
	s_addc_u32 s31, s15, s27
.LBB77_2:
	v_lshrrev_b32_e32 v2, 1, v1
	s_load_dwordx4 s[40:43], s[4:5], 0x70
	v_lshl_add_u32 v21, s6, 2, v2
	v_mul_hi_u32 v2, s0, v21
	v_lshlrev_b32_e32 v8, 4, v0
	v_lshlrev_b32_e32 v24, 3, v0
	s_waitcnt lgkmcnt(0)
	s_mul_i32 s0, s33, s42
	v_add_u32_e32 v2, v21, v2
	s_ashr_i32 s15, s0, 31
	v_lshrrev_b32_e32 v2, s1, v2
	s_mul_i32 s14, s29, s41
	s_add_u32 s0, s8, s0
	v_mul_lo_u32 v2, v2, s2
	s_addc_u32 s8, s9, s15
	s_ashr_i32 s9, s14, 31
	s_add_u32 s14, s0, s14
	s_addc_u32 s15, s8, s9
	s_ashr_i32 s1, s41, 31
	s_mov_b32 s0, s41
	s_ashr_i32 s41, s40, 31
	v_sub_u32_e32 v2, v21, v2
	s_lshr_b64 s[8:9], s[40:41], 2
	v_mad_u64_u32 v[4:5], s[8:9], s8, v2, 0
	s_lshr_b32 s8, s41, 2
	v_mov_b32_e32 v3, v5
	v_mad_u64_u32 v[5:6], s[8:9], s8, v2, v[3:4]
	v_lshlrev_b32_e32 v3, 1, v1
	v_or_b32_e32 v13, 1, v3
	v_lshlrev_b64 v[4:5], 2, v[4:5]
	s_lshr_b64 s[8:9], s[0:1], 2
	v_and_b32_e32 v12, 3, v13
	v_mov_b32_e32 v6, s15
	v_add_co_u32_e32 v7, vcc, s14, v4
	v_and_b32_e32 v22, 2, v3
	s_lshr_b32 s9, s1, 2
	v_mad_u64_u32 v[9:10], s[0:1], s8, v12, 0
	v_addc_co_u32_e32 v6, vcc, v6, v5, vcc
	v_mul_lo_u32 v11, s9, v22
	v_mad_u64_u32 v[4:5], s[0:1], s8, v22, 0
	v_add_co_u32_e32 v14, vcc, v7, v8
	v_addc_co_u32_e32 v15, vcc, 0, v6, vcc
	v_mov_b32_e32 v6, v10
	v_or_b32_e32 v5, v5, v11
	v_mad_u64_u32 v[10:11], s[0:1], s9, v12, v[6:7]
	v_lshlrev_b64 v[4:5], 2, v[4:5]
	s_load_dword s0, s[4:5], 0x40
	v_add_co_u32_e32 v4, vcc, v14, v4
	v_lshlrev_b64 v[9:10], 2, v[9:10]
	v_addc_co_u32_e32 v5, vcc, v15, v5, vcc
	v_add_co_u32_e32 v9, vcc, v14, v9
	global_load_dwordx4 v[5:8], v[4:5], off
	v_addc_co_u32_e32 v10, vcc, v15, v10, vcc
	global_load_dwordx4 v[9:12], v[9:10], off
	v_lshlrev_b32_e32 v4, 9, v1
	v_add_u32_e32 v14, 0x4400, v24
	v_add_u32_e32 v15, v14, v4
	s_cmp_eq_u64 s[18:19], 0
	v_lshl_add_u32 v13, v13, 8, v14
	s_waitcnt vmcnt(1) lgkmcnt(0)
	v_fma_mixlo_f16 v5, s0, v5, 0
	v_fma_mixlo_f16 v6, s0, v6, 0
	;; [unrolled: 1-line block ×4, first 2 shown]
	s_waitcnt vmcnt(0)
	v_fma_mixlo_f16 v9, s0, v9, 0
	v_fma_mixlo_f16 v10, s0, v10, 0
	v_lshlrev_b32_e32 v6, 16, v6
	v_and_b32_e32 v5, 0xffff, v5
	v_fma_mixlo_f16 v11, s0, v11, 0
	v_fma_mixlo_f16 v12, s0, v12, 0
	v_lshlrev_b32_e32 v8, 16, v8
	v_and_b32_e32 v7, 0xffff, v7
	v_lshlrev_b32_e32 v10, 16, v10
	v_and_b32_e32 v9, 0xffff, v9
	v_or_b32_e32 v5, v6, v5
	v_lshlrev_b32_e32 v12, 16, v12
	v_and_b32_e32 v11, 0xffff, v11
	v_or3_b32 v6, v8, v7, 0
	v_or_b32_e32 v7, v10, v9
	v_or3_b32 v5, 0, 0, v5
	v_or3_b32 v8, v12, v11, 0
	;; [unrolled: 1-line block ×3, first 2 shown]
	ds_write_b64 v15, v[5:6]
	ds_write_b64 v13, v[7:8]
	s_waitcnt lgkmcnt(0)
	s_barrier
	s_cbranch_scc1 .LBB77_4
; %bb.3:
	s_load_dword s0, s[4:5], 0xd0
	s_mov_b32 s1, 0
	s_waitcnt lgkmcnt(0)
	s_mul_i32 s0, s0, s33
	s_add_i32 s0, s0, s6
	s_lshl_b64 s[0:1], s[0:1], 2
	s_add_u32 s0, s18, s0
	s_addc_u32 s1, s19, s1
	s_load_dword s28, s[0:1], 0x0
.LBB77_4:
	s_lshl_b32 s6, s7, 6
	s_waitcnt lgkmcnt(0)
	s_cmp_lt_i32 s6, s28
	v_mbcnt_lo_u32_b32 v19, -1, 0
	s_cbranch_scc1 .LBB77_10
; %bb.5:
	v_mbcnt_hi_u32_b32 v25, -1, v19
	v_and_b32_e32 v5, 0x60, v25
	v_add_u32_e32 v51, 32, v5
	v_xor_b32_e32 v56, 16, v25
	v_xor_b32_e32 v52, 8, v25
	;; [unrolled: 1-line block ×5, first 2 shown]
	v_lshlrev_b32_e32 v23, 2, v0
	s_cbranch_execz .LBB77_11
; %bb.6:
	v_mov_b32_e32 v43, 0
	v_mov_b32_e32 v50, 0
	;; [unrolled: 1-line block ×8, first 2 shown]
.LBB77_7:
	v_cmp_lt_i32_e32 vcc, v56, v51
	v_cndmask_b32_e32 v1, v25, v56, vcc
	v_lshlrev_b32_e32 v1, 2, v1
	ds_bpermute_b32 v2, v1, v49
	ds_bpermute_b32 v1, v1, v50
	v_cmp_lt_i32_e32 vcc, v52, v51
	v_cndmask_b32_e32 v3, v25, v52, vcc
	v_lshlrev_b32_e32 v3, 2, v3
	s_waitcnt lgkmcnt(1)
	v_add_f32_e32 v2, v49, v2
	s_waitcnt lgkmcnt(0)
	v_add_f32_e32 v1, v50, v1
	ds_bpermute_b32 v4, v3, v2
	ds_bpermute_b32 v3, v3, v1
	v_cmp_lt_i32_e32 vcc, v53, v51
	v_cndmask_b32_e32 v5, v25, v53, vcc
	v_lshlrev_b32_e32 v5, 2, v5
	s_waitcnt lgkmcnt(1)
	v_add_f32_e32 v2, v2, v4
	s_waitcnt lgkmcnt(0)
	v_add_f32_e32 v1, v1, v3
	;; [unrolled: 9-line block ×4, first 2 shown]
	ds_bpermute_b32 v4, v5, v2
	ds_bpermute_b32 v5, v5, v3
	s_cmp_lg_u64 s[16:17], 0
	s_cselect_b64 s[0:1], -1, 0
	s_cmp_eq_u32 s7, 0
	s_cselect_b64 s[8:9], -1, 0
	s_and_b64 s[0:1], s[8:9], s[0:1]
	s_waitcnt lgkmcnt(1)
	v_add_f32_e32 v1, v2, v4
	s_waitcnt lgkmcnt(0)
	v_add_f32_e32 v2, v3, v5
	s_and_b64 vcc, exec, s[0:1]
	s_cbranch_vccz .LBB77_30
; %bb.8:
	v_add_u32_e32 v3, s29, v22
	v_ashrrev_i32_e32 v4, 31, v3
	v_lshlrev_b64 v[3:4], 2, v[3:4]
	v_mov_b32_e32 v5, s17
	v_add_co_u32_e32 v3, vcc, s16, v3
	v_addc_co_u32_e32 v4, vcc, v5, v4, vcc
	global_load_dwordx2 v[3:4], v[3:4], off
	v_max_f32_e32 v5, v19, v19
	v_max_f32_e32 v6, v20, v20
	s_mov_b32 s0, 0x3fb8aa3b
	s_mov_b32 s1, 0xc2ce8ed0
	;; [unrolled: 1-line block ×3, first 2 shown]
	v_mov_b32_e32 v7, 0x7f800000
	s_waitcnt vmcnt(0)
	v_max_f32_e32 v8, v3, v3
	v_max_f32_e32 v9, v4, v4
	;; [unrolled: 1-line block ×4, first 2 shown]
	v_sub_f32_e32 v8, v19, v5
	v_sub_f32_e32 v9, v20, v6
	v_mov_b32_e32 v20, v6
	v_sub_f32_e32 v3, v3, v5
	v_mov_b32_e32 v19, v5
	v_mul_f32_e32 v5, 0x3fb8aa3b, v8
	v_sub_f32_e32 v4, v4, v6
	v_mul_f32_e32 v6, 0x3fb8aa3b, v3
	v_fma_f32 v12, v8, s0, -v5
	v_rndne_f32_e32 v13, v5
	v_mul_f32_e32 v10, 0x3fb8aa3b, v9
	v_fma_f32 v14, v3, s0, -v6
	v_rndne_f32_e32 v15, v6
	v_fmac_f32_e32 v12, 0x32a5705f, v8
	v_sub_f32_e32 v5, v5, v13
	v_mul_f32_e32 v11, 0x3fb8aa3b, v4
	v_fma_f32 v16, v9, s0, -v10
	v_rndne_f32_e32 v17, v10
	v_fmac_f32_e32 v14, 0x32a5705f, v3
	v_sub_f32_e32 v6, v6, v15
	v_add_f32_e32 v5, v5, v12
	v_fma_f32 v18, v4, s0, -v11
	v_rndne_f32_e32 v24, v11
	v_cvt_i32_f32_e32 v13, v13
	v_fmac_f32_e32 v16, 0x32a5705f, v9
	v_sub_f32_e32 v10, v10, v17
	v_add_f32_e32 v6, v6, v14
	v_exp_f32_e32 v5, v5
	v_cvt_i32_f32_e32 v15, v15
	v_fmac_f32_e32 v18, 0x32a5705f, v4
	v_sub_f32_e32 v11, v11, v24
	v_add_f32_e32 v10, v10, v16
	v_exp_f32_e32 v6, v6
	v_cvt_i32_f32_e32 v17, v17
	v_add_f32_e32 v11, v11, v18
	v_exp_f32_e32 v10, v10
	v_cvt_i32_f32_e32 v24, v24
	v_exp_f32_e32 v11, v11
	v_ldexp_f32 v5, v5, v13
	v_cmp_ngt_f32_e32 vcc, s1, v8
	v_ldexp_f32 v6, v6, v15
	v_cndmask_b32_e32 v5, 0, v5, vcc
	v_cmp_ngt_f32_e32 vcc, s1, v3
	v_ldexp_f32 v10, v10, v17
	v_cndmask_b32_e32 v6, 0, v6, vcc
	;; [unrolled: 3-line block ×3, first 2 shown]
	v_cmp_ngt_f32_e32 vcc, s1, v4
	v_cndmask_b32_e32 v11, 0, v11, vcc
	v_cmp_nlt_f32_e32 vcc, s6, v8
	v_cndmask_b32_e32 v5, v7, v5, vcc
	v_cmp_nlt_f32_e32 vcc, s6, v3
	v_cndmask_b32_e32 v3, v7, v6, vcc
	v_cmp_nlt_f32_e32 vcc, s6, v9
	v_cndmask_b32_e32 v6, v7, v10, vcc
	v_cmp_nlt_f32_e32 vcc, s6, v4
	v_cndmask_b32_e32 v4, v7, v11, vcc
	v_fmac_f32_e32 v3, v1, v5
	v_cvt_f16_f32_e32 v5, v5
	v_cvt_f16_f32_e32 v7, v6
	v_fmac_f32_e32 v4, v2, v6
	v_mov_b32_e32 v1, v3
	v_mul_u32_u24_e32 v2, 0x10001, v5
	v_mul_u32_u24_e32 v5, 0x10001, v7
	v_pk_mul_f16 v43, v43, v2
	v_pk_mul_f16 v44, v44, v2
	;; [unrolled: 1-line block ×4, first 2 shown]
	v_mov_b32_e32 v2, v4
	v_cmp_gt_i32_e32 vcc, s2, v21
	s_and_saveexec_b64 s[0:1], vcc
	s_cbranch_execnz .LBB77_31
.LBB77_9:
	s_endpgm
.LBB77_10:
                                        ; implicit-def: $vgpr25
                                        ; implicit-def: $vgpr51
                                        ; implicit-def: $vgpr56
                                        ; implicit-def: $vgpr52
                                        ; implicit-def: $vgpr53
                                        ; implicit-def: $vgpr54
                                        ; implicit-def: $vgpr55
	v_lshlrev_b32_e32 v23, 2, v0
.LBB77_11:
	s_sub_i32 s0, 0, s36
	s_mul_i32 s0, s0, s24
	s_mul_hi_u32 s0, s24, s0
	s_abs_i32 s19, s29
	s_add_i32 s24, s24, s0
	s_mul_hi_u32 s34, s19, s24
	s_load_dwordx4 s[24:27], s[4:5], 0x98
	s_load_dword s14, s[4:5], 0x54
	s_load_dwordx2 s[0:1], s[4:5], 0x8c
	s_ashr_i32 s38, s29, 31
	s_ashr_i32 s37, s37, 31
	s_waitcnt lgkmcnt(0)
	s_ashr_i32 s15, s26, 2
	s_ashr_i32 s26, s35, 1
	;; [unrolled: 1-line block ×4, first 2 shown]
	s_mul_hi_u32 s35, s24, s33
	s_mul_i32 s39, s24, s0
	s_add_i32 s35, s35, s39
	s_mul_i32 s25, s25, s33
	s_add_i32 s35, s35, s25
	s_mul_i32 s24, s24, s33
	s_add_u32 s10, s10, s24
	s_mul_i32 s25, s34, s36
	s_addc_u32 s11, s11, s35
	s_sub_i32 s19, s19, s25
	s_xor_b32 s24, s38, s37
	s_add_i32 s25, s34, 1
	s_sub_i32 s35, s19, s36
	s_cmp_ge_u32 s19, s36
	s_cselect_b32 s25, s25, s34
	s_cselect_b32 s19, s35, s19
	s_add_i32 s34, s25, 1
	s_cmp_ge_u32 s19, s36
	s_load_dwordx2 s[8:9], s[4:5], 0xa8
	s_cselect_b32 s19, s34, s25
	s_xor_b32 s19, s19, s24
	s_sub_i32 s19, s19, s24
	s_mul_i32 s1, s19, s1
	s_ashr_i32 s24, s1, 31
	s_add_u32 s10, s10, s1
	s_waitcnt lgkmcnt(0)
	s_mul_hi_u32 s1, s8, s33
	s_mul_i32 s0, s8, s0
	s_addc_u32 s11, s11, s24
	s_add_i32 s0, s1, s0
	s_mul_i32 s1, s9, s33
	s_add_i32 s0, s0, s1
	s_mul_i32 s1, s8, s33
	v_lshrrev_b32_e32 v5, 4, v0
	s_add_u32 s1, s12, s1
	s_mul_i32 s19, s19, s27
	v_add_u32_e32 v14, v5, v3
	s_addc_u32 s0, s13, s0
	s_ashr_i32 s8, s19, 31
	v_mul_lo_u32 v5, s18, v14
	s_add_u32 s12, s1, s19
	v_and_b32_e32 v20, 60, v23
	s_addc_u32 s13, s0, s8
	v_lshlrev_b32_e32 v15, 2, v20
	s_movk_i32 s0, 0x110
	v_mad_u32_u24 v26, v14, s0, v15
	s_lshl_b32 s0, s18, 4
	v_add_u32_e32 v7, s0, v5
	v_mul_lo_u32 v13, s15, v14
	v_add_u32_e32 v9, s0, v7
	v_add_u32_e32 v11, s0, v9
	v_mad_u64_u32 v[2:3], s[0:1], v2, s26, v[0:1]
	s_lshl_b32 s0, s15, 4
	v_lshl_or_b32 v32, v14, 8, v15
	v_add_u32_e32 v15, s0, v13
	v_add_u32_e32 v17, s0, v15
	;; [unrolled: 1-line block ×3, first 2 shown]
	v_ashrrev_i32_e32 v6, 31, v5
	v_ashrrev_i32_e32 v8, 31, v7
	;; [unrolled: 1-line block ×4, first 2 shown]
	v_mov_b32_e32 v3, 0x5400
	v_ashrrev_i32_e32 v14, 31, v13
	v_ashrrev_i32_e32 v16, 31, v15
	;; [unrolled: 1-line block ×4, first 2 shown]
	v_add_u32_e32 v30, 0x4400, v4
	v_lshl_add_u32 v1, v1, 8, v3
	s_add_u32 s0, s4, 0xd0
	v_lshlrev_b64 v[3:4], 2, v[5:6]
	v_lshlrev_b64 v[5:6], 2, v[7:8]
	;; [unrolled: 1-line block ×8, first 2 shown]
	v_mov_b32_e32 v41, 0
	v_add_u32_e32 v27, 0x1100, v26
	v_add_u32_e32 v28, 0x2200, v26
	;; [unrolled: 1-line block ×3, first 2 shown]
	v_mul_u32_u24_e32 v31, 0x110, v0
	v_add_u32_e32 v33, 0x1000, v32
	v_add_u32_e32 v34, 0x2000, v32
	;; [unrolled: 1-line block ×3, first 2 shown]
	s_addc_u32 s1, s5, 0
	v_mov_b32_e32 v48, 0xfeffffff
	v_lshlrev_b32_e32 v36, 2, v20
	s_mov_b32 s19, 0x3f200000
	s_mov_b32 s24, 0x3fb8aa3b
	;; [unrolled: 1-line block ×4, first 2 shown]
	v_mov_b32_e32 v37, 0xbd5c1c4e
	v_mov_b32_e32 v38, 0x3e088382
	;; [unrolled: 1-line block ×3, first 2 shown]
	s_brev_b32 s27, -2
	s_mov_b32 s34, 0x10001
	v_mov_b32_e32 v40, 0x7f800000
	v_mbcnt_hi_u32_b32 v25, -1, v19
	v_mov_b32_e32 v42, 0
	v_mov_b32_e32 v44, 0
	;; [unrolled: 1-line block ×6, first 2 shown]
.LBB77_12:                              ; =>This Inner Loop Header: Depth=1
	s_mul_hi_i32 s9, s6, s18
	s_mul_i32 s8, s6, s18
	s_lshl_b64 s[8:9], s[8:9], 2
	s_add_u32 s8, s10, s8
	s_addc_u32 s9, s11, s9
	v_mov_b32_e32 v19, s9
	v_add_co_u32_e32 v20, vcc, s8, v3
	v_addc_co_u32_e32 v49, vcc, v19, v4, vcc
	v_add_co_u32_e32 v19, vcc, v20, v36
	v_addc_co_u32_e32 v20, vcc, 0, v49, vcc
	v_mov_b32_e32 v49, s9
	v_add_co_u32_e32 v50, vcc, s8, v5
	v_addc_co_u32_e32 v51, vcc, v49, v6, vcc
	v_add_co_u32_e32 v49, vcc, v50, v36
	v_addc_co_u32_e32 v50, vcc, 0, v51, vcc
	global_load_dwordx4 v[52:55], v[19:20], off
	global_load_dwordx4 v[56:59], v[49:50], off
	v_mov_b32_e32 v19, s9
	v_add_co_u32_e32 v20, vcc, s8, v7
	v_addc_co_u32_e32 v49, vcc, v19, v8, vcc
	v_add_co_u32_e32 v19, vcc, v20, v36
	v_addc_co_u32_e32 v20, vcc, 0, v49, vcc
	v_mov_b32_e32 v49, s9
	v_add_co_u32_e32 v50, vcc, s8, v9
	v_addc_co_u32_e32 v51, vcc, v49, v10, vcc
	v_add_co_u32_e32 v49, vcc, v50, v36
	v_addc_co_u32_e32 v50, vcc, 0, v51, vcc
	global_load_dwordx4 v[60:63], v[19:20], off
	global_load_dwordx4 v[64:67], v[49:50], off
	v_mov_b32_e32 v51, 0
	v_mov_b32_e32 v49, 0
	;; [unrolled: 1-line block ×3, first 2 shown]
	s_waitcnt vmcnt(3)
	ds_write_b128 v26, v[52:55]
	s_waitcnt vmcnt(2)
	ds_write_b128 v27, v[56:59]
	;; [unrolled: 2-line block ×4, first 2 shown]
	s_waitcnt lgkmcnt(0)
	s_barrier
	ds_read_b128 v[53:56], v31
	ds_read_b128 v[57:60], v30
	ds_read_b128 v[61:64], v31 offset:8704
	ds_read_b128 v[65:68], v30 offset:256
	s_waitcnt lgkmcnt(2)
	;;#ASMSTART
	v_dot2_f32_f16 v51, v53, v57, v51
	;;#ASMEND
	;;#ASMSTART
	v_dot2_f32_f16 v51, v54, v58, v51
	;;#ASMEND
	;; [unrolled: 3-line block ×4, first 2 shown]
	s_waitcnt lgkmcnt(0)
	;;#ASMSTART
	v_dot2_f32_f16 v49, v53, v65, v49
	;;#ASMEND
	;;#ASMSTART
	v_dot2_f32_f16 v49, v54, v66, v49
	;;#ASMEND
	v_mov_b32_e32 v52, 0
	;;#ASMSTART
	v_dot2_f32_f16 v49, v55, v67, v49
	;;#ASMEND
	;;#ASMSTART
	v_dot2_f32_f16 v49, v56, v68, v49
	;;#ASMEND
	;;#ASMSTART
	v_dot2_f32_f16 v52, v61, v57, v52
	;;#ASMEND
	;;#ASMSTART
	v_dot2_f32_f16 v52, v62, v58, v52
	;;#ASMEND
	;;#ASMSTART
	v_dot2_f32_f16 v52, v63, v59, v52
	;;#ASMEND
	;;#ASMSTART
	v_dot2_f32_f16 v52, v64, v60, v52
	;;#ASMEND
	;;#ASMSTART
	v_dot2_f32_f16 v50, v61, v65, v50
	;;#ASMEND
	;;#ASMSTART
	v_dot2_f32_f16 v50, v62, v66, v50
	;;#ASMEND
	;;#ASMSTART
	v_dot2_f32_f16 v50, v63, v67, v50
	;;#ASMEND
	;;#ASMSTART
	v_dot2_f32_f16 v50, v64, v68, v50
	;;#ASMEND
	ds_read_b128 v[53:56], v30 offset:16
	ds_read_b128 v[57:60], v31 offset:16
	ds_read_b128 v[61:64], v31 offset:8720
	ds_read_b128 v[65:68], v30 offset:272
	s_waitcnt lgkmcnt(2)
	;;#ASMSTART
	v_dot2_f32_f16 v51, v57, v53, v51
	;;#ASMEND
	;;#ASMSTART
	v_dot2_f32_f16 v51, v58, v54, v51
	;;#ASMEND
	;;#ASMSTART
	v_dot2_f32_f16 v51, v59, v55, v51
	;;#ASMEND
	;;#ASMSTART
	v_dot2_f32_f16 v51, v60, v56, v51
	;;#ASMEND
	s_waitcnt lgkmcnt(0)
	;;#ASMSTART
	v_dot2_f32_f16 v49, v57, v65, v49
	;;#ASMEND
	;;#ASMSTART
	v_dot2_f32_f16 v49, v58, v66, v49
	;;#ASMEND
	;;#ASMSTART
	v_dot2_f32_f16 v49, v59, v67, v49
	;;#ASMEND
	;;#ASMSTART
	v_dot2_f32_f16 v49, v60, v68, v49
	;;#ASMEND
	;;#ASMSTART
	v_dot2_f32_f16 v52, v61, v53, v52
	;;#ASMEND
	;;#ASMSTART
	v_dot2_f32_f16 v52, v62, v54, v52
	;;#ASMEND
	;;#ASMSTART
	v_dot2_f32_f16 v52, v63, v55, v52
	;;#ASMEND
	;;#ASMSTART
	v_dot2_f32_f16 v52, v64, v56, v52
	;;#ASMEND
	;;#ASMSTART
	v_dot2_f32_f16 v50, v61, v65, v50
	;;#ASMEND
	;;#ASMSTART
	v_dot2_f32_f16 v50, v62, v66, v50
	;;#ASMEND
	;;#ASMSTART
	v_dot2_f32_f16 v50, v63, v67, v50
	;;#ASMEND
	;;#ASMSTART
	v_dot2_f32_f16 v50, v64, v68, v50
	;;#ASMEND
	ds_read_b128 v[53:56], v30 offset:32
	ds_read_b128 v[57:60], v31 offset:32
	ds_read_b128 v[61:64], v31 offset:8736
	ds_read_b128 v[65:68], v30 offset:288
	s_waitcnt lgkmcnt(2)
	;;#ASMSTART
	v_dot2_f32_f16 v51, v57, v53, v51
	;;#ASMEND
	;;#ASMSTART
	v_dot2_f32_f16 v51, v58, v54, v51
	;;#ASMEND
	;;#ASMSTART
	v_dot2_f32_f16 v51, v59, v55, v51
	;;#ASMEND
	;;#ASMSTART
	v_dot2_f32_f16 v51, v60, v56, v51
	;;#ASMEND
	s_waitcnt lgkmcnt(0)
	;;#ASMSTART
	v_dot2_f32_f16 v49, v57, v65, v49
	;;#ASMEND
	;;#ASMSTART
	v_dot2_f32_f16 v49, v58, v66, v49
	;;#ASMEND
	;; [unrolled: 54-line block ×15, first 2 shown]
	;;#ASMSTART
	v_dot2_f32_f16 v49, v59, v67, v49
	;;#ASMEND
	;;#ASMSTART
	v_dot2_f32_f16 v49, v60, v68, v49
	;;#ASMEND
	;; [unrolled: 3-line block ×9, first 2 shown]
	v_cmp_nlt_f32_e64 s[8:9], |v51|, s19
	;;#ASMSTART
	v_dot2_f32_f16 v50, v64, v68, v50
	;;#ASMEND
                                        ; implicit-def: $vgpr53
	s_and_saveexec_b64 s[36:37], s[8:9]
	s_xor_b64 s[8:9], exec, s[36:37]
	s_cbranch_execz .LBB77_14
; %bb.13:                               ;   in Loop: Header=BB77_12 Depth=1
	v_add_f32_e64 v19, |v51|, |v51|
	v_mul_f32_e32 v20, 0x3fb8aa3b, v19
	v_rndne_f32_e32 v53, v20
	v_sub_f32_e32 v54, v20, v53
	v_fma_f32 v20, v19, s24, -v20
	v_fmac_f32_e32 v20, 0x32a5705f, v19
	v_add_f32_e32 v20, v54, v20
	v_cvt_i32_f32_e32 v53, v53
	v_exp_f32_e32 v20, v20
	v_cmp_ngt_f32_e32 vcc, s25, v19
	v_ldexp_f32 v20, v20, v53
	v_cndmask_b32_e32 v20, 0, v20, vcc
	v_cmp_nlt_f32_e32 vcc, s26, v19
	v_cndmask_b32_e32 v19, v40, v20, vcc
	v_add_f32_e32 v19, 1.0, v19
	v_rcp_f32_e32 v19, v19
	v_fma_f32 v53, v19, -2.0, 1.0
.LBB77_14:                              ;   in Loop: Header=BB77_12 Depth=1
	s_andn2_saveexec_b64 s[8:9], s[8:9]
; %bb.15:                               ;   in Loop: Header=BB77_12 Depth=1
	v_mul_f32_e32 v19, v51, v51
	v_mov_b32_e32 v20, 0x3ca908c9
	v_fmac_f32_e32 v20, 0xbbbac73d, v19
	v_fma_f32 v20, v19, v20, v37
	v_fma_f32 v20, v19, v20, v38
	;; [unrolled: 1-line block ×3, first 2 shown]
	v_mul_f32_e64 v20, |v51|, v20
	v_fma_f32 v53, v19, v20, |v51|
; %bb.16:                               ;   in Loop: Header=BB77_12 Depth=1
	s_or_b64 exec, exec, s[8:9]
	v_add_u32_e32 v19, s6, v2
	v_ashrrev_i32_e32 v20, 31, v19
	v_lshlrev_b64 v[19:20], 1, v[19:20]
	v_mov_b32_e32 v54, s31
	v_add_co_u32_e32 v19, vcc, s30, v19
	v_addc_co_u32_e32 v20, vcc, v54, v20, vcc
	global_load_ushort v57, v[19:20], off
	v_cmp_nlt_f32_e64 s[8:9], |v52|, s19
                                        ; implicit-def: $vgpr54
	s_and_saveexec_b64 s[36:37], s[8:9]
	s_xor_b64 s[8:9], exec, s[36:37]
	s_cbranch_execz .LBB77_18
; %bb.17:                               ;   in Loop: Header=BB77_12 Depth=1
	v_add_f32_e64 v54, |v52|, |v52|
	v_mul_f32_e32 v55, 0x3fb8aa3b, v54
	v_rndne_f32_e32 v56, v55
	v_sub_f32_e32 v58, v55, v56
	v_fma_f32 v55, v54, s24, -v55
	v_fmac_f32_e32 v55, 0x32a5705f, v54
	v_add_f32_e32 v55, v58, v55
	v_cvt_i32_f32_e32 v56, v56
	v_exp_f32_e32 v55, v55
	v_cmp_ngt_f32_e32 vcc, s25, v54
	v_ldexp_f32 v55, v55, v56
	v_cndmask_b32_e32 v55, 0, v55, vcc
	v_cmp_nlt_f32_e32 vcc, s26, v54
	v_cndmask_b32_e32 v54, v40, v55, vcc
	v_add_f32_e32 v54, 1.0, v54
	v_rcp_f32_e32 v54, v54
	v_fma_f32 v54, v54, -2.0, 1.0
.LBB77_18:                              ;   in Loop: Header=BB77_12 Depth=1
	s_andn2_saveexec_b64 s[8:9], s[8:9]
; %bb.19:                               ;   in Loop: Header=BB77_12 Depth=1
	v_mul_f32_e32 v54, v52, v52
	v_mov_b32_e32 v55, 0x3ca908c9
	v_fmac_f32_e32 v55, 0xbbbac73d, v54
	v_fma_f32 v55, v54, v55, v37
	v_fma_f32 v55, v54, v55, v38
	;; [unrolled: 1-line block ×3, first 2 shown]
	v_mul_f32_e64 v55, |v52|, v55
	v_fma_f32 v54, v54, v55, |v52|
; %bb.20:                               ;   in Loop: Header=BB77_12 Depth=1
	s_or_b64 exec, exec, s[8:9]
	global_load_ushort v63, v[19:20], off offset:64
	v_bfi_b32 v19, s27, v53, v51
	s_waitcnt vmcnt(1)
	v_fma_mix_f32 v20, s14, v19, v57 op_sel_hi:[0,0,1]
	v_and_b32_e32 v19, 0x60, v25
	v_add_u32_e32 v51, 32, v19
	v_xor_b32_e32 v56, 16, v25
	v_bfi_b32 v52, s27, v54, v52
	v_cmp_lt_i32_e32 vcc, v56, v51
	v_add_f32_e32 v53, 0x40051340, v20
	v_cndmask_b32_e32 v19, v25, v56, vcc
	v_lshlrev_b32_e32 v19, 2, v19
	v_cmp_nlt_f32_e64 s[8:9], |v49|, s19
                                        ; implicit-def: $vgpr66
	s_waitcnt vmcnt(0)
	v_fma_mix_f32 v58, s14, v52, v63 op_sel_hi:[0,0,1]
	v_add_f32_e32 v52, 0x40051340, v58
	v_max3_f32 v53, v48, v53, v52
	ds_bpermute_b32 v54, v19, v53
	v_xor_b32_e32 v52, 8, v25
	v_cmp_lt_i32_e32 vcc, v52, v51
	v_cndmask_b32_e32 v55, v25, v52, vcc
	v_lshlrev_b32_e32 v62, 2, v55
	s_waitcnt lgkmcnt(0)
	v_max_f32_e32 v54, v54, v54
	v_max_f32_e32 v54, v53, v54
	ds_bpermute_b32 v55, v62, v54
	v_xor_b32_e32 v53, 4, v25
	v_cmp_lt_i32_e32 vcc, v53, v51
	v_cndmask_b32_e32 v59, v25, v53, vcc
	v_lshlrev_b32_e32 v61, 2, v59
	s_waitcnt lgkmcnt(0)
	v_max_f32_e32 v55, v55, v55
	v_max_f32_e32 v55, v54, v55
	;; [unrolled: 8-line block ×4, first 2 shown]
	ds_bpermute_b32 v65, v59, v64
	s_and_saveexec_b64 s[36:37], s[8:9]
	s_xor_b64 s[8:9], exec, s[36:37]
	s_cbranch_execz .LBB77_22
; %bb.21:                               ;   in Loop: Header=BB77_12 Depth=1
	v_add_f32_e64 v66, |v49|, |v49|
	v_mul_f32_e32 v67, 0x3fb8aa3b, v66
	v_rndne_f32_e32 v68, v67
	v_sub_f32_e32 v69, v67, v68
	v_fma_f32 v67, v66, s24, -v67
	v_fmac_f32_e32 v67, 0x32a5705f, v66
	v_add_f32_e32 v67, v69, v67
	v_cvt_i32_f32_e32 v68, v68
	v_exp_f32_e32 v67, v67
	v_cmp_ngt_f32_e32 vcc, s25, v66
	v_ldexp_f32 v67, v67, v68
	v_cndmask_b32_e32 v67, 0, v67, vcc
	v_cmp_nlt_f32_e32 vcc, s26, v66
	v_cndmask_b32_e32 v66, v40, v67, vcc
	v_add_f32_e32 v66, 1.0, v66
	v_rcp_f32_e32 v66, v66
	v_fma_f32 v66, v66, -2.0, 1.0
.LBB77_22:                              ;   in Loop: Header=BB77_12 Depth=1
	s_andn2_saveexec_b64 s[8:9], s[8:9]
; %bb.23:                               ;   in Loop: Header=BB77_12 Depth=1
	v_mul_f32_e32 v66, v49, v49
	v_mov_b32_e32 v67, 0x3ca908c9
	v_fmac_f32_e32 v67, 0xbbbac73d, v66
	v_fma_f32 v67, v66, v67, v37
	v_fma_f32 v67, v66, v67, v38
	;; [unrolled: 1-line block ×3, first 2 shown]
	v_mul_f32_e64 v67, |v49|, v67
	v_fma_f32 v66, v66, v67, |v49|
; %bb.24:                               ;   in Loop: Header=BB77_12 Depth=1
	s_or_b64 exec, exec, s[8:9]
	v_cmp_nlt_f32_e64 s[8:9], |v50|, s19
                                        ; implicit-def: $vgpr67
	s_and_saveexec_b64 s[36:37], s[8:9]
	s_xor_b64 s[8:9], exec, s[36:37]
	s_cbranch_execz .LBB77_26
; %bb.25:                               ;   in Loop: Header=BB77_12 Depth=1
	v_add_f32_e64 v67, |v50|, |v50|
	v_mul_f32_e32 v68, 0x3fb8aa3b, v67
	v_rndne_f32_e32 v69, v68
	v_sub_f32_e32 v70, v68, v69
	v_fma_f32 v68, v67, s24, -v68
	v_fmac_f32_e32 v68, 0x32a5705f, v67
	v_add_f32_e32 v68, v70, v68
	v_cvt_i32_f32_e32 v69, v69
	v_exp_f32_e32 v68, v68
	v_cmp_ngt_f32_e32 vcc, s25, v67
	v_ldexp_f32 v68, v68, v69
	v_cndmask_b32_e32 v68, 0, v68, vcc
	v_cmp_nlt_f32_e32 vcc, s26, v67
	v_cndmask_b32_e32 v67, v40, v68, vcc
	v_add_f32_e32 v67, 1.0, v67
	v_rcp_f32_e32 v67, v67
	v_fma_f32 v67, v67, -2.0, 1.0
.LBB77_26:                              ;   in Loop: Header=BB77_12 Depth=1
	s_andn2_saveexec_b64 s[8:9], s[8:9]
; %bb.27:                               ;   in Loop: Header=BB77_12 Depth=1
	v_mul_f32_e32 v67, v50, v50
	v_mov_b32_e32 v68, 0x3ca908c9
	v_fmac_f32_e32 v68, 0xbbbac73d, v67
	v_fma_f32 v68, v67, v68, v37
	v_fma_f32 v68, v67, v68, v38
	v_fma_f32 v68, v67, v68, v39
	v_mul_f32_e64 v68, |v50|, v68
	v_fma_f32 v67, v67, v68, |v50|
; %bb.28:                               ;   in Loop: Header=BB77_12 Depth=1
	s_or_b64 exec, exec, s[8:9]
	v_cvt_f32_f16_e32 v73, v57
	v_cvt_f32_f16_e32 v74, v63
	v_bfi_b32 v49, s27, v66, v49
	v_bfi_b32 v50, s27, v67, v50
	v_fmac_f32_e32 v73, s14, v49
	v_fmac_f32_e32 v74, s14, v50
	v_add_f32_e32 v49, 0x40051340, v73
	v_add_f32_e32 v50, 0x40051340, v74
	v_max3_f32 v49, v46, v49, v50
	ds_bpermute_b32 v19, v19, v49
	s_waitcnt lgkmcnt(1)
	v_max_f32_e32 v50, v65, v65
	s_mul_hi_i32 s9, s6, s15
	s_mul_i32 s8, s6, s15
	s_lshl_b64 s[8:9], s[8:9], 2
	s_waitcnt lgkmcnt(0)
	v_max_f32_e32 v19, v19, v19
	v_max_f32_e32 v49, v49, v19
	ds_bpermute_b32 v57, v62, v49
	v_max_f32_e32 v19, v64, v64
	v_max_f32_e32 v19, v19, v50
	v_sub_f32_e32 v50, v20, v19
	v_sub_f32_e32 v76, v58, v19
	s_waitcnt lgkmcnt(0)
	v_max_f32_e32 v20, v57, v57
	v_max_f32_e32 v20, v49, v20
	ds_bpermute_b32 v49, v61, v20
	v_mul_f32_e32 v57, 0x3fb8aa3b, v50
	v_fma_f32 v61, v50, s24, -v57
	v_rndne_f32_e32 v62, v57
	v_fmac_f32_e32 v61, 0x32a5705f, v50
	s_waitcnt lgkmcnt(0)
	v_max_f32_e32 v49, v49, v49
	v_max_f32_e32 v20, v20, v49
	ds_bpermute_b32 v49, v60, v20
	v_sub_f32_e32 v57, v57, v62
	v_add_f32_e32 v57, v57, v61
	v_cvt_i32_f32_e32 v60, v62
	v_exp_f32_e32 v57, v57
	s_waitcnt lgkmcnt(0)
	v_max_f32_e32 v49, v49, v49
	v_max_f32_e32 v20, v20, v49
	ds_bpermute_b32 v49, v59, v20
	v_sub_f32_e32 v75, v48, v19
	v_ldexp_f32 v48, v57, v60
	v_cmp_ngt_f32_e32 vcc, s25, v50
	s_add_u32 s8, s12, s8
	s_waitcnt lgkmcnt(0)
	v_max_f32_e32 v49, v49, v49
	v_max_f32_e32 v20, v20, v49
	v_mul_f32_e32 v49, 0x3fb8aa3b, v76
	v_fma_f32 v57, v76, s24, -v49
	v_rndne_f32_e32 v58, v49
	v_fmac_f32_e32 v57, 0x32a5705f, v76
	v_sub_f32_e32 v49, v49, v58
	v_add_f32_e32 v49, v49, v57
	v_exp_f32_e32 v49, v49
	v_cvt_i32_f32_e32 v57, v58
	v_cndmask_b32_e32 v48, 0, v48, vcc
	v_cmp_nlt_f32_e32 vcc, s26, v50
	s_addc_u32 s9, s13, s9
	v_cndmask_b32_e32 v50, v40, v48, vcc
	v_ldexp_f32 v78, v49, v57
	v_mov_b32_e32 v48, s9
	v_add_co_u32_e32 v49, vcc, s8, v11
	v_addc_co_u32_e32 v57, vcc, v48, v12, vcc
	v_add_co_u32_e32 v48, vcc, v49, v36
	v_addc_co_u32_e32 v49, vcc, 0, v57, vcc
	v_mov_b32_e32 v57, s9
	v_add_co_u32_e32 v58, vcc, s8, v13
	v_addc_co_u32_e32 v57, vcc, v57, v14, vcc
	v_add_co_u32_e32 v61, vcc, v58, v36
	v_addc_co_u32_e32 v62, vcc, 0, v57, vcc
	;; [unrolled: 5-line block ×4, first 2 shown]
	s_barrier
	global_load_dwordx4 v[57:60], v[48:49], off
	s_nop 0
	global_load_dwordx4 v[61:64], v[61:62], off
	s_nop 0
	;; [unrolled: 2-line block ×3, first 2 shown]
	global_load_dwordx4 v[69:72], v[69:70], off
	v_cmp_ngt_f32_e32 vcc, s25, v76
	v_mul_f32_e32 v49, 0x3fb8aa3b, v75
	v_cndmask_b32_e32 v48, 0, v78, vcc
	v_fma_f32 v78, v75, s24, -v49
	v_rndne_f32_e32 v79, v49
	v_fmac_f32_e32 v78, 0x32a5705f, v75
	v_sub_f32_e32 v49, v49, v79
	v_add_f32_e32 v49, v49, v78
	v_exp_f32_e32 v78, v49
	v_cvt_i32_f32_e32 v79, v79
	v_cmp_nlt_f32_e32 vcc, s26, v76
	v_cndmask_b32_e32 v48, v40, v48, vcc
	v_cvt_f16_f32_e32 v77, v50
	v_add_f32_e32 v49, v50, v48
	v_ldexp_f32 v50, v78, v79
	v_cmp_ngt_f32_e32 vcc, s25, v75
	v_cndmask_b32_e32 v50, 0, v50, vcc
	v_cmp_nlt_f32_e32 vcc, s26, v75
	v_cndmask_b32_e32 v50, v40, v50, vcc
	v_fmac_f32_e32 v49, v47, v50
	v_cvt_f16_f32_e32 v47, v50
	v_sub_f32_e32 v50, v73, v20
	v_mul_f32_e32 v73, 0x3fb8aa3b, v50
	v_fma_f32 v75, v50, s24, -v73
	v_rndne_f32_e32 v76, v73
	v_fmac_f32_e32 v75, 0x32a5705f, v50
	v_sub_f32_e32 v73, v73, v76
	v_add_f32_e32 v73, v73, v75
	v_exp_f32_e32 v73, v73
	v_cvt_i32_f32_e32 v75, v76
	v_mul_u32_u24_e32 v76, 0x10001, v47
	v_sub_f32_e32 v47, v74, v20
	v_pk_mul_f16 v78, v44, v76
	v_sub_f32_e32 v44, v46, v20
	v_ldexp_f32 v46, v73, v75
	v_mul_f32_e32 v73, 0x3fb8aa3b, v47
	v_fma_f32 v74, v47, s24, -v73
	v_rndne_f32_e32 v75, v73
	v_fmac_f32_e32 v74, 0x32a5705f, v47
	v_sub_f32_e32 v73, v73, v75
	v_add_f32_e32 v73, v73, v74
	v_exp_f32_e32 v73, v73
	v_cvt_i32_f32_e32 v74, v75
	v_cmp_ngt_f32_e32 vcc, s25, v50
	v_cndmask_b32_e32 v46, 0, v46, vcc
	v_cmp_nlt_f32_e32 vcc, s26, v50
	v_ldexp_f32 v50, v73, v74
	v_mul_f32_e32 v73, 0x3fb8aa3b, v44
	v_fma_f32 v74, v44, s24, -v73
	v_rndne_f32_e32 v79, v73
	v_fmac_f32_e32 v74, 0x32a5705f, v44
	v_sub_f32_e32 v73, v73, v79
	v_add_f32_e32 v73, v73, v74
	v_exp_f32_e32 v73, v73
	v_cvt_i32_f32_e32 v74, v79
	v_cndmask_b32_e32 v46, v40, v46, vcc
	v_cmp_ngt_f32_e32 vcc, s25, v47
	v_cndmask_b32_e32 v50, 0, v50, vcc
	v_cmp_nlt_f32_e32 vcc, s26, v47
	v_cndmask_b32_e32 v47, v40, v50, vcc
	v_ldexp_f32 v50, v73, v74
	v_cmp_ngt_f32_e32 vcc, s25, v44
	v_cndmask_b32_e32 v50, 0, v50, vcc
	v_cmp_nlt_f32_e32 vcc, s26, v44
	v_cvt_f16_f32_e32 v48, v48
	v_cvt_f16_f32_e32 v75, v46
	v_cndmask_b32_e32 v44, v40, v50, vcc
	v_add_f32_e32 v50, v46, v47
	v_cvt_f16_f32_e32 v46, v47
	v_cvt_f16_f32_e32 v73, v44
	v_fmac_f32_e32 v50, v45, v44
	v_add_u32_e32 v44, v1, v23
	v_pack_b32_f16 v45, v77, v75
	v_pack_b32_f16 v46, v48, v46
	ds_write2_b32 v44, v45, v46 offset1:32
	s_waitcnt vmcnt(3)
	ds_write_b128 v32, v[57:60]
	s_waitcnt vmcnt(2)
	ds_write_b128 v33, v[61:64]
	;; [unrolled: 2-line block ×4, first 2 shown]
	s_waitcnt lgkmcnt(0)
	s_barrier
	ds_read_b128 v[44:47], v1
	ds_read2_b64 v[57:60], v24 offset1:32
	ds_read_b128 v[61:64], v1 offset:16
	ds_read_b128 v[65:68], v1 offset:32
	;; [unrolled: 1-line block ×3, first 2 shown]
	v_mul_u32_u24_e32 v73, 0x10001, v73
	s_waitcnt lgkmcnt(4)
	v_mul_u32_u24_sdwa v48, v44, s34 dst_sel:DWORD dst_unused:UNUSED_PAD src0_sel:WORD_0 src1_sel:DWORD
	v_mul_u32_u24_sdwa v44, v44, s34 dst_sel:DWORD dst_unused:UNUSED_PAD src0_sel:WORD_1 src1_sel:DWORD
	v_pk_mul_f16 v41, v41, v73
	s_waitcnt lgkmcnt(3)
	v_pk_mul_f16 v74, v57, v48
	v_pk_mul_f16 v57, v57, v44
	v_pk_fma_f16 v43, v43, v76, v74
	v_pk_fma_f16 v42, v42, v73, v57
	;; [unrolled: 1-line block ×4, first 2 shown]
	v_mul_u32_u24_sdwa v58, v45, s34 dst_sel:DWORD dst_unused:UNUSED_PAD src0_sel:WORD_0 src1_sel:DWORD
	v_mul_u32_u24_sdwa v45, v45, s34 dst_sel:DWORD dst_unused:UNUSED_PAD src0_sel:WORD_1 src1_sel:DWORD
	v_pk_fma_f16 v73, v59, v58, v43
	v_pk_fma_f16 v59, v59, v45, v42
	ds_read2_b64 v[41:44], v24 offset0:64 offset1:96
	v_pk_fma_f16 v48, v60, v58, v48
	v_pk_fma_f16 v45, v60, v45, v57
	v_mul_u32_u24_sdwa v57, v46, s34 dst_sel:DWORD dst_unused:UNUSED_PAD src0_sel:WORD_0 src1_sel:DWORD
	v_mul_u32_u24_sdwa v46, v46, s34 dst_sel:DWORD dst_unused:UNUSED_PAD src0_sel:WORD_1 src1_sel:DWORD
	s_waitcnt lgkmcnt(0)
	v_pk_fma_f16 v58, v41, v57, v73
	v_pk_fma_f16 v41, v41, v46, v59
	;; [unrolled: 1-line block ×4, first 2 shown]
	v_mul_u32_u24_sdwa v59, v47, s34 dst_sel:DWORD dst_unused:UNUSED_PAD src0_sel:WORD_0 src1_sel:DWORD
	v_mul_u32_u24_sdwa v60, v47, s34 dst_sel:DWORD dst_unused:UNUSED_PAD src0_sel:WORD_1 src1_sel:DWORD
	ds_read2_b64 v[45:48], v24 offset0:128 offset1:160
	v_pk_fma_f16 v58, v43, v59, v58
	v_pk_fma_f16 v41, v43, v60, v41
	;; [unrolled: 1-line block ×4, first 2 shown]
	v_mul_u32_u24_sdwa v44, v61, s34 dst_sel:DWORD dst_unused:UNUSED_PAD src0_sel:WORD_0 src1_sel:DWORD
	v_mul_u32_u24_sdwa v57, v61, s34 dst_sel:DWORD dst_unused:UNUSED_PAD src0_sel:WORD_1 src1_sel:DWORD
	s_waitcnt lgkmcnt(0)
	v_pk_fma_f16 v58, v45, v44, v58
	v_pk_fma_f16 v41, v45, v57, v41
	;; [unrolled: 1-line block ×4, first 2 shown]
	v_mul_u32_u24_sdwa v57, v62, s34 dst_sel:DWORD dst_unused:UNUSED_PAD src0_sel:WORD_0 src1_sel:DWORD
	v_mul_u32_u24_sdwa v59, v62, s34 dst_sel:DWORD dst_unused:UNUSED_PAD src0_sel:WORD_1 src1_sel:DWORD
	v_pk_fma_f16 v58, v47, v57, v58
	v_pk_fma_f16 v47, v47, v59, v41
	ds_read2_b64 v[41:44], v24 offset0:192 offset1:224
	v_pk_fma_f16 v45, v48, v57, v45
	v_pk_fma_f16 v46, v48, v59, v46
	v_mul_u32_u24_sdwa v48, v63, s34 dst_sel:DWORD dst_unused:UNUSED_PAD src0_sel:WORD_0 src1_sel:DWORD
	v_mul_u32_u24_sdwa v57, v63, s34 dst_sel:DWORD dst_unused:UNUSED_PAD src0_sel:WORD_1 src1_sel:DWORD
	v_add_u32_e32 v61, 0x800, v24
	s_waitcnt lgkmcnt(0)
	v_pk_fma_f16 v58, v41, v48, v58
	v_pk_fma_f16 v41, v41, v57, v47
	;; [unrolled: 1-line block ×4, first 2 shown]
	ds_read2_b64 v[45:48], v61 offset1:32
	v_mul_u32_u24_sdwa v57, v64, s34 dst_sel:DWORD dst_unused:UNUSED_PAD src0_sel:WORD_0 src1_sel:DWORD
	v_mul_u32_u24_sdwa v60, v64, s34 dst_sel:DWORD dst_unused:UNUSED_PAD src0_sel:WORD_1 src1_sel:DWORD
	v_pk_fma_f16 v58, v43, v57, v58
	v_pk_fma_f16 v41, v43, v60, v41
	;; [unrolled: 1-line block ×4, first 2 shown]
	v_mul_u32_u24_sdwa v44, v65, s34 dst_sel:DWORD dst_unused:UNUSED_PAD src0_sel:WORD_0 src1_sel:DWORD
	v_mul_u32_u24_sdwa v57, v65, s34 dst_sel:DWORD dst_unused:UNUSED_PAD src0_sel:WORD_1 src1_sel:DWORD
	s_waitcnt lgkmcnt(0)
	v_pk_fma_f16 v58, v45, v44, v58
	v_pk_fma_f16 v41, v45, v57, v41
	;; [unrolled: 1-line block ×4, first 2 shown]
	v_mul_u32_u24_sdwa v57, v66, s34 dst_sel:DWORD dst_unused:UNUSED_PAD src0_sel:WORD_0 src1_sel:DWORD
	v_mul_u32_u24_sdwa v59, v66, s34 dst_sel:DWORD dst_unused:UNUSED_PAD src0_sel:WORD_1 src1_sel:DWORD
	v_pk_fma_f16 v58, v47, v57, v58
	v_pk_fma_f16 v47, v47, v59, v41
	ds_read2_b64 v[41:44], v61 offset0:64 offset1:96
	v_pk_fma_f16 v45, v48, v57, v45
	v_pk_fma_f16 v46, v48, v59, v46
	v_mul_u32_u24_sdwa v48, v67, s34 dst_sel:DWORD dst_unused:UNUSED_PAD src0_sel:WORD_0 src1_sel:DWORD
	v_mul_u32_u24_sdwa v57, v67, s34 dst_sel:DWORD dst_unused:UNUSED_PAD src0_sel:WORD_1 src1_sel:DWORD
	s_waitcnt lgkmcnt(0)
	v_pk_fma_f16 v58, v41, v48, v58
	v_pk_fma_f16 v41, v41, v57, v47
	;; [unrolled: 1-line block ×4, first 2 shown]
	ds_read2_b64 v[45:48], v61 offset0:128 offset1:160
	v_mul_u32_u24_sdwa v57, v68, s34 dst_sel:DWORD dst_unused:UNUSED_PAD src0_sel:WORD_0 src1_sel:DWORD
	v_mul_u32_u24_sdwa v60, v68, s34 dst_sel:DWORD dst_unused:UNUSED_PAD src0_sel:WORD_1 src1_sel:DWORD
	v_pk_fma_f16 v58, v43, v57, v58
	v_pk_fma_f16 v41, v43, v60, v41
	;; [unrolled: 1-line block ×4, first 2 shown]
	v_mul_u32_u24_sdwa v44, v69, s34 dst_sel:DWORD dst_unused:UNUSED_PAD src0_sel:WORD_0 src1_sel:DWORD
	v_mul_u32_u24_sdwa v57, v69, s34 dst_sel:DWORD dst_unused:UNUSED_PAD src0_sel:WORD_1 src1_sel:DWORD
	s_waitcnt lgkmcnt(0)
	v_pk_fma_f16 v58, v45, v44, v58
	v_pk_fma_f16 v41, v45, v57, v41
	;; [unrolled: 1-line block ×4, first 2 shown]
	v_mul_u32_u24_sdwa v57, v70, s34 dst_sel:DWORD dst_unused:UNUSED_PAD src0_sel:WORD_0 src1_sel:DWORD
	v_mul_u32_u24_sdwa v59, v70, s34 dst_sel:DWORD dst_unused:UNUSED_PAD src0_sel:WORD_1 src1_sel:DWORD
	v_pk_fma_f16 v58, v47, v57, v58
	v_pk_fma_f16 v47, v47, v59, v41
	ds_read2_b64 v[41:44], v61 offset0:192 offset1:224
	v_pk_fma_f16 v45, v48, v57, v45
	v_pk_fma_f16 v46, v48, v59, v46
	v_mul_u32_u24_sdwa v48, v71, s34 dst_sel:DWORD dst_unused:UNUSED_PAD src0_sel:WORD_0 src1_sel:DWORD
	v_mul_u32_u24_sdwa v57, v71, s34 dst_sel:DWORD dst_unused:UNUSED_PAD src0_sel:WORD_1 src1_sel:DWORD
	s_waitcnt lgkmcnt(0)
	v_pk_fma_f16 v58, v41, v48, v58
	v_pk_fma_f16 v45, v42, v48, v45
	;; [unrolled: 1-line block ×3, first 2 shown]
	v_mul_u32_u24_sdwa v46, v72, s34 dst_sel:DWORD dst_unused:UNUSED_PAD src0_sel:WORD_0 src1_sel:DWORD
	v_pk_fma_f16 v41, v41, v57, v47
	v_pk_fma_f16 v62, v43, v46, v58
	v_pk_fma_f16 v64, v44, v46, v45
	ds_read_b128 v[45:48], v1 offset:64
	v_add_u32_e32 v65, 0x1000, v24
	ds_read2_b64 v[57:60], v65 offset1:32
	v_mul_u32_u24_sdwa v61, v72, s34 dst_sel:DWORD dst_unused:UNUSED_PAD src0_sel:WORD_1 src1_sel:DWORD
	v_pk_fma_f16 v63, v43, v61, v41
	v_pk_fma_f16 v61, v44, v61, v42
	ds_read_b128 v[41:44], v1 offset:80
	s_waitcnt lgkmcnt(2)
	v_mul_u32_u24_sdwa v66, v45, s34 dst_sel:DWORD dst_unused:UNUSED_PAD src0_sel:WORD_0 src1_sel:DWORD
	v_mul_u32_u24_sdwa v45, v45, s34 dst_sel:DWORD dst_unused:UNUSED_PAD src0_sel:WORD_1 src1_sel:DWORD
	s_waitcnt lgkmcnt(1)
	v_pk_fma_f16 v62, v57, v66, v62
	v_pk_fma_f16 v57, v57, v45, v63
	;; [unrolled: 1-line block ×4, first 2 shown]
	v_mul_u32_u24_sdwa v58, v46, s34 dst_sel:DWORD dst_unused:UNUSED_PAD src0_sel:WORD_0 src1_sel:DWORD
	v_pk_fma_f16 v67, v59, v58, v62
	ds_read2_b64 v[61:64], v65 offset0:64 offset1:96
	v_mul_u32_u24_sdwa v46, v46, s34 dst_sel:DWORD dst_unused:UNUSED_PAD src0_sel:WORD_1 src1_sel:DWORD
	v_pk_fma_f16 v57, v59, v46, v57
	v_pk_fma_f16 v58, v60, v58, v66
	;; [unrolled: 1-line block ×3, first 2 shown]
	v_mul_u32_u24_sdwa v46, v47, s34 dst_sel:DWORD dst_unused:UNUSED_PAD src0_sel:WORD_0 src1_sel:DWORD
	v_mul_u32_u24_sdwa v47, v47, s34 dst_sel:DWORD dst_unused:UNUSED_PAD src0_sel:WORD_1 src1_sel:DWORD
	s_waitcnt lgkmcnt(0)
	v_pk_fma_f16 v59, v61, v46, v67
	v_pk_fma_f16 v57, v61, v47, v57
	;; [unrolled: 1-line block ×4, first 2 shown]
	v_mul_u32_u24_sdwa v61, v48, s34 dst_sel:DWORD dst_unused:UNUSED_PAD src0_sel:WORD_0 src1_sel:DWORD
	v_mul_u32_u24_sdwa v62, v48, s34 dst_sel:DWORD dst_unused:UNUSED_PAD src0_sel:WORD_1 src1_sel:DWORD
	ds_read2_b64 v[45:48], v65 offset0:128 offset1:160
	v_pk_fma_f16 v59, v63, v61, v59
	v_pk_fma_f16 v57, v63, v62, v57
	;; [unrolled: 1-line block ×4, first 2 shown]
	v_mul_u32_u24_sdwa v61, v41, s34 dst_sel:DWORD dst_unused:UNUSED_PAD src0_sel:WORD_0 src1_sel:DWORD
	v_mul_u32_u24_sdwa v41, v41, s34 dst_sel:DWORD dst_unused:UNUSED_PAD src0_sel:WORD_1 src1_sel:DWORD
	s_waitcnt lgkmcnt(0)
	v_pk_fma_f16 v59, v45, v61, v59
	v_pk_fma_f16 v45, v45, v41, v57
	;; [unrolled: 1-line block ×4, first 2 shown]
	v_mul_u32_u24_sdwa v46, v42, s34 dst_sel:DWORD dst_unused:UNUSED_PAD src0_sel:WORD_0 src1_sel:DWORD
	v_pk_fma_f16 v62, v47, v46, v59
	ds_read2_b64 v[57:60], v65 offset0:192 offset1:224
	v_mul_u32_u24_sdwa v42, v42, s34 dst_sel:DWORD dst_unused:UNUSED_PAD src0_sel:WORD_1 src1_sel:DWORD
	v_pk_fma_f16 v45, v47, v42, v45
	v_pk_fma_f16 v46, v48, v46, v61
	;; [unrolled: 1-line block ×3, first 2 shown]
	v_mul_u32_u24_sdwa v42, v43, s34 dst_sel:DWORD dst_unused:UNUSED_PAD src0_sel:WORD_0 src1_sel:DWORD
	v_mul_u32_u24_sdwa v43, v43, s34 dst_sel:DWORD dst_unused:UNUSED_PAD src0_sel:WORD_1 src1_sel:DWORD
	s_waitcnt lgkmcnt(0)
	v_pk_fma_f16 v47, v57, v42, v62
	v_pk_fma_f16 v45, v57, v43, v45
	;; [unrolled: 1-line block ×4, first 2 shown]
	v_mul_u32_u24_sdwa v41, v44, s34 dst_sel:DWORD dst_unused:UNUSED_PAD src0_sel:WORD_0 src1_sel:DWORD
	v_mul_u32_u24_sdwa v58, v44, s34 dst_sel:DWORD dst_unused:UNUSED_PAD src0_sel:WORD_1 src1_sel:DWORD
	v_pk_fma_f16 v61, v59, v41, v47
	v_pk_fma_f16 v63, v60, v41, v42
	ds_read_b128 v[41:44], v1 offset:96
	v_add_u32_e32 v65, 0x1800, v24
	v_pk_fma_f16 v62, v59, v58, v45
	ds_read2_b64 v[45:48], v65 offset1:32
	v_pk_fma_f16 v64, v60, v58, v57
	ds_read_b128 v[57:60], v1 offset:112
	s_waitcnt lgkmcnt(2)
	v_mul_u32_u24_sdwa v66, v41, s34 dst_sel:DWORD dst_unused:UNUSED_PAD src0_sel:WORD_0 src1_sel:DWORD
	v_mul_u32_u24_sdwa v41, v41, s34 dst_sel:DWORD dst_unused:UNUSED_PAD src0_sel:WORD_1 src1_sel:DWORD
	s_waitcnt lgkmcnt(1)
	v_pk_fma_f16 v61, v45, v66, v61
	v_pk_fma_f16 v45, v45, v41, v62
	v_pk_fma_f16 v66, v46, v66, v63
	v_pk_fma_f16 v41, v46, v41, v64
	v_mul_u32_u24_sdwa v46, v42, s34 dst_sel:DWORD dst_unused:UNUSED_PAD src0_sel:WORD_0 src1_sel:DWORD
	v_pk_fma_f16 v67, v47, v46, v61
	ds_read2_b64 v[61:64], v65 offset0:64 offset1:96
	v_mul_u32_u24_sdwa v42, v42, s34 dst_sel:DWORD dst_unused:UNUSED_PAD src0_sel:WORD_1 src1_sel:DWORD
	v_pk_fma_f16 v45, v47, v42, v45
	v_pk_fma_f16 v46, v48, v46, v66
	v_pk_fma_f16 v41, v48, v42, v41
	v_mul_u32_u24_sdwa v42, v43, s34 dst_sel:DWORD dst_unused:UNUSED_PAD src0_sel:WORD_0 src1_sel:DWORD
	v_mul_u32_u24_sdwa v43, v43, s34 dst_sel:DWORD dst_unused:UNUSED_PAD src0_sel:WORD_1 src1_sel:DWORD
	s_waitcnt lgkmcnt(0)
	v_pk_fma_f16 v47, v61, v42, v67
	v_pk_fma_f16 v45, v61, v43, v45
	v_pk_fma_f16 v46, v62, v42, v46
	v_pk_fma_f16 v48, v62, v43, v41
	v_mul_u32_u24_sdwa v61, v44, s34 dst_sel:DWORD dst_unused:UNUSED_PAD src0_sel:WORD_0 src1_sel:DWORD
	v_mul_u32_u24_sdwa v62, v44, s34 dst_sel:DWORD dst_unused:UNUSED_PAD src0_sel:WORD_1 src1_sel:DWORD
	ds_read2_b64 v[41:44], v65 offset0:128 offset1:160
	v_pk_fma_f16 v47, v63, v61, v47
	v_pk_fma_f16 v45, v63, v62, v45
	v_pk_fma_f16 v46, v64, v61, v46
	v_pk_fma_f16 v48, v64, v62, v48
	v_mul_u32_u24_sdwa v61, v57, s34 dst_sel:DWORD dst_unused:UNUSED_PAD src0_sel:WORD_0 src1_sel:DWORD
	v_mul_u32_u24_sdwa v57, v57, s34 dst_sel:DWORD dst_unused:UNUSED_PAD src0_sel:WORD_1 src1_sel:DWORD
	s_waitcnt lgkmcnt(0)
	v_pk_fma_f16 v47, v41, v61, v47
	v_pk_fma_f16 v41, v41, v57, v45
	v_pk_fma_f16 v61, v42, v61, v46
	v_pk_fma_f16 v42, v42, v57, v48
	v_mul_u32_u24_sdwa v57, v58, s34 dst_sel:DWORD dst_unused:UNUSED_PAD src0_sel:WORD_0 src1_sel:DWORD
	v_pk_fma_f16 v62, v43, v57, v47
	ds_read2_b64 v[45:48], v65 offset0:192 offset1:224
	v_mul_u32_u24_sdwa v58, v58, s34 dst_sel:DWORD dst_unused:UNUSED_PAD src0_sel:WORD_1 src1_sel:DWORD
	v_pk_fma_f16 v41, v43, v58, v41
	v_pk_fma_f16 v43, v44, v57, v61
	v_pk_fma_f16 v42, v44, v58, v42
	v_mul_u32_u24_sdwa v44, v59, s34 dst_sel:DWORD dst_unused:UNUSED_PAD src0_sel:WORD_0 src1_sel:DWORD
	v_mul_u32_u24_sdwa v57, v59, s34 dst_sel:DWORD dst_unused:UNUSED_PAD src0_sel:WORD_1 src1_sel:DWORD
	s_waitcnt lgkmcnt(0)
	v_pk_fma_f16 v58, v45, v44, v62
	v_pk_fma_f16 v41, v45, v57, v41
	v_pk_fma_f16 v43, v46, v44, v43
	v_pk_fma_f16 v45, v46, v57, v42
	v_mul_u32_u24_sdwa v42, v60, s34 dst_sel:DWORD dst_unused:UNUSED_PAD src0_sel:WORD_0 src1_sel:DWORD
	v_mul_u32_u24_sdwa v46, v60, s34 dst_sel:DWORD dst_unused:UNUSED_PAD src0_sel:WORD_1 src1_sel:DWORD
	v_pk_fma_f16 v61, v47, v42, v58
	v_pk_fma_f16 v62, v47, v46, v41
	v_pk_fma_f16 v63, v48, v42, v43
	ds_read_b128 v[41:44], v1 offset:128
	v_add_u32_e32 v65, 0x2000, v24
	ds_read2_b64 v[57:60], v65 offset1:32
	v_pk_fma_f16 v64, v48, v46, v45
	ds_read_b128 v[45:48], v1 offset:144
	s_waitcnt lgkmcnt(2)
	v_mul_u32_u24_sdwa v66, v41, s34 dst_sel:DWORD dst_unused:UNUSED_PAD src0_sel:WORD_0 src1_sel:DWORD
	v_mul_u32_u24_sdwa v41, v41, s34 dst_sel:DWORD dst_unused:UNUSED_PAD src0_sel:WORD_1 src1_sel:DWORD
	s_waitcnt lgkmcnt(1)
	v_pk_fma_f16 v61, v57, v66, v61
	v_pk_fma_f16 v57, v57, v41, v62
	v_pk_fma_f16 v66, v58, v66, v63
	v_pk_fma_f16 v41, v58, v41, v64
	v_mul_u32_u24_sdwa v58, v42, s34 dst_sel:DWORD dst_unused:UNUSED_PAD src0_sel:WORD_0 src1_sel:DWORD
	v_pk_fma_f16 v67, v59, v58, v61
	ds_read2_b64 v[61:64], v65 offset0:64 offset1:96
	v_mul_u32_u24_sdwa v42, v42, s34 dst_sel:DWORD dst_unused:UNUSED_PAD src0_sel:WORD_1 src1_sel:DWORD
	v_pk_fma_f16 v57, v59, v42, v57
	v_pk_fma_f16 v58, v60, v58, v66
	v_pk_fma_f16 v41, v60, v42, v41
	v_mul_u32_u24_sdwa v42, v43, s34 dst_sel:DWORD dst_unused:UNUSED_PAD src0_sel:WORD_0 src1_sel:DWORD
	v_mul_u32_u24_sdwa v43, v43, s34 dst_sel:DWORD dst_unused:UNUSED_PAD src0_sel:WORD_1 src1_sel:DWORD
	s_waitcnt lgkmcnt(0)
	v_pk_fma_f16 v59, v61, v42, v67
	v_pk_fma_f16 v57, v61, v43, v57
	v_pk_fma_f16 v58, v62, v42, v58
	v_pk_fma_f16 v60, v62, v43, v41
	v_mul_u32_u24_sdwa v61, v44, s34 dst_sel:DWORD dst_unused:UNUSED_PAD src0_sel:WORD_0 src1_sel:DWORD
	v_mul_u32_u24_sdwa v62, v44, s34 dst_sel:DWORD dst_unused:UNUSED_PAD src0_sel:WORD_1 src1_sel:DWORD
	ds_read2_b64 v[41:44], v65 offset0:128 offset1:160
	v_pk_fma_f16 v59, v63, v61, v59
	v_pk_fma_f16 v57, v63, v62, v57
	v_pk_fma_f16 v58, v64, v61, v58
	v_pk_fma_f16 v60, v64, v62, v60
	v_mul_u32_u24_sdwa v61, v45, s34 dst_sel:DWORD dst_unused:UNUSED_PAD src0_sel:WORD_0 src1_sel:DWORD
	v_mul_u32_u24_sdwa v45, v45, s34 dst_sel:DWORD dst_unused:UNUSED_PAD src0_sel:WORD_1 src1_sel:DWORD
	s_waitcnt lgkmcnt(0)
	v_pk_fma_f16 v59, v41, v61, v59
	v_pk_fma_f16 v41, v41, v45, v57
	v_pk_fma_f16 v61, v42, v61, v58
	v_pk_fma_f16 v42, v42, v45, v60
	v_mul_u32_u24_sdwa v45, v46, s34 dst_sel:DWORD dst_unused:UNUSED_PAD src0_sel:WORD_0 src1_sel:DWORD
	v_pk_fma_f16 v62, v43, v45, v59
	ds_read2_b64 v[57:60], v65 offset0:192 offset1:224
	v_mul_u32_u24_sdwa v46, v46, s34 dst_sel:DWORD dst_unused:UNUSED_PAD src0_sel:WORD_1 src1_sel:DWORD
	v_pk_fma_f16 v41, v43, v46, v41
	v_pk_fma_f16 v43, v44, v45, v61
	v_pk_fma_f16 v42, v44, v46, v42
	v_mul_u32_u24_sdwa v44, v47, s34 dst_sel:DWORD dst_unused:UNUSED_PAD src0_sel:WORD_0 src1_sel:DWORD
	v_mul_u32_u24_sdwa v45, v47, s34 dst_sel:DWORD dst_unused:UNUSED_PAD src0_sel:WORD_1 src1_sel:DWORD
	s_waitcnt lgkmcnt(0)
	v_pk_fma_f16 v46, v57, v44, v62
	v_pk_fma_f16 v41, v57, v45, v41
	v_pk_fma_f16 v43, v58, v44, v43
	v_pk_fma_f16 v57, v58, v45, v42
	v_mul_u32_u24_sdwa v42, v48, s34 dst_sel:DWORD dst_unused:UNUSED_PAD src0_sel:WORD_0 src1_sel:DWORD
	v_mul_u32_u24_sdwa v58, v48, s34 dst_sel:DWORD dst_unused:UNUSED_PAD src0_sel:WORD_1 src1_sel:DWORD
	v_pk_fma_f16 v61, v59, v42, v46
	v_pk_fma_f16 v62, v59, v58, v41
	v_pk_fma_f16 v63, v60, v42, v43
	ds_read_b128 v[41:44], v1 offset:160
	v_add_u32_e32 v65, 0x2800, v24
	;; [unrolled: 60-line block ×4, first 2 shown]
	ds_read2_b64 v[45:48], v65 offset1:32
	v_pk_fma_f16 v64, v60, v58, v57
	ds_read_b128 v[57:60], v1 offset:240
	s_waitcnt lgkmcnt(2)
	v_mul_u32_u24_sdwa v66, v41, s34 dst_sel:DWORD dst_unused:UNUSED_PAD src0_sel:WORD_0 src1_sel:DWORD
	v_mul_u32_u24_sdwa v41, v41, s34 dst_sel:DWORD dst_unused:UNUSED_PAD src0_sel:WORD_1 src1_sel:DWORD
	s_waitcnt lgkmcnt(1)
	v_pk_fma_f16 v61, v45, v66, v61
	v_pk_fma_f16 v45, v45, v41, v62
	;; [unrolled: 1-line block ×4, first 2 shown]
	v_mul_u32_u24_sdwa v46, v42, s34 dst_sel:DWORD dst_unused:UNUSED_PAD src0_sel:WORD_0 src1_sel:DWORD
	v_pk_fma_f16 v67, v47, v46, v61
	ds_read2_b64 v[61:64], v65 offset0:64 offset1:96
	v_mul_u32_u24_sdwa v42, v42, s34 dst_sel:DWORD dst_unused:UNUSED_PAD src0_sel:WORD_1 src1_sel:DWORD
	v_pk_fma_f16 v45, v47, v42, v45
	v_pk_fma_f16 v46, v48, v46, v66
	;; [unrolled: 1-line block ×3, first 2 shown]
	v_mul_u32_u24_sdwa v42, v43, s34 dst_sel:DWORD dst_unused:UNUSED_PAD src0_sel:WORD_0 src1_sel:DWORD
	v_mul_u32_u24_sdwa v43, v43, s34 dst_sel:DWORD dst_unused:UNUSED_PAD src0_sel:WORD_1 src1_sel:DWORD
	s_waitcnt lgkmcnt(0)
	v_pk_fma_f16 v47, v61, v42, v67
	v_pk_fma_f16 v45, v61, v43, v45
	v_pk_fma_f16 v46, v62, v42, v46
	v_pk_fma_f16 v48, v62, v43, v41
	v_mul_u32_u24_sdwa v61, v44, s34 dst_sel:DWORD dst_unused:UNUSED_PAD src0_sel:WORD_0 src1_sel:DWORD
	v_mul_u32_u24_sdwa v62, v44, s34 dst_sel:DWORD dst_unused:UNUSED_PAD src0_sel:WORD_1 src1_sel:DWORD
	ds_read2_b64 v[41:44], v65 offset0:128 offset1:160
	v_pk_fma_f16 v47, v63, v61, v47
	v_pk_fma_f16 v45, v63, v62, v45
	v_pk_fma_f16 v46, v64, v61, v46
	v_pk_fma_f16 v48, v64, v62, v48
	v_mul_u32_u24_sdwa v61, v57, s34 dst_sel:DWORD dst_unused:UNUSED_PAD src0_sel:WORD_0 src1_sel:DWORD
	v_mul_u32_u24_sdwa v57, v57, s34 dst_sel:DWORD dst_unused:UNUSED_PAD src0_sel:WORD_1 src1_sel:DWORD
	s_waitcnt lgkmcnt(0)
	v_pk_fma_f16 v47, v41, v61, v47
	v_pk_fma_f16 v41, v41, v57, v45
	;; [unrolled: 1-line block ×4, first 2 shown]
	v_mul_u32_u24_sdwa v57, v58, s34 dst_sel:DWORD dst_unused:UNUSED_PAD src0_sel:WORD_0 src1_sel:DWORD
	v_pk_fma_f16 v62, v43, v57, v47
	ds_read2_b64 v[45:48], v65 offset0:192 offset1:224
	s_waitcnt lgkmcnt(0)
	s_barrier
	s_load_dword s8, s[0:1], 0x4
	v_mul_u32_u24_sdwa v58, v58, s34 dst_sel:DWORD dst_unused:UNUSED_PAD src0_sel:WORD_1 src1_sel:DWORD
	v_pk_fma_f16 v41, v43, v58, v41
	v_pk_fma_f16 v43, v44, v57, v61
	;; [unrolled: 1-line block ×3, first 2 shown]
	v_mul_u32_u24_sdwa v44, v59, s34 dst_sel:DWORD dst_unused:UNUSED_PAD src0_sel:WORD_0 src1_sel:DWORD
	v_mul_u32_u24_sdwa v57, v59, s34 dst_sel:DWORD dst_unused:UNUSED_PAD src0_sel:WORD_1 src1_sel:DWORD
	s_waitcnt lgkmcnt(0)
	s_lshl_b32 s8, s8, 6
	v_pk_fma_f16 v58, v45, v44, v62
	v_pk_fma_f16 v41, v45, v57, v41
	;; [unrolled: 1-line block ×4, first 2 shown]
	v_mul_u32_u24_sdwa v46, v60, s34 dst_sel:DWORD dst_unused:UNUSED_PAD src0_sel:WORD_0 src1_sel:DWORD
	v_mul_u32_u24_sdwa v57, v60, s34 dst_sel:DWORD dst_unused:UNUSED_PAD src0_sel:WORD_1 src1_sel:DWORD
	s_add_i32 s6, s8, s6
	v_pk_fma_f16 v43, v47, v46, v58
	v_pk_fma_f16 v42, v47, v57, v41
	;; [unrolled: 1-line block ×3, first 2 shown]
	s_cmp_ge_i32 s6, s28
	v_pk_fma_f16 v41, v48, v57, v45
	s_cbranch_scc1 .LBB77_7
; %bb.29:                               ;   in Loop: Header=BB77_12 Depth=1
	v_mov_b32_e32 v48, v19
	v_mov_b32_e32 v46, v20
	;; [unrolled: 1-line block ×4, first 2 shown]
	s_branch .LBB77_12
.LBB77_30:
	v_mov_b32_e32 v4, v2
	v_mov_b32_e32 v3, v1
	v_cmp_gt_i32_e32 vcc, s2, v21
	s_and_saveexec_b64 s[0:1], vcc
	s_cbranch_execz .LBB77_9
.LBB77_31:
	s_load_dword s6, s[4:5], 0xd4
	v_mov_b32_e32 v5, 1.0
	s_waitcnt lgkmcnt(0)
	s_cmp_lg_u32 s6, 1
	s_cselect_b64 s[0:1], -1, 0
	s_cmp_eq_u32 s6, 1
	s_cselect_b64 s[4:5], -1, 0
	s_and_b64 vcc, exec, s[0:1]
	s_cbranch_vccnz .LBB77_33
; %bb.32:
	v_div_scale_f32 v5, s[8:9], v1, v1, 1.0
	v_div_scale_f32 v6, vcc, 1.0, v1, 1.0
	v_rcp_f32_e32 v7, v5
	v_fma_f32 v8, -v5, v7, 1.0
	v_fmac_f32_e32 v7, v8, v7
	v_mul_f32_e32 v8, v6, v7
	v_fma_f32 v9, -v5, v8, v6
	v_fmac_f32_e32 v8, v9, v7
	v_fma_f32 v5, -v5, v8, v6
	v_div_fmas_f32 v5, v5, v7, v8
	v_div_fixup_f32 v5, v5, v1, 1.0
.LBB77_33:
	s_mul_i32 s33, s33, s2
	v_add_u32_e32 v1, s33, v21
	v_mul_lo_u32 v1, v1, s3
	v_cmp_eq_u32_e32 vcc, 0, v0
	v_mov_b32_e32 v11, 0
	v_cvt_f32_f16_e32 v6, v43
	v_add3_u32 v0, s29, v22, v1
	v_mul_lo_u32 v0, s6, v0
	v_cvt_f32_f16_sdwa v1, v43 dst_sel:DWORD dst_unused:UNUSED_PAD src0_sel:WORD_1
	v_cvt_f32_f16_e32 v8, v44
	v_cvt_f32_f16_sdwa v9, v44 dst_sel:DWORD dst_unused:UNUSED_PAD src0_sel:WORD_1
	v_add_u32_e32 v0, s7, v0
	v_lshl_add_u32 v10, v0, 7, v23
	v_lshlrev_b64 v[10:11], 2, v[10:11]
	s_and_b64 s[0:1], vcc, s[0:1]
	v_mul_f32_e32 v7, v5, v1
	v_mov_b32_e32 v1, s21
	v_add_co_u32_e32 v10, vcc, s20, v10
	v_mul_f32_e32 v6, v5, v6
	v_mul_f32_e32 v8, v5, v8
	;; [unrolled: 1-line block ×3, first 2 shown]
	v_addc_co_u32_e32 v11, vcc, v1, v11, vcc
	global_store_dwordx4 v[10:11], v[6:9], off
	s_and_saveexec_b64 s[2:3], s[0:1]
	s_cbranch_execz .LBB77_35
; %bb.34:
	v_ashrrev_i32_e32 v1, 31, v0
	v_lshlrev_b64 v[5:6], 3, v[0:1]
	v_mov_b32_e32 v1, s23
	v_add_co_u32_e32 v5, vcc, s22, v5
	v_addc_co_u32_e32 v6, vcc, v1, v6, vcc
	v_mov_b32_e32 v7, v19
	v_mov_b32_e32 v8, v3
	global_store_dwordx2 v[5:6], v[7:8], off
.LBB77_35:
	s_or_b64 exec, exec, s[2:3]
	s_andn2_b64 vcc, exec, s[4:5]
	v_mov_b32_e32 v1, 1.0
	s_cbranch_vccnz .LBB77_37
; %bb.36:
	v_div_scale_f32 v1, s[2:3], v2, v2, 1.0
	v_div_scale_f32 v3, vcc, 1.0, v2, 1.0
	v_rcp_f32_e32 v5, v1
	v_fma_f32 v6, -v1, v5, 1.0
	v_fmac_f32_e32 v5, v6, v5
	v_mul_f32_e32 v6, v3, v5
	v_fma_f32 v7, -v1, v6, v3
	v_fmac_f32_e32 v6, v7, v5
	v_fma_f32 v1, -v1, v6, v3
	v_div_fmas_f32 v1, v1, v5, v6
	v_div_fixup_f32 v1, v1, v2, 1.0
.LBB77_37:
	v_cvt_f32_f16_e32 v5, v42
	v_cvt_f32_f16_sdwa v6, v42 dst_sel:DWORD dst_unused:UNUSED_PAD src0_sel:WORD_1
	v_cvt_f32_f16_e32 v7, v41
	v_cvt_f32_f16_sdwa v8, v41 dst_sel:DWORD dst_unused:UNUSED_PAD src0_sel:WORD_1
	v_add_u32_e32 v0, s6, v0
	v_lshl_add_u32 v2, v0, 7, v23
	v_mov_b32_e32 v3, 0
	v_mul_f32_e32 v5, v1, v5
	v_mul_f32_e32 v6, v1, v6
	;; [unrolled: 1-line block ×4, first 2 shown]
	v_lshlrev_b64 v[1:2], 2, v[2:3]
	v_mov_b32_e32 v3, s21
	v_add_co_u32_e32 v1, vcc, s20, v1
	v_addc_co_u32_e32 v2, vcc, v3, v2, vcc
	global_store_dwordx4 v[1:2], v[5:8], off
	s_and_b64 exec, exec, s[0:1]
	s_cbranch_execz .LBB77_9
; %bb.38:
	v_ashrrev_i32_e32 v1, 31, v0
	v_lshlrev_b64 v[0:1], 3, v[0:1]
	v_mov_b32_e32 v2, s23
	v_add_co_u32_e32 v0, vcc, s22, v0
	v_addc_co_u32_e32 v1, vcc, v2, v1, vcc
	v_mov_b32_e32 v3, v20
	global_store_dwordx2 v[0:1], v[3:4], off
	s_endpgm
	.section	.rodata,"a",@progbits
	.p2align	6, 0x0
	.amdhsa_kernel _ZL15flash_attn_tileILi128ELi128ELi4ELi4ELb1EEvPKcS1_S1_S1_S1_PKiPfP15HIP_vector_typeIfLj2EEffffjfiS5_IjLj3EEiiiiiiiiiiiliiliiiiil
		.amdhsa_group_segment_fixed_size 23552
		.amdhsa_private_segment_fixed_size 0
		.amdhsa_kernarg_size 464
		.amdhsa_user_sgpr_count 6
		.amdhsa_user_sgpr_private_segment_buffer 1
		.amdhsa_user_sgpr_dispatch_ptr 0
		.amdhsa_user_sgpr_queue_ptr 0
		.amdhsa_user_sgpr_kernarg_segment_ptr 1
		.amdhsa_user_sgpr_dispatch_id 0
		.amdhsa_user_sgpr_flat_scratch_init 0
		.amdhsa_user_sgpr_private_segment_size 0
		.amdhsa_uses_dynamic_stack 0
		.amdhsa_system_sgpr_private_segment_wavefront_offset 0
		.amdhsa_system_sgpr_workgroup_id_x 1
		.amdhsa_system_sgpr_workgroup_id_y 1
		.amdhsa_system_sgpr_workgroup_id_z 1
		.amdhsa_system_sgpr_workgroup_info 0
		.amdhsa_system_vgpr_workitem_id 1
		.amdhsa_next_free_vgpr 85
		.amdhsa_next_free_sgpr 98
		.amdhsa_reserve_vcc 1
		.amdhsa_reserve_flat_scratch 0
		.amdhsa_float_round_mode_32 0
		.amdhsa_float_round_mode_16_64 0
		.amdhsa_float_denorm_mode_32 3
		.amdhsa_float_denorm_mode_16_64 3
		.amdhsa_dx10_clamp 1
		.amdhsa_ieee_mode 1
		.amdhsa_fp16_overflow 0
		.amdhsa_exception_fp_ieee_invalid_op 0
		.amdhsa_exception_fp_denorm_src 0
		.amdhsa_exception_fp_ieee_div_zero 0
		.amdhsa_exception_fp_ieee_overflow 0
		.amdhsa_exception_fp_ieee_underflow 0
		.amdhsa_exception_fp_ieee_inexact 0
		.amdhsa_exception_int_div_zero 0
	.end_amdhsa_kernel
	.section	.text._ZL15flash_attn_tileILi128ELi128ELi4ELi4ELb1EEvPKcS1_S1_S1_S1_PKiPfP15HIP_vector_typeIfLj2EEffffjfiS5_IjLj3EEiiiiiiiiiiiliiliiiiil,"axG",@progbits,_ZL15flash_attn_tileILi128ELi128ELi4ELi4ELb1EEvPKcS1_S1_S1_S1_PKiPfP15HIP_vector_typeIfLj2EEffffjfiS5_IjLj3EEiiiiiiiiiiiliiliiiiil,comdat
.Lfunc_end77:
	.size	_ZL15flash_attn_tileILi128ELi128ELi4ELi4ELb1EEvPKcS1_S1_S1_S1_PKiPfP15HIP_vector_typeIfLj2EEffffjfiS5_IjLj3EEiiiiiiiiiiiliiliiiiil, .Lfunc_end77-_ZL15flash_attn_tileILi128ELi128ELi4ELi4ELb1EEvPKcS1_S1_S1_S1_PKiPfP15HIP_vector_typeIfLj2EEffffjfiS5_IjLj3EEiiiiiiiiiiiliiliiiiil
                                        ; -- End function
	.set _ZL15flash_attn_tileILi128ELi128ELi4ELi4ELb1EEvPKcS1_S1_S1_S1_PKiPfP15HIP_vector_typeIfLj2EEffffjfiS5_IjLj3EEiiiiiiiiiiiliiliiiiil.num_vgpr, 80
	.set _ZL15flash_attn_tileILi128ELi128ELi4ELi4ELb1EEvPKcS1_S1_S1_S1_PKiPfP15HIP_vector_typeIfLj2EEffffjfiS5_IjLj3EEiiiiiiiiiiiliiliiiiil.num_agpr, 0
	.set _ZL15flash_attn_tileILi128ELi128ELi4ELi4ELb1EEvPKcS1_S1_S1_S1_PKiPfP15HIP_vector_typeIfLj2EEffffjfiS5_IjLj3EEiiiiiiiiiiiliiliiiiil.numbered_sgpr, 44
	.set _ZL15flash_attn_tileILi128ELi128ELi4ELi4ELb1EEvPKcS1_S1_S1_S1_PKiPfP15HIP_vector_typeIfLj2EEffffjfiS5_IjLj3EEiiiiiiiiiiiliiliiiiil.num_named_barrier, 0
	.set _ZL15flash_attn_tileILi128ELi128ELi4ELi4ELb1EEvPKcS1_S1_S1_S1_PKiPfP15HIP_vector_typeIfLj2EEffffjfiS5_IjLj3EEiiiiiiiiiiiliiliiiiil.private_seg_size, 0
	.set _ZL15flash_attn_tileILi128ELi128ELi4ELi4ELb1EEvPKcS1_S1_S1_S1_PKiPfP15HIP_vector_typeIfLj2EEffffjfiS5_IjLj3EEiiiiiiiiiiiliiliiiiil.uses_vcc, 1
	.set _ZL15flash_attn_tileILi128ELi128ELi4ELi4ELb1EEvPKcS1_S1_S1_S1_PKiPfP15HIP_vector_typeIfLj2EEffffjfiS5_IjLj3EEiiiiiiiiiiiliiliiiiil.uses_flat_scratch, 0
	.set _ZL15flash_attn_tileILi128ELi128ELi4ELi4ELb1EEvPKcS1_S1_S1_S1_PKiPfP15HIP_vector_typeIfLj2EEffffjfiS5_IjLj3EEiiiiiiiiiiiliiliiiiil.has_dyn_sized_stack, 0
	.set _ZL15flash_attn_tileILi128ELi128ELi4ELi4ELb1EEvPKcS1_S1_S1_S1_PKiPfP15HIP_vector_typeIfLj2EEffffjfiS5_IjLj3EEiiiiiiiiiiiliiliiiiil.has_recursion, 0
	.set _ZL15flash_attn_tileILi128ELi128ELi4ELi4ELb1EEvPKcS1_S1_S1_S1_PKiPfP15HIP_vector_typeIfLj2EEffffjfiS5_IjLj3EEiiiiiiiiiiiliiliiiiil.has_indirect_call, 0
	.section	.AMDGPU.csdata,"",@progbits
; Kernel info:
; codeLenInByte = 11540
; TotalNumSgprs: 48
; NumVgprs: 80
; ScratchSize: 0
; MemoryBound: 0
; FloatMode: 240
; IeeeMode: 1
; LDSByteSize: 23552 bytes/workgroup (compile time only)
; SGPRBlocks: 12
; VGPRBlocks: 21
; NumSGPRsForWavesPerEU: 102
; NumVGPRsForWavesPerEU: 85
; Occupancy: 2
; WaveLimiterHint : 1
; COMPUTE_PGM_RSRC2:SCRATCH_EN: 0
; COMPUTE_PGM_RSRC2:USER_SGPR: 6
; COMPUTE_PGM_RSRC2:TRAP_HANDLER: 0
; COMPUTE_PGM_RSRC2:TGID_X_EN: 1
; COMPUTE_PGM_RSRC2:TGID_Y_EN: 1
; COMPUTE_PGM_RSRC2:TGID_Z_EN: 1
; COMPUTE_PGM_RSRC2:TIDIG_COMP_CNT: 1
	.section	.text._ZL15flash_attn_tileILi128ELi128ELi2ELi4ELb1EEvPKcS1_S1_S1_S1_PKiPfP15HIP_vector_typeIfLj2EEffffjfiS5_IjLj3EEiiiiiiiiiiiliiliiiiil,"axG",@progbits,_ZL15flash_attn_tileILi128ELi128ELi2ELi4ELb1EEvPKcS1_S1_S1_S1_PKiPfP15HIP_vector_typeIfLj2EEffffjfiS5_IjLj3EEiiiiiiiiiiiliiliiiiil,comdat
	.globl	_ZL15flash_attn_tileILi128ELi128ELi2ELi4ELb1EEvPKcS1_S1_S1_S1_PKiPfP15HIP_vector_typeIfLj2EEffffjfiS5_IjLj3EEiiiiiiiiiiiliiliiiiil ; -- Begin function _ZL15flash_attn_tileILi128ELi128ELi2ELi4ELb1EEvPKcS1_S1_S1_S1_PKiPfP15HIP_vector_typeIfLj2EEffffjfiS5_IjLj3EEiiiiiiiiiiiliiliiiiil
	.p2align	8
	.type	_ZL15flash_attn_tileILi128ELi128ELi2ELi4ELb1EEvPKcS1_S1_S1_S1_PKiPfP15HIP_vector_typeIfLj2EEffffjfiS5_IjLj3EEiiiiiiiiiiiliiliiiiil,@function
_ZL15flash_attn_tileILi128ELi128ELi2ELi4ELb1EEvPKcS1_S1_S1_S1_PKiPfP15HIP_vector_typeIfLj2EEffffjfiS5_IjLj3EEiiiiiiiiiiiliiliiiiil: ; @_ZL15flash_attn_tileILi128ELi128ELi2ELi4ELb1EEvPKcS1_S1_S1_S1_PKiPfP15HIP_vector_typeIfLj2EEffffjfiS5_IjLj3EEiiiiiiiiiiiliiliiiiil
; %bb.0:
	s_load_dwordx4 s[0:3], s[4:5], 0x5c
	s_load_dwordx2 s[28:29], s[4:5], 0x80
	s_load_dwordx2 s[34:35], s[4:5], 0xb8
	s_mov_b64 s[30:31], 0
	s_waitcnt lgkmcnt(0)
	s_ashr_i32 s9, s3, 31
	s_lshr_b32 s9, s9, 30
	s_add_i32 s9, s3, s9
	s_ashr_i32 s9, s9, 2
	v_cvt_f32_u32_e32 v2, s9
	s_sub_i32 s10, 0, s9
	v_rcp_iflag_f32_e32 v2, v2
	v_mul_f32_e32 v2, 0x4f7ffffe, v2
	v_cvt_u32_f32_e32 v2, v2
	v_readfirstlane_b32 s11, v2
	s_mul_i32 s10, s10, s11
	s_mul_hi_u32 s10, s11, s10
	s_add_i32 s11, s11, s10
	s_mul_hi_u32 s10, s8, s11
	s_mul_i32 s11, s10, s9
	s_sub_i32 s11, s8, s11
	s_add_i32 s12, s10, 1
	s_sub_i32 s13, s11, s9
	s_cmp_ge_u32 s11, s9
	s_cselect_b32 s10, s12, s10
	s_cselect_b32 s11, s13, s11
	s_add_i32 s12, s10, 1
	s_cmp_ge_u32 s11, s9
	s_cselect_b32 s33, s12, s10
	s_abs_i32 s9, s29
	v_cvt_f32_u32_e32 v2, s9
	s_lshl_b32 s8, s8, 2
	s_mul_i32 s12, s33, s3
	s_xor_b32 s10, s3, s29
	v_rcp_iflag_f32_e32 v2, v2
	s_sub_i32 s13, 0, s9
	s_sub_i32 s29, s8, s12
	s_abs_i32 s11, s3
	v_mul_f32_e32 v2, 0x4f7ffffe, v2
	v_cvt_u32_f32_e32 v2, v2
	s_ashr_i32 s10, s10, 31
	v_readfirstlane_b32 s8, v2
	s_mul_i32 s13, s13, s8
	s_mul_hi_u32 s12, s8, s13
	s_add_i32 s8, s8, s12
	s_mul_hi_u32 s8, s11, s8
	s_mul_i32 s12, s8, s9
	s_sub_i32 s11, s11, s12
	s_add_i32 s13, s8, 1
	s_sub_i32 s12, s11, s9
	s_cmp_ge_u32 s11, s9
	s_cselect_b32 s8, s13, s8
	s_cselect_b32 s11, s12, s11
	s_add_i32 s12, s8, 1
	s_cmp_ge_u32 s11, s9
	s_cselect_b32 s8, s12, s8
	s_xor_b32 s8, s8, s10
	s_sub_i32 s37, s8, s10
	s_abs_i32 s36, s37
	v_cvt_f32_u32_e32 v2, s36
	s_load_dwordx16 s[8:23], s[4:5], 0x0
	v_rcp_iflag_f32_e32 v2, v2
	s_waitcnt lgkmcnt(0)
	s_cmp_eq_u64 s[14:15], 0
	v_mul_f32_e32 v2, 0x4f7ffffe, v2
	v_cvt_u32_f32_e32 v2, v2
	v_readfirstlane_b32 s38, v2
	s_cbranch_scc1 .LBB78_2
; %bb.1:
	s_abs_i32 s26, s34
	v_cvt_f32_u32_e32 v2, s26
	s_sub_i32 s31, 0, s26
	s_abs_i32 s30, s33
	s_ashr_i32 s27, s33, 31
	v_rcp_iflag_f32_e32 v2, v2
	s_load_dwordx2 s[24:25], s[4:5], 0xc8
	v_mul_f32_e32 v2, 0x4f7ffffe, v2
	v_cvt_u32_f32_e32 v2, v2
	v_readfirstlane_b32 s34, v2
	s_mul_i32 s31, s31, s34
	s_mul_hi_u32 s31, s34, s31
	s_add_i32 s34, s34, s31
	s_mul_hi_u32 s31, s30, s34
	s_mul_i32 s31, s31, s26
	s_sub_i32 s30, s30, s31
	s_sub_i32 s31, s30, s26
	s_cmp_ge_u32 s30, s26
	s_cselect_b32 s30, s31, s30
	s_sub_i32 s31, s30, s26
	s_cmp_ge_u32 s30, s26
	s_cselect_b32 s26, s31, s30
	s_xor_b32 s26, s26, s27
	s_sub_i32 s26, s26, s27
	s_ashr_i32 s27, s26, 31
	s_waitcnt lgkmcnt(0)
	s_mul_hi_u32 s30, s24, s26
	s_mul_i32 s27, s24, s27
	s_mul_i32 s25, s25, s26
	s_add_i32 s27, s30, s27
	s_add_i32 s27, s27, s25
	s_mul_i32 s24, s24, s26
	s_add_u32 s30, s14, s24
	s_addc_u32 s31, s15, s27
.LBB78_2:
	v_lshrrev_b32_e32 v2, 2, v1
	s_load_dwordx4 s[24:27], s[4:5], 0x70
	v_lshl_add_u32 v22, s6, 1, v2
	v_mul_hi_u32 v2, s0, v22
	v_and_b32_e32 v21, 3, v1
	v_lshlrev_b32_e32 v24, 3, v0
	s_waitcnt lgkmcnt(0)
	s_mul_i32 s14, s33, s26
	v_add_u32_e32 v2, v22, v2
	s_ashr_i32 s26, s14, 31
	v_lshrrev_b32_e32 v2, s1, v2
	s_mul_i32 s15, s29, s25
	s_add_u32 s8, s8, s14
	v_mul_lo_u32 v2, v2, s2
	s_addc_u32 s9, s9, s26
	s_ashr_i32 s14, s15, 31
	s_add_u32 s26, s8, s15
	s_addc_u32 s27, s9, s14
	s_ashr_i32 s9, s25, 31
	s_mov_b32 s8, s25
	s_ashr_i32 s25, s24, 31
	s_lshr_b64 s[14:15], s[8:9], 2
	v_sub_u32_e32 v2, v22, v2
	s_lshr_b64 s[0:1], s[24:25], 2
	v_mad_u64_u32 v[3:4], s[14:15], s14, v21, 0
	v_mad_u64_u32 v[5:6], s[0:1], s0, v2, 0
	s_lshr_b32 s0, s9, 2
	v_mad_u64_u32 v[7:8], s[0:1], s0, v21, v[4:5]
	v_mov_b32_e32 v4, v6
	s_lshr_b32 s0, s25, 2
	v_mad_u64_u32 v[8:9], s[0:1], s0, v2, v[4:5]
	v_mov_b32_e32 v4, v7
	v_lshlrev_b64 v[3:4], 2, v[3:4]
	v_mov_b32_e32 v6, v8
	v_mov_b32_e32 v7, s27
	v_add_co_u32_e32 v8, vcc, s26, v3
	v_addc_co_u32_e32 v7, vcc, v7, v4, vcc
	v_lshlrev_b64 v[3:4], 2, v[5:6]
	v_lshlrev_b32_e32 v5, 4, v0
	v_add_co_u32_e32 v3, vcc, v8, v3
	v_addc_co_u32_e32 v4, vcc, v7, v4, vcc
	v_add_co_u32_e32 v3, vcc, v3, v5
	v_addc_co_u32_e32 v4, vcc, 0, v4, vcc
	global_load_dwordx4 v[3:6], v[3:4], off
	s_load_dword s0, s[4:5], 0x40
	v_mov_b32_e32 v7, 0x4400
	v_lshl_add_u32 v25, v1, 8, v7
	v_add_u32_e32 v7, v25, v24
	s_cmp_eq_u64 s[18:19], 0
	s_waitcnt vmcnt(0) lgkmcnt(0)
	v_fma_mixlo_f16 v3, s0, v3, 0
	v_fma_mixlo_f16 v4, s0, v4, 0
	;; [unrolled: 1-line block ×4, first 2 shown]
	v_lshlrev_b32_e32 v4, 16, v4
	v_and_b32_e32 v3, 0xffff, v3
	v_lshlrev_b32_e32 v6, 16, v6
	v_and_b32_e32 v5, 0xffff, v5
	v_or_b32_e32 v3, v4, v3
	v_or3_b32 v4, v6, v5, 0
	v_or3_b32 v3, 0, 0, v3
	ds_write_b64 v7, v[3:4]
	s_waitcnt lgkmcnt(0)
	s_barrier
	s_cbranch_scc1 .LBB78_4
; %bb.3:
	s_load_dword s0, s[4:5], 0xd0
	s_mov_b32 s1, 0
	s_waitcnt lgkmcnt(0)
	s_mul_i32 s0, s0, s33
	s_add_i32 s0, s0, s6
	s_lshl_b64 s[0:1], s[0:1], 2
	s_add_u32 s0, s18, s0
	s_addc_u32 s1, s19, s1
	s_load_dword s28, s[0:1], 0x0
.LBB78_4:
	s_lshl_b32 s6, s7, 6
	s_waitcnt lgkmcnt(0)
	s_cmp_lt_i32 s6, s28
	v_mbcnt_lo_u32_b32 v44, -1, 0
	s_cbranch_scc1 .LBB78_13
; %bb.5:
	v_mbcnt_hi_u32_b32 v26, -1, v44
	v_and_b32_e32 v3, 0x60, v26
	v_add_u32_e32 v48, 32, v3
	v_xor_b32_e32 v47, 16, v26
	v_xor_b32_e32 v20, 8, v26
	;; [unrolled: 1-line block ×5, first 2 shown]
	v_lshlrev_b32_e32 v23, 2, v0
	s_cbranch_execz .LBB78_14
; %bb.6:
	v_mov_b32_e32 v44, 0
	v_mov_b32_e32 v51, 0
	;; [unrolled: 1-line block ×4, first 2 shown]
.LBB78_7:
	v_cmp_lt_i32_e32 vcc, v47, v48
	v_cndmask_b32_e32 v2, v26, v47, vcc
	v_lshlrev_b32_e32 v2, 2, v2
	ds_bpermute_b32 v2, v2, v51
	v_cmp_lt_i32_e32 vcc, v20, v48
	v_cndmask_b32_e32 v3, v26, v20, vcc
	v_lshlrev_b32_e32 v3, 2, v3
	v_cmp_lt_i32_e32 vcc, v19, v48
	s_waitcnt lgkmcnt(0)
	v_add_f32_e32 v2, v51, v2
	ds_bpermute_b32 v3, v3, v2
	v_cndmask_b32_e32 v4, v26, v19, vcc
	v_lshlrev_b32_e32 v4, 2, v4
	v_cmp_lt_i32_e32 vcc, v49, v48
	s_cmp_lg_u64 s[16:17], 0
	s_waitcnt lgkmcnt(0)
	v_add_f32_e32 v2, v2, v3
	ds_bpermute_b32 v3, v4, v2
	v_cndmask_b32_e32 v4, v26, v49, vcc
	v_lshlrev_b32_e32 v4, 2, v4
	v_cmp_lt_i32_e32 vcc, v50, v48
	s_cselect_b64 s[0:1], -1, 0
	s_waitcnt lgkmcnt(0)
	v_add_f32_e32 v2, v2, v3
	ds_bpermute_b32 v3, v4, v2
	v_cndmask_b32_e32 v4, v26, v50, vcc
	v_lshlrev_b32_e32 v4, 2, v4
	s_cmp_eq_u32 s7, 0
	s_cselect_b64 s[8:9], -1, 0
	s_waitcnt lgkmcnt(0)
	v_add_f32_e32 v2, v2, v3
	ds_bpermute_b32 v3, v4, v2
	s_and_b64 s[0:1], s[8:9], s[0:1]
	s_and_b64 vcc, exec, s[0:1]
	s_waitcnt lgkmcnt(0)
	v_add_f32_e32 v2, v2, v3
	s_cbranch_vccz .LBB78_9
; %bb.8:
	v_add_u32_e32 v3, s29, v21
	v_ashrrev_i32_e32 v4, 31, v3
	v_lshlrev_b64 v[3:4], 2, v[3:4]
	v_mov_b32_e32 v5, s17
	v_add_co_u32_e32 v3, vcc, s16, v3
	v_addc_co_u32_e32 v4, vcc, v5, v4, vcc
	global_load_dword v3, v[3:4], off
	v_max_f32_e32 v4, v1, v1
	s_mov_b32 s0, 0x3fb8aa3b
	s_mov_b32 s1, 0xc2ce8ed0
	s_waitcnt vmcnt(0)
	v_max_f32_e32 v5, v3, v3
	v_max_f32_e32 v4, v4, v5
	v_sub_f32_e32 v1, v1, v4
	v_sub_f32_e32 v3, v3, v4
	v_mul_f32_e32 v5, 0x3fb8aa3b, v1
	v_mul_f32_e32 v6, 0x3fb8aa3b, v3
	v_fma_f32 v7, v1, s0, -v5
	v_rndne_f32_e32 v8, v5
	v_fma_f32 v9, v3, s0, -v6
	v_rndne_f32_e32 v10, v6
	v_fmac_f32_e32 v7, 0x32a5705f, v1
	v_sub_f32_e32 v5, v5, v8
	v_fmac_f32_e32 v9, 0x32a5705f, v3
	v_sub_f32_e32 v6, v6, v10
	v_add_f32_e32 v5, v5, v7
	v_cvt_i32_f32_e32 v8, v8
	v_add_f32_e32 v6, v6, v9
	v_exp_f32_e32 v5, v5
	v_cvt_i32_f32_e32 v10, v10
	v_exp_f32_e32 v6, v6
	v_cmp_ngt_f32_e32 vcc, s1, v1
	v_ldexp_f32 v5, v5, v8
	s_mov_b32 s0, 0x42b17218
	v_ldexp_f32 v6, v6, v10
	v_cndmask_b32_e32 v5, 0, v5, vcc
	v_cmp_ngt_f32_e32 vcc, s1, v3
	v_mov_b32_e32 v7, 0x7f800000
	v_cndmask_b32_e32 v6, 0, v6, vcc
	v_cmp_nlt_f32_e32 vcc, s0, v1
	v_cndmask_b32_e32 v1, v7, v5, vcc
	v_cvt_f16_f32_e32 v5, v1
	v_cmp_nlt_f32_e32 vcc, s0, v3
	v_cndmask_b32_e32 v3, v7, v6, vcc
	v_fmac_f32_e32 v3, v2, v1
	v_mul_u32_u24_e32 v1, 0x10001, v5
	v_mov_b32_e32 v2, v3
	v_pk_mul_f16 v43, v43, v1
	v_pk_mul_f16 v44, v44, v1
	v_mov_b32_e32 v1, v4
.LBB78_9:
	v_cmp_gt_i32_e32 vcc, s2, v22
	s_and_saveexec_b64 s[0:1], vcc
	s_cbranch_execz .LBB78_12
; %bb.10:
	v_div_scale_f32 v3, s[0:1], v2, v2, 1.0
	v_div_scale_f32 v4, vcc, 1.0, v2, 1.0
	s_mul_i32 s33, s33, s2
	v_add_u32_e32 v8, s33, v22
	s_load_dword s0, s[4:5], 0xd4
	v_mul_lo_u32 v8, v8, s3
	v_mov_b32_e32 v5, 0
	v_mov_b32_e32 v7, s21
	v_cvt_f32_f16_e32 v11, v44
	v_cvt_f32_f16_sdwa v12, v44 dst_sel:DWORD dst_unused:UNUSED_PAD src0_sel:WORD_1
	s_waitcnt lgkmcnt(0)
	s_cmp_lg_u32 s0, 1
	v_rcp_f32_e32 v6, v3
	v_fma_f32 v9, -v3, v6, 1.0
	v_fmac_f32_e32 v6, v9, v6
	v_mul_f32_e32 v9, v4, v6
	v_fma_f32 v10, -v3, v9, v4
	v_fmac_f32_e32 v9, v10, v6
	v_fma_f32 v3, -v3, v9, v4
	v_div_fmas_f32 v6, v3, v6, v9
	v_add3_u32 v3, s29, v21, v8
	v_mul_lo_u32 v3, s0, v3
	v_cmp_eq_u32_e32 vcc, 0, v0
	v_cvt_f32_f16_e32 v0, v43
	v_cvt_f32_f16_sdwa v10, v43 dst_sel:DWORD dst_unused:UNUSED_PAD src0_sel:WORD_1
	v_add_u32_e32 v3, s7, v3
	v_lshl_add_u32 v4, v3, 7, v23
	v_lshlrev_b64 v[4:5], 2, v[4:5]
	v_add_co_u32_e64 v8, s[0:1], s20, v4
	v_addc_co_u32_e64 v9, s[0:1], v7, v5, s[0:1]
	s_cselect_b64 s[0:1], -1, 0
	v_div_fixup_f32 v4, v6, v2, 1.0
	v_cndmask_b32_e64 v7, v4, 1.0, s[0:1]
	s_and_b64 s[0:1], vcc, s[0:1]
	v_mul_f32_e32 v4, v7, v0
	v_mul_f32_e32 v5, v7, v10
	;; [unrolled: 1-line block ×4, first 2 shown]
	global_store_dwordx4 v[8:9], v[4:7], off
	s_and_b64 exec, exec, s[0:1]
	s_cbranch_execz .LBB78_12
; %bb.11:
	v_ashrrev_i32_e32 v4, 31, v3
	v_lshlrev_b64 v[3:4], 3, v[3:4]
	v_mov_b32_e32 v0, s23
	v_add_co_u32_e32 v3, vcc, s22, v3
	v_addc_co_u32_e32 v4, vcc, v0, v4, vcc
	global_store_dwordx2 v[3:4], v[1:2], off
.LBB78_12:
	s_endpgm
.LBB78_13:
                                        ; implicit-def: $vgpr26
                                        ; implicit-def: $vgpr48
                                        ; implicit-def: $vgpr47
                                        ; implicit-def: $vgpr20
                                        ; implicit-def: $vgpr19
                                        ; implicit-def: $vgpr49
                                        ; implicit-def: $vgpr50
	v_lshlrev_b32_e32 v23, 2, v0
.LBB78_14:
	s_sub_i32 s0, 0, s36
	s_mul_i32 s0, s0, s38
	s_mul_hi_u32 s0, s38, s0
	s_add_i32 s38, s38, s0
	s_load_dwordx4 s[24:27], s[4:5], 0x98
	s_load_dword s14, s[4:5], 0x54
	s_load_dwordx2 s[0:1], s[4:5], 0x8c
	s_abs_i32 s19, s29
	s_mul_hi_u32 s34, s19, s38
	s_waitcnt lgkmcnt(0)
	s_ashr_i32 s15, s26, 2
	s_ashr_i32 s26, s35, 1
	;; [unrolled: 1-line block ×4, first 2 shown]
	s_mul_hi_u32 s35, s24, s33
	s_mul_i32 s39, s24, s0
	s_add_i32 s35, s35, s39
	s_mul_i32 s25, s25, s33
	s_ashr_i32 s38, s29, 31
	s_ashr_i32 s37, s37, 31
	s_add_i32 s35, s35, s25
	s_mul_i32 s24, s24, s33
	s_add_u32 s10, s10, s24
	s_mul_i32 s25, s34, s36
	s_addc_u32 s11, s11, s35
	s_sub_i32 s19, s19, s25
	s_xor_b32 s24, s38, s37
	s_add_i32 s25, s34, 1
	s_sub_i32 s35, s19, s36
	s_cmp_ge_u32 s19, s36
	s_cselect_b32 s25, s25, s34
	s_cselect_b32 s19, s35, s19
	s_add_i32 s34, s25, 1
	s_cmp_ge_u32 s19, s36
	s_load_dwordx2 s[8:9], s[4:5], 0xa8
	s_cselect_b32 s19, s34, s25
	s_xor_b32 s19, s19, s24
	s_sub_i32 s19, s19, s24
	s_mul_i32 s1, s19, s1
	s_ashr_i32 s24, s1, 31
	s_add_u32 s10, s10, s1
	s_waitcnt lgkmcnt(0)
	s_mul_hi_u32 s1, s8, s33
	s_mul_i32 s0, s8, s0
	s_addc_u32 s11, s11, s24
	s_add_i32 s0, s1, s0
	s_mul_i32 s1, s9, s33
	s_add_i32 s0, s0, s1
	s_mul_i32 s1, s8, s33
	v_lshrrev_b32_e32 v3, 4, v0
	s_add_u32 s1, s12, s1
	s_mul_i32 s19, s19, s27
	v_lshl_add_u32 v13, v1, 1, v3
	s_addc_u32 s0, s13, s0
	s_ashr_i32 s8, s19, 31
	v_mul_lo_u32 v4, s18, v13
	s_add_u32 s12, s1, s19
	v_and_b32_e32 v20, 60, v23
	s_addc_u32 s13, s0, s8
	v_lshlrev_b32_e32 v14, 2, v20
	s_movk_i32 s0, 0x110
	v_mad_u32_u24 v27, v13, s0, v14
	s_lshl_b32 s0, s18, 4
	v_add_u32_e32 v6, s0, v4
	v_mul_lo_u32 v12, s15, v13
	v_add_u32_e32 v8, s0, v6
	v_add_u32_e32 v10, s0, v8
	v_mad_u64_u32 v[2:3], s[0:1], v2, s26, v[0:1]
	s_lshl_b32 s0, s15, 4
	v_lshl_or_b32 v34, v13, 8, v14
	v_add_u32_e32 v14, s0, v12
	v_add_u32_e32 v16, s0, v14
	;; [unrolled: 1-line block ×3, first 2 shown]
	v_ashrrev_i32_e32 v5, 31, v4
	v_ashrrev_i32_e32 v7, 31, v6
	;; [unrolled: 1-line block ×4, first 2 shown]
	v_mov_b32_e32 v3, 0x4c00
	v_ashrrev_i32_e32 v13, 31, v12
	v_ashrrev_i32_e32 v15, 31, v14
	;; [unrolled: 1-line block ×4, first 2 shown]
	v_lshl_add_u32 v32, v1, 7, v3
	s_add_u32 s0, s4, 0xd0
	v_lshlrev_b64 v[3:4], 2, v[4:5]
	v_lshlrev_b64 v[5:6], 2, v[6:7]
	;; [unrolled: 1-line block ×8, first 2 shown]
	v_mov_b32_e32 v43, 0
	v_add_u32_e32 v28, 0x1100, v27
	v_add_u32_e32 v29, 0x2200, v27
	v_add_u32_e32 v30, 0x3300, v27
	v_mul_u32_u24_e32 v31, 0x110, v0
	v_lshl_add_u32 v33, v0, 1, v32
	v_add_u32_e32 v35, 0x1000, v34
	v_add_u32_e32 v36, 0x2000, v34
	;; [unrolled: 1-line block ×3, first 2 shown]
	s_addc_u32 s1, s5, 0
	v_mov_b32_e32 v46, 0xfeffffff
	v_lshlrev_b32_e32 v38, 2, v20
	s_mov_b32 s19, 0x3f200000
	s_mov_b32 s24, 0x3fb8aa3b
	;; [unrolled: 1-line block ×4, first 2 shown]
	v_mov_b32_e32 v39, 0xbd5c1c4e
	v_mov_b32_e32 v40, 0x3e088382
	;; [unrolled: 1-line block ×3, first 2 shown]
	s_brev_b32 s27, -2
	s_mov_b32 s34, 0x10001
	v_mov_b32_e32 v42, 0x7f800000
	v_mbcnt_hi_u32_b32 v26, -1, v44
	v_mov_b32_e32 v44, 0
	v_mov_b32_e32 v45, 0
.LBB78_15:                              ; =>This Inner Loop Header: Depth=1
	s_mul_hi_i32 s9, s6, s18
	s_mul_i32 s8, s6, s18
	s_lshl_b64 s[8:9], s[8:9], 2
	s_add_u32 s8, s10, s8
	s_addc_u32 s9, s11, s9
	v_mov_b32_e32 v1, s9
	v_add_co_u32_e32 v19, vcc, s8, v3
	v_addc_co_u32_e32 v1, vcc, v1, v4, vcc
	v_add_co_u32_e32 v19, vcc, v19, v38
	v_addc_co_u32_e32 v20, vcc, 0, v1, vcc
	v_mov_b32_e32 v1, s9
	v_add_co_u32_e32 v47, vcc, s8, v5
	v_addc_co_u32_e32 v1, vcc, v1, v6, vcc
	v_add_co_u32_e32 v55, vcc, v47, v38
	v_addc_co_u32_e32 v56, vcc, 0, v1, vcc
	global_load_dwordx4 v[47:50], v[19:20], off
	global_load_dwordx4 v[51:54], v[55:56], off
	v_mov_b32_e32 v1, s9
	v_add_co_u32_e32 v19, vcc, s8, v7
	v_addc_co_u32_e32 v1, vcc, v1, v8, vcc
	v_add_co_u32_e32 v19, vcc, v19, v38
	v_addc_co_u32_e32 v20, vcc, 0, v1, vcc
	v_mov_b32_e32 v1, s9
	v_add_co_u32_e32 v55, vcc, s8, v9
	v_addc_co_u32_e32 v1, vcc, v1, v10, vcc
	v_add_co_u32_e32 v63, vcc, v55, v38
	v_addc_co_u32_e32 v64, vcc, 0, v1, vcc
	global_load_dwordx4 v[55:58], v[19:20], off
	global_load_dwordx4 v[59:62], v[63:64], off
	v_mov_b32_e32 v1, 0
	s_waitcnt vmcnt(3)
	ds_write_b128 v27, v[47:50]
	s_waitcnt vmcnt(2)
	ds_write_b128 v28, v[51:54]
	;; [unrolled: 2-line block ×4, first 2 shown]
	s_waitcnt lgkmcnt(0)
	s_barrier
	ds_read_b128 v[49:52], v31
	ds_read_b128 v[53:56], v25
	ds_read_b128 v[57:60], v31 offset:8704
	s_waitcnt lgkmcnt(1)
	;;#ASMSTART
	v_dot2_f32_f16 v1, v49, v53, v1
	;;#ASMEND
	;;#ASMSTART
	v_dot2_f32_f16 v1, v50, v54, v1
	;;#ASMEND
	v_mov_b32_e32 v48, 0
	;;#ASMSTART
	v_dot2_f32_f16 v1, v51, v55, v1
	;;#ASMEND
	;;#ASMSTART
	v_dot2_f32_f16 v1, v52, v56, v1
	;;#ASMEND
	s_waitcnt lgkmcnt(0)
	;;#ASMSTART
	v_dot2_f32_f16 v48, v57, v53, v48
	;;#ASMEND
	;;#ASMSTART
	v_dot2_f32_f16 v48, v58, v54, v48
	;;#ASMEND
	;;#ASMSTART
	v_dot2_f32_f16 v48, v59, v55, v48
	;;#ASMEND
	;;#ASMSTART
	v_dot2_f32_f16 v48, v60, v56, v48
	;;#ASMEND
	ds_read_b128 v[49:52], v31 offset:16
	ds_read_b128 v[53:56], v25 offset:16
	ds_read_b128 v[57:60], v31 offset:8720
	s_waitcnt lgkmcnt(1)
	;;#ASMSTART
	v_dot2_f32_f16 v1, v49, v53, v1
	;;#ASMEND
	;;#ASMSTART
	v_dot2_f32_f16 v1, v50, v54, v1
	;;#ASMEND
	;;#ASMSTART
	v_dot2_f32_f16 v1, v51, v55, v1
	;;#ASMEND
	;;#ASMSTART
	v_dot2_f32_f16 v1, v52, v56, v1
	;;#ASMEND
	s_waitcnt lgkmcnt(0)
	;;#ASMSTART
	v_dot2_f32_f16 v48, v57, v53, v48
	;;#ASMEND
	;;#ASMSTART
	v_dot2_f32_f16 v48, v58, v54, v48
	;;#ASMEND
	;;#ASMSTART
	v_dot2_f32_f16 v48, v59, v55, v48
	;;#ASMEND
	;;#ASMSTART
	v_dot2_f32_f16 v48, v60, v56, v48
	;;#ASMEND
	ds_read_b128 v[49:52], v31 offset:32
	ds_read_b128 v[53:56], v25 offset:32
	ds_read_b128 v[57:60], v31 offset:8736
	s_waitcnt lgkmcnt(1)
	;;#ASMSTART
	v_dot2_f32_f16 v1, v49, v53, v1
	;;#ASMEND
	;;#ASMSTART
	v_dot2_f32_f16 v1, v50, v54, v1
	;;#ASMEND
	;; [unrolled: 29-line block ×15, first 2 shown]
	;;#ASMSTART
	v_dot2_f32_f16 v1, v51, v55, v1
	;;#ASMEND
	;;#ASMSTART
	v_dot2_f32_f16 v1, v52, v56, v1
	;;#ASMEND
	s_waitcnt lgkmcnt(0)
	;;#ASMSTART
	v_dot2_f32_f16 v48, v57, v53, v48
	;;#ASMEND
	;;#ASMSTART
	v_dot2_f32_f16 v48, v58, v54, v48
	;;#ASMEND
	;; [unrolled: 3-line block ×3, first 2 shown]
	v_cmp_nlt_f32_e64 s[8:9], |v1|, s19
	;;#ASMSTART
	v_dot2_f32_f16 v48, v60, v56, v48
	;;#ASMEND
                                        ; implicit-def: $vgpr47
	s_and_saveexec_b64 s[36:37], s[8:9]
	s_xor_b64 s[8:9], exec, s[36:37]
	s_cbranch_execz .LBB78_17
; %bb.16:                               ;   in Loop: Header=BB78_15 Depth=1
	v_add_f32_e64 v19, |v1|, |v1|
	v_mul_f32_e32 v20, 0x3fb8aa3b, v19
	v_rndne_f32_e32 v47, v20
	v_sub_f32_e32 v49, v20, v47
	v_fma_f32 v20, v19, s24, -v20
	v_fmac_f32_e32 v20, 0x32a5705f, v19
	v_add_f32_e32 v20, v49, v20
	v_cvt_i32_f32_e32 v47, v47
	v_exp_f32_e32 v20, v20
	v_cmp_ngt_f32_e32 vcc, s25, v19
	v_ldexp_f32 v20, v20, v47
	v_cndmask_b32_e32 v20, 0, v20, vcc
	v_cmp_nlt_f32_e32 vcc, s26, v19
	v_cndmask_b32_e32 v19, v42, v20, vcc
	v_add_f32_e32 v19, 1.0, v19
	v_rcp_f32_e32 v19, v19
	v_fma_f32 v47, v19, -2.0, 1.0
.LBB78_17:                              ;   in Loop: Header=BB78_15 Depth=1
	s_andn2_saveexec_b64 s[8:9], s[8:9]
; %bb.18:                               ;   in Loop: Header=BB78_15 Depth=1
	v_mul_f32_e32 v19, v1, v1
	v_mov_b32_e32 v20, 0x3ca908c9
	v_fmac_f32_e32 v20, 0xbbbac73d, v19
	v_fma_f32 v20, v19, v20, v39
	v_fma_f32 v20, v19, v20, v40
	;; [unrolled: 1-line block ×3, first 2 shown]
	v_mul_f32_e64 v20, |v1|, v20
	v_fma_f32 v47, v19, v20, |v1|
; %bb.19:                               ;   in Loop: Header=BB78_15 Depth=1
	s_or_b64 exec, exec, s[8:9]
	v_add_u32_e32 v19, s6, v2
	v_ashrrev_i32_e32 v20, 31, v19
	v_lshlrev_b64 v[19:20], 1, v[19:20]
	v_mov_b32_e32 v49, s31
	v_add_co_u32_e32 v19, vcc, s30, v19
	v_addc_co_u32_e32 v20, vcc, v49, v20, vcc
	global_load_ushort v49, v[19:20], off
	v_cmp_nlt_f32_e64 s[8:9], |v48|, s19
                                        ; implicit-def: $vgpr50
	s_and_saveexec_b64 s[36:37], s[8:9]
	s_xor_b64 s[8:9], exec, s[36:37]
	s_cbranch_execz .LBB78_21
; %bb.20:                               ;   in Loop: Header=BB78_15 Depth=1
	v_add_f32_e64 v50, |v48|, |v48|
	v_mul_f32_e32 v51, 0x3fb8aa3b, v50
	v_rndne_f32_e32 v52, v51
	v_sub_f32_e32 v53, v51, v52
	v_fma_f32 v51, v50, s24, -v51
	v_fmac_f32_e32 v51, 0x32a5705f, v50
	v_add_f32_e32 v51, v53, v51
	v_cvt_i32_f32_e32 v52, v52
	v_exp_f32_e32 v51, v51
	v_cmp_ngt_f32_e32 vcc, s25, v50
	v_ldexp_f32 v51, v51, v52
	v_cndmask_b32_e32 v51, 0, v51, vcc
	v_cmp_nlt_f32_e32 vcc, s26, v50
	v_cndmask_b32_e32 v50, v42, v51, vcc
	v_add_f32_e32 v50, 1.0, v50
	v_rcp_f32_e32 v50, v50
	v_fma_f32 v50, v50, -2.0, 1.0
.LBB78_21:                              ;   in Loop: Header=BB78_15 Depth=1
	s_andn2_saveexec_b64 s[8:9], s[8:9]
; %bb.22:                               ;   in Loop: Header=BB78_15 Depth=1
	v_mul_f32_e32 v50, v48, v48
	v_mov_b32_e32 v51, 0x3ca908c9
	v_fmac_f32_e32 v51, 0xbbbac73d, v50
	v_fma_f32 v51, v50, v51, v39
	v_fma_f32 v51, v50, v51, v40
	v_fma_f32 v51, v50, v51, v41
	v_mul_f32_e64 v51, |v48|, v51
	v_fma_f32 v50, v50, v51, |v48|
; %bb.23:                               ;   in Loop: Header=BB78_15 Depth=1
	s_or_b64 exec, exec, s[8:9]
	global_load_ushort v51, v[19:20], off offset:64
	v_and_b32_e32 v52, 0x60, v26
	s_mul_hi_i32 s9, s6, s15
	s_mul_i32 s8, s6, s15
	v_xor_b32_e32 v20, 8, v26
	v_bfi_b32 v53, s27, v50, v48
	v_add_u32_e32 v48, 32, v52
	s_lshl_b64 s[8:9], s[8:9], 2
	v_bfi_b32 v1, s27, v47, v1
	v_xor_b32_e32 v47, 16, v26
	v_cmp_lt_i32_e32 vcc, v20, v48
	s_add_u32 s8, s12, s8
	s_waitcnt vmcnt(1)
	v_fma_mix_f32 v68, s14, v1, v49 op_sel_hi:[0,0,1]
	v_cndmask_b32_e32 v49, v26, v20, vcc
	v_cmp_lt_i32_e32 vcc, v47, v48
	s_addc_u32 s9, s13, s9
	v_cndmask_b32_e32 v50, v26, v47, vcc
	v_lshlrev_b32_e32 v62, 2, v49
	v_mov_b32_e32 v49, s9
	v_add_co_u32_e32 v56, vcc, s8, v11
	v_addc_co_u32_e32 v57, vcc, v49, v12, vcc
	v_lshlrev_b32_e32 v52, 2, v50
	v_mov_b32_e32 v50, s9
	v_add_co_u32_e32 v58, vcc, s8, v13
	v_addc_co_u32_e32 v59, vcc, v50, v14, vcc
	v_mov_b32_e32 v54, s9
	v_add_co_u32_e32 v60, vcc, s8, v15
	v_addc_co_u32_e32 v54, vcc, v54, v16, vcc
	;; [unrolled: 3-line block ×3, first 2 shown]
	v_add_f32_e32 v1, 0x40051340, v68
	v_add_co_u32_e32 v49, vcc, v56, v38
	v_addc_co_u32_e32 v50, vcc, 0, v57, vcc
	v_add_co_u32_e32 v56, vcc, v58, v38
	v_addc_co_u32_e32 v57, vcc, 0, v59, vcc
	;; [unrolled: 2-line block ×3, first 2 shown]
	v_add_co_u32_e32 v64, vcc, v63, v38
	s_waitcnt vmcnt(0)
	s_barrier
	v_addc_co_u32_e32 v65, vcc, 0, v55, vcc
	v_xor_b32_e32 v19, 4, v26
	v_cmp_lt_i32_e32 vcc, v19, v48
	v_fma_mix_f32 v51, s14, v53, v51 op_sel_hi:[0,0,1]
	v_add_f32_e32 v53, 0x40051340, v51
	v_max3_f32 v1, v46, v1, v53
	ds_bpermute_b32 v66, v52, v1
	global_load_dwordx4 v[52:55], v[49:50], off
	s_nop 0
	global_load_dwordx4 v[56:59], v[56:57], off
	v_cndmask_b32_e32 v50, v26, v19, vcc
	v_lshlrev_b32_e32 v50, 2, v50
	s_waitcnt lgkmcnt(0)
	v_max_f32_e32 v49, v66, v66
	v_max_f32_e32 v1, v1, v49
	ds_bpermute_b32 v49, v62, v1
	global_load_dwordx4 v[60:63], v[60:61], off
	s_nop 0
	global_load_dwordx4 v[64:67], v[64:65], off
	s_waitcnt lgkmcnt(0)
	v_max_f32_e32 v49, v49, v49
	v_max_f32_e32 v1, v1, v49
	ds_bpermute_b32 v50, v50, v1
	v_xor_b32_e32 v49, 2, v26
	v_cmp_lt_i32_e32 vcc, v49, v48
	v_cndmask_b32_e32 v69, v26, v49, vcc
	v_lshlrev_b32_e32 v69, 2, v69
	s_waitcnt lgkmcnt(0)
	v_max_f32_e32 v50, v50, v50
	v_max_f32_e32 v1, v1, v50
	ds_bpermute_b32 v69, v69, v1
	v_xor_b32_e32 v50, 1, v26
	v_cmp_lt_i32_e32 vcc, v50, v48
	v_cndmask_b32_e32 v70, v26, v50, vcc
	v_lshlrev_b32_e32 v70, 2, v70
	s_waitcnt lgkmcnt(0)
	v_max_f32_e32 v69, v69, v69
	v_max_f32_e32 v1, v1, v69
	ds_bpermute_b32 v69, v70, v1
	s_waitcnt lgkmcnt(0)
	v_max_f32_e32 v69, v69, v69
	v_max_f32_e32 v1, v1, v69
	v_sub_f32_e32 v68, v68, v1
	v_sub_f32_e32 v51, v51, v1
	v_mul_f32_e32 v69, 0x3fb8aa3b, v68
	v_mul_f32_e32 v70, 0x3fb8aa3b, v51
	v_fma_f32 v72, v68, s24, -v69
	v_rndne_f32_e32 v73, v69
	v_fma_f32 v74, v51, s24, -v70
	v_rndne_f32_e32 v75, v70
	v_fmac_f32_e32 v72, 0x32a5705f, v68
	v_sub_f32_e32 v69, v69, v73
	v_sub_f32_e32 v46, v46, v1
	v_fmac_f32_e32 v74, 0x32a5705f, v51
	v_sub_f32_e32 v70, v70, v75
	v_add_f32_e32 v69, v69, v72
	v_mul_f32_e32 v71, 0x3fb8aa3b, v46
	v_cvt_i32_f32_e32 v73, v73
	v_add_f32_e32 v70, v70, v74
	v_exp_f32_e32 v69, v69
	v_fma_f32 v76, v46, s24, -v71
	v_rndne_f32_e32 v77, v71
	v_cvt_i32_f32_e32 v75, v75
	v_exp_f32_e32 v70, v70
	v_fmac_f32_e32 v76, 0x32a5705f, v46
	v_sub_f32_e32 v71, v71, v77
	v_add_f32_e32 v71, v71, v76
	v_cvt_i32_f32_e32 v77, v77
	v_exp_f32_e32 v71, v71
	v_ldexp_f32 v69, v69, v73
	v_cmp_ngt_f32_e32 vcc, s25, v68
	v_ldexp_f32 v70, v70, v75
	v_cndmask_b32_e32 v69, 0, v69, vcc
	v_cmp_ngt_f32_e32 vcc, s25, v51
	v_cndmask_b32_e32 v70, 0, v70, vcc
	v_cmp_nlt_f32_e32 vcc, s26, v68
	v_cndmask_b32_e32 v68, v42, v69, vcc
	v_cmp_nlt_f32_e32 vcc, s26, v51
	v_cndmask_b32_e32 v69, v42, v70, vcc
	v_ldexp_f32 v51, v71, v77
	v_cmp_ngt_f32_e32 vcc, s25, v46
	v_cndmask_b32_e32 v51, 0, v51, vcc
	v_cmp_nlt_f32_e32 vcc, s26, v46
	v_cndmask_b32_e32 v46, v42, v51, vcc
	v_cvt_f16_f32_e32 v70, v68
	v_cvt_f16_f32_e32 v71, v46
	v_add_f32_e32 v51, v68, v69
	v_cvt_f16_f32_e32 v68, v69
	v_fmac_f32_e32 v51, v45, v46
	v_mul_u32_u24_e32 v45, 0x10001, v71
	v_add_u32_e32 v72, 0x800, v24
	ds_write_b16 v33, v70
	ds_write_b16 v33, v68 offset:64
	s_waitcnt vmcnt(3)
	ds_write_b128 v34, v[52:55]
	s_waitcnt vmcnt(2)
	ds_write_b128 v35, v[56:59]
	s_waitcnt vmcnt(1)
	ds_write_b128 v36, v[60:63]
	s_waitcnt vmcnt(0)
	ds_write_b128 v37, v[64:67]
	s_waitcnt lgkmcnt(0)
	s_barrier
	ds_read_b128 v[52:55], v32
	ds_read2_b64 v[56:59], v24 offset1:32
	ds_read_b128 v[60:63], v32 offset:16
	ds_read_b128 v[64:67], v32 offset:32
	;; [unrolled: 1-line block ×3, first 2 shown]
	s_waitcnt lgkmcnt(4)
	v_mul_u32_u24_sdwa v46, v52, s34 dst_sel:DWORD dst_unused:UNUSED_PAD src0_sel:WORD_0 src1_sel:DWORD
	s_waitcnt lgkmcnt(3)
	v_pk_mul_f16 v56, v56, v46
	v_pk_fma_f16 v56, v43, v45, v56
	v_pk_mul_f16 v43, v57, v46
	v_pk_fma_f16 v57, v44, v45, v43
	ds_read2_b64 v[43:46], v24 offset0:64 offset1:96
	v_mul_u32_u24_sdwa v52, v52, s34 dst_sel:DWORD dst_unused:UNUSED_PAD src0_sel:WORD_1 src1_sel:DWORD
	v_pk_fma_f16 v56, v58, v52, v56
	v_pk_fma_f16 v52, v59, v52, v57
	v_mul_u32_u24_sdwa v57, v53, s34 dst_sel:DWORD dst_unused:UNUSED_PAD src0_sel:WORD_0 src1_sel:DWORD
	s_waitcnt lgkmcnt(0)
	v_pk_fma_f16 v43, v43, v57, v56
	v_pk_fma_f16 v44, v44, v57, v52
	ds_read2_b64 v[56:59], v24 offset0:128 offset1:160
	v_mul_u32_u24_sdwa v52, v53, s34 dst_sel:DWORD dst_unused:UNUSED_PAD src0_sel:WORD_1 src1_sel:DWORD
	v_pk_fma_f16 v43, v45, v52, v43
	v_pk_fma_f16 v44, v46, v52, v44
	v_mul_u32_u24_sdwa v45, v54, s34 dst_sel:DWORD dst_unused:UNUSED_PAD src0_sel:WORD_0 src1_sel:DWORD
	s_waitcnt lgkmcnt(0)
	v_pk_fma_f16 v52, v56, v45, v43
	v_pk_fma_f16 v53, v57, v45, v44
	ds_read2_b64 v[43:46], v24 offset0:192 offset1:224
	v_mul_u32_u24_sdwa v54, v54, s34 dst_sel:DWORD dst_unused:UNUSED_PAD src0_sel:WORD_1 src1_sel:DWORD
	v_pk_fma_f16 v52, v58, v54, v52
	v_pk_fma_f16 v53, v59, v54, v53
	ds_read2_b64 v[56:59], v72 offset1:32
	v_mul_u32_u24_sdwa v54, v55, s34 dst_sel:DWORD dst_unused:UNUSED_PAD src0_sel:WORD_0 src1_sel:DWORD
	s_waitcnt lgkmcnt(1)
	v_pk_fma_f16 v43, v43, v54, v52
	v_pk_fma_f16 v44, v44, v54, v53
	v_mul_u32_u24_sdwa v52, v55, s34 dst_sel:DWORD dst_unused:UNUSED_PAD src0_sel:WORD_1 src1_sel:DWORD
	v_pk_fma_f16 v43, v45, v52, v43
	v_pk_fma_f16 v44, v46, v52, v44
	v_mul_u32_u24_sdwa v45, v60, s34 dst_sel:DWORD dst_unused:UNUSED_PAD src0_sel:WORD_0 src1_sel:DWORD
	s_waitcnt lgkmcnt(0)
	v_pk_fma_f16 v52, v56, v45, v43
	v_pk_fma_f16 v53, v57, v45, v44
	ds_read2_b64 v[43:46], v72 offset0:64 offset1:96
	v_mul_u32_u24_sdwa v54, v60, s34 dst_sel:DWORD dst_unused:UNUSED_PAD src0_sel:WORD_1 src1_sel:DWORD
	v_pk_fma_f16 v52, v58, v54, v52
	v_pk_fma_f16 v53, v59, v54, v53
	v_mul_u32_u24_sdwa v54, v61, s34 dst_sel:DWORD dst_unused:UNUSED_PAD src0_sel:WORD_0 src1_sel:DWORD
	s_waitcnt lgkmcnt(0)
	v_pk_fma_f16 v43, v43, v54, v52
	v_pk_fma_f16 v44, v44, v54, v53
	ds_read2_b64 v[52:55], v72 offset0:128 offset1:160
	v_mul_u32_u24_sdwa v56, v61, s34 dst_sel:DWORD dst_unused:UNUSED_PAD src0_sel:WORD_1 src1_sel:DWORD
	v_pk_fma_f16 v43, v45, v56, v43
	v_pk_fma_f16 v44, v46, v56, v44
	v_mul_u32_u24_sdwa v45, v62, s34 dst_sel:DWORD dst_unused:UNUSED_PAD src0_sel:WORD_0 src1_sel:DWORD
	s_waitcnt lgkmcnt(0)
	v_pk_fma_f16 v52, v52, v45, v43
	v_pk_fma_f16 v53, v53, v45, v44
	ds_read2_b64 v[43:46], v72 offset0:192 offset1:224
	v_mul_u32_u24_sdwa v56, v62, s34 dst_sel:DWORD dst_unused:UNUSED_PAD src0_sel:WORD_1 src1_sel:DWORD
	v_pk_fma_f16 v52, v54, v56, v52
	v_pk_fma_f16 v53, v55, v56, v53
	v_mul_u32_u24_sdwa v54, v63, s34 dst_sel:DWORD dst_unused:UNUSED_PAD src0_sel:WORD_0 src1_sel:DWORD
	v_add_u32_e32 v56, 0x1000, v24
	s_waitcnt lgkmcnt(0)
	v_pk_fma_f16 v43, v43, v54, v52
	v_pk_fma_f16 v44, v44, v54, v53
	ds_read2_b64 v[52:55], v56 offset1:32
	v_mul_u32_u24_sdwa v57, v63, s34 dst_sel:DWORD dst_unused:UNUSED_PAD src0_sel:WORD_1 src1_sel:DWORD
	v_pk_fma_f16 v43, v45, v57, v43
	v_pk_fma_f16 v44, v46, v57, v44
	v_mul_u32_u24_sdwa v45, v64, s34 dst_sel:DWORD dst_unused:UNUSED_PAD src0_sel:WORD_0 src1_sel:DWORD
	s_waitcnt lgkmcnt(0)
	v_pk_fma_f16 v52, v52, v45, v43
	v_pk_fma_f16 v53, v53, v45, v44
	ds_read2_b64 v[43:46], v56 offset0:64 offset1:96
	v_mul_u32_u24_sdwa v57, v64, s34 dst_sel:DWORD dst_unused:UNUSED_PAD src0_sel:WORD_1 src1_sel:DWORD
	v_pk_fma_f16 v52, v54, v57, v52
	v_pk_fma_f16 v53, v55, v57, v53
	v_mul_u32_u24_sdwa v54, v65, s34 dst_sel:DWORD dst_unused:UNUSED_PAD src0_sel:WORD_0 src1_sel:DWORD
	s_waitcnt lgkmcnt(0)
	v_pk_fma_f16 v43, v43, v54, v52
	v_pk_fma_f16 v44, v44, v54, v53
	ds_read2_b64 v[52:55], v56 offset0:128 offset1:160
	;; [unrolled: 8-line block ×3, first 2 shown]
	v_mul_u32_u24_sdwa v56, v66, s34 dst_sel:DWORD dst_unused:UNUSED_PAD src0_sel:WORD_1 src1_sel:DWORD
	v_pk_fma_f16 v52, v54, v56, v52
	v_pk_fma_f16 v53, v55, v56, v53
	v_mul_u32_u24_sdwa v54, v67, s34 dst_sel:DWORD dst_unused:UNUSED_PAD src0_sel:WORD_0 src1_sel:DWORD
	v_add_u32_e32 v56, 0x1800, v24
	s_waitcnt lgkmcnt(0)
	v_pk_fma_f16 v43, v43, v54, v52
	v_pk_fma_f16 v44, v44, v54, v53
	ds_read2_b64 v[52:55], v56 offset1:32
	v_mul_u32_u24_sdwa v57, v67, s34 dst_sel:DWORD dst_unused:UNUSED_PAD src0_sel:WORD_1 src1_sel:DWORD
	v_pk_fma_f16 v43, v45, v57, v43
	v_pk_fma_f16 v44, v46, v57, v44
	v_mul_u32_u24_sdwa v45, v68, s34 dst_sel:DWORD dst_unused:UNUSED_PAD src0_sel:WORD_0 src1_sel:DWORD
	s_waitcnt lgkmcnt(0)
	v_pk_fma_f16 v52, v52, v45, v43
	v_pk_fma_f16 v53, v53, v45, v44
	ds_read2_b64 v[43:46], v56 offset0:64 offset1:96
	v_mul_u32_u24_sdwa v57, v68, s34 dst_sel:DWORD dst_unused:UNUSED_PAD src0_sel:WORD_1 src1_sel:DWORD
	v_pk_fma_f16 v52, v54, v57, v52
	v_pk_fma_f16 v53, v55, v57, v53
	v_mul_u32_u24_sdwa v54, v69, s34 dst_sel:DWORD dst_unused:UNUSED_PAD src0_sel:WORD_0 src1_sel:DWORD
	s_waitcnt lgkmcnt(0)
	v_pk_fma_f16 v43, v43, v54, v52
	v_pk_fma_f16 v44, v44, v54, v53
	ds_read2_b64 v[52:55], v56 offset0:128 offset1:160
	;; [unrolled: 8-line block ×3, first 2 shown]
	v_mul_u32_u24_sdwa v56, v70, s34 dst_sel:DWORD dst_unused:UNUSED_PAD src0_sel:WORD_1 src1_sel:DWORD
	v_pk_fma_f16 v52, v54, v56, v52
	v_pk_fma_f16 v53, v55, v56, v53
	v_mul_u32_u24_sdwa v54, v71, s34 dst_sel:DWORD dst_unused:UNUSED_PAD src0_sel:WORD_0 src1_sel:DWORD
	s_waitcnt lgkmcnt(0)
	v_pk_fma_f16 v43, v43, v54, v52
	v_pk_fma_f16 v44, v44, v54, v53
	v_add_u32_e32 v64, 0x2000, v24
	ds_read_b128 v[52:55], v32 offset:64
	ds_read2_b64 v[56:59], v64 offset1:32
	v_mul_u32_u24_sdwa v60, v71, s34 dst_sel:DWORD dst_unused:UNUSED_PAD src0_sel:WORD_1 src1_sel:DWORD
	v_pk_fma_f16 v61, v45, v60, v43
	v_pk_fma_f16 v60, v46, v60, v44
	s_waitcnt lgkmcnt(1)
	v_mul_u32_u24_sdwa v62, v52, s34 dst_sel:DWORD dst_unused:UNUSED_PAD src0_sel:WORD_0 src1_sel:DWORD
	s_waitcnt lgkmcnt(0)
	v_pk_fma_f16 v56, v56, v62, v61
	v_pk_fma_f16 v57, v57, v62, v60
	ds_read2_b64 v[60:63], v64 offset0:64 offset1:96
	v_mul_u32_u24_sdwa v52, v52, s34 dst_sel:DWORD dst_unused:UNUSED_PAD src0_sel:WORD_1 src1_sel:DWORD
	v_pk_fma_f16 v56, v58, v52, v56
	v_pk_fma_f16 v52, v59, v52, v57
	v_mul_u32_u24_sdwa v57, v53, s34 dst_sel:DWORD dst_unused:UNUSED_PAD src0_sel:WORD_0 src1_sel:DWORD
	s_waitcnt lgkmcnt(0)
	v_pk_fma_f16 v60, v60, v57, v56
	v_pk_fma_f16 v52, v61, v57, v52
	ds_read2_b64 v[56:59], v64 offset0:128 offset1:160
	v_mul_u32_u24_sdwa v53, v53, s34 dst_sel:DWORD dst_unused:UNUSED_PAD src0_sel:WORD_1 src1_sel:DWORD
	v_pk_fma_f16 v60, v62, v53, v60
	v_pk_fma_f16 v52, v63, v53, v52
	v_mul_u32_u24_sdwa v53, v54, s34 dst_sel:DWORD dst_unused:UNUSED_PAD src0_sel:WORD_0 src1_sel:DWORD
	s_waitcnt lgkmcnt(0)
	v_pk_fma_f16 v56, v56, v53, v60
	ds_read2_b64 v[60:63], v64 offset0:192 offset1:224
	v_pk_fma_f16 v52, v57, v53, v52
	v_mul_u32_u24_sdwa v53, v54, s34 dst_sel:DWORD dst_unused:UNUSED_PAD src0_sel:WORD_1 src1_sel:DWORD
	v_pk_fma_f16 v54, v58, v53, v56
	v_pk_fma_f16 v52, v59, v53, v52
	v_mul_u32_u24_sdwa v53, v55, s34 dst_sel:DWORD dst_unused:UNUSED_PAD src0_sel:WORD_0 src1_sel:DWORD
	ds_read_b128 v[43:46], v32 offset:80
	s_waitcnt lgkmcnt(1)
	v_pk_fma_f16 v54, v60, v53, v54
	v_add_u32_e32 v60, 0x2800, v24
	ds_read2_b64 v[56:59], v60 offset1:32
	v_pk_fma_f16 v52, v61, v53, v52
	v_mul_u32_u24_sdwa v53, v55, s34 dst_sel:DWORD dst_unused:UNUSED_PAD src0_sel:WORD_1 src1_sel:DWORD
	v_pk_fma_f16 v54, v62, v53, v54
	v_pk_fma_f16 v52, v63, v53, v52
	s_waitcnt lgkmcnt(1)
	v_mul_u32_u24_sdwa v53, v43, s34 dst_sel:DWORD dst_unused:UNUSED_PAD src0_sel:WORD_0 src1_sel:DWORD
	s_waitcnt lgkmcnt(0)
	v_pk_fma_f16 v56, v56, v53, v54
	v_pk_fma_f16 v57, v57, v53, v52
	ds_read2_b64 v[52:55], v60 offset0:64 offset1:96
	v_mul_u32_u24_sdwa v43, v43, s34 dst_sel:DWORD dst_unused:UNUSED_PAD src0_sel:WORD_1 src1_sel:DWORD
	v_pk_fma_f16 v56, v58, v43, v56
	v_pk_fma_f16 v43, v59, v43, v57
	v_mul_u32_u24_sdwa v57, v44, s34 dst_sel:DWORD dst_unused:UNUSED_PAD src0_sel:WORD_0 src1_sel:DWORD
	s_waitcnt lgkmcnt(0)
	v_pk_fma_f16 v52, v52, v57, v56
	v_pk_fma_f16 v43, v53, v57, v43
	ds_read2_b64 v[56:59], v60 offset0:128 offset1:160
	v_mul_u32_u24_sdwa v44, v44, s34 dst_sel:DWORD dst_unused:UNUSED_PAD src0_sel:WORD_1 src1_sel:DWORD
	v_pk_fma_f16 v52, v54, v44, v52
	v_pk_fma_f16 v43, v55, v44, v43
	v_mul_u32_u24_sdwa v44, v45, s34 dst_sel:DWORD dst_unused:UNUSED_PAD src0_sel:WORD_0 src1_sel:DWORD
	s_waitcnt lgkmcnt(0)
	v_pk_fma_f16 v56, v56, v44, v52
	ds_read2_b64 v[52:55], v60 offset0:192 offset1:224
	v_pk_fma_f16 v43, v57, v44, v43
	v_mul_u32_u24_sdwa v44, v45, s34 dst_sel:DWORD dst_unused:UNUSED_PAD src0_sel:WORD_1 src1_sel:DWORD
	v_pk_fma_f16 v45, v58, v44, v56
	v_pk_fma_f16 v43, v59, v44, v43
	v_mul_u32_u24_sdwa v44, v46, s34 dst_sel:DWORD dst_unused:UNUSED_PAD src0_sel:WORD_0 src1_sel:DWORD
	s_waitcnt lgkmcnt(0)
	v_pk_fma_f16 v52, v52, v44, v45
	v_pk_fma_f16 v53, v53, v44, v43
	v_mul_u32_u24_sdwa v60, v46, s34 dst_sel:DWORD dst_unused:UNUSED_PAD src0_sel:WORD_1 src1_sel:DWORD
	v_add_u32_e32 v64, 0x3000, v24
	ds_read_b128 v[43:46], v32 offset:96
	ds_read2_b64 v[56:59], v64 offset1:32
	v_pk_fma_f16 v61, v54, v60, v52
	v_pk_fma_f16 v60, v55, v60, v53
	ds_read_b128 v[52:55], v32 offset:112
	s_waitcnt lgkmcnt(2)
	v_mul_u32_u24_sdwa v62, v43, s34 dst_sel:DWORD dst_unused:UNUSED_PAD src0_sel:WORD_0 src1_sel:DWORD
	s_waitcnt lgkmcnt(1)
	v_pk_fma_f16 v56, v56, v62, v61
	v_pk_fma_f16 v57, v57, v62, v60
	ds_read2_b64 v[60:63], v64 offset0:64 offset1:96
	v_mul_u32_u24_sdwa v43, v43, s34 dst_sel:DWORD dst_unused:UNUSED_PAD src0_sel:WORD_1 src1_sel:DWORD
	v_pk_fma_f16 v56, v58, v43, v56
	v_pk_fma_f16 v43, v59, v43, v57
	v_mul_u32_u24_sdwa v57, v44, s34 dst_sel:DWORD dst_unused:UNUSED_PAD src0_sel:WORD_0 src1_sel:DWORD
	s_waitcnt lgkmcnt(0)
	v_pk_fma_f16 v60, v60, v57, v56
	v_pk_fma_f16 v43, v61, v57, v43
	ds_read2_b64 v[56:59], v64 offset0:128 offset1:160
	v_mul_u32_u24_sdwa v44, v44, s34 dst_sel:DWORD dst_unused:UNUSED_PAD src0_sel:WORD_1 src1_sel:DWORD
	v_pk_fma_f16 v60, v62, v44, v60
	v_pk_fma_f16 v43, v63, v44, v43
	v_mul_u32_u24_sdwa v44, v45, s34 dst_sel:DWORD dst_unused:UNUSED_PAD src0_sel:WORD_0 src1_sel:DWORD
	s_waitcnt lgkmcnt(0)
	v_pk_fma_f16 v56, v56, v44, v60
	ds_read2_b64 v[60:63], v64 offset0:192 offset1:224
	v_pk_fma_f16 v43, v57, v44, v43
	v_mul_u32_u24_sdwa v44, v45, s34 dst_sel:DWORD dst_unused:UNUSED_PAD src0_sel:WORD_1 src1_sel:DWORD
	v_pk_fma_f16 v45, v58, v44, v56
	v_pk_fma_f16 v43, v59, v44, v43
	v_mul_u32_u24_sdwa v44, v46, s34 dst_sel:DWORD dst_unused:UNUSED_PAD src0_sel:WORD_0 src1_sel:DWORD
	s_waitcnt lgkmcnt(0)
	v_pk_fma_f16 v45, v60, v44, v45
	v_add_u32_e32 v60, 0x3800, v24
	ds_read2_b64 v[56:59], v60 offset1:32
	v_pk_fma_f16 v43, v61, v44, v43
	v_mul_u32_u24_sdwa v44, v46, s34 dst_sel:DWORD dst_unused:UNUSED_PAD src0_sel:WORD_1 src1_sel:DWORD
	v_pk_fma_f16 v45, v62, v44, v45
	v_pk_fma_f16 v43, v63, v44, v43
	v_mul_u32_u24_sdwa v44, v52, s34 dst_sel:DWORD dst_unused:UNUSED_PAD src0_sel:WORD_0 src1_sel:DWORD
	s_waitcnt lgkmcnt(0)
	v_pk_fma_f16 v56, v56, v44, v45
	v_pk_fma_f16 v57, v57, v44, v43
	ds_read2_b64 v[43:46], v60 offset0:64 offset1:96
	v_mul_u32_u24_sdwa v52, v52, s34 dst_sel:DWORD dst_unused:UNUSED_PAD src0_sel:WORD_1 src1_sel:DWORD
	v_pk_fma_f16 v56, v58, v52, v56
	v_pk_fma_f16 v52, v59, v52, v57
	v_mul_u32_u24_sdwa v57, v53, s34 dst_sel:DWORD dst_unused:UNUSED_PAD src0_sel:WORD_0 src1_sel:DWORD
	s_waitcnt lgkmcnt(0)
	v_pk_fma_f16 v43, v43, v57, v56
	v_pk_fma_f16 v44, v44, v57, v52
	ds_read2_b64 v[56:59], v60 offset0:128 offset1:160
	v_mul_u32_u24_sdwa v52, v53, s34 dst_sel:DWORD dst_unused:UNUSED_PAD src0_sel:WORD_1 src1_sel:DWORD
	v_pk_fma_f16 v43, v45, v52, v43
	v_pk_fma_f16 v44, v46, v52, v44
	v_mul_u32_u24_sdwa v45, v54, s34 dst_sel:DWORD dst_unused:UNUSED_PAD src0_sel:WORD_0 src1_sel:DWORD
	s_waitcnt lgkmcnt(0)
	v_pk_fma_f16 v43, v56, v45, v43
	v_pk_fma_f16 v44, v57, v45, v44
	v_mul_u32_u24_sdwa v45, v54, s34 dst_sel:DWORD dst_unused:UNUSED_PAD src0_sel:WORD_1 src1_sel:DWORD
	v_pk_fma_f16 v52, v58, v45, v43
	v_pk_fma_f16 v53, v59, v45, v44
	ds_read2_b64 v[43:46], v60 offset0:192 offset1:224
	s_waitcnt lgkmcnt(0)
	s_barrier
	s_load_dword s8, s[0:1], 0x4
	v_mul_u32_u24_sdwa v54, v55, s34 dst_sel:DWORD dst_unused:UNUSED_PAD src0_sel:WORD_0 src1_sel:DWORD
	v_pk_fma_f16 v43, v43, v54, v52
	v_pk_fma_f16 v44, v44, v54, v53
	v_mul_u32_u24_sdwa v52, v55, s34 dst_sel:DWORD dst_unused:UNUSED_PAD src0_sel:WORD_1 src1_sel:DWORD
	s_waitcnt lgkmcnt(0)
	s_lshl_b32 s8, s8, 6
	s_add_i32 s6, s8, s6
	v_pk_fma_f16 v43, v45, v52, v43
	s_cmp_ge_i32 s6, s28
	v_pk_fma_f16 v44, v46, v52, v44
	s_cbranch_scc1 .LBB78_7
; %bb.24:                               ;   in Loop: Header=BB78_15 Depth=1
	v_mov_b32_e32 v46, v1
	v_mov_b32_e32 v45, v51
	s_branch .LBB78_15
	.section	.rodata,"a",@progbits
	.p2align	6, 0x0
	.amdhsa_kernel _ZL15flash_attn_tileILi128ELi128ELi2ELi4ELb1EEvPKcS1_S1_S1_S1_PKiPfP15HIP_vector_typeIfLj2EEffffjfiS5_IjLj3EEiiiiiiiiiiiliiliiiiil
		.amdhsa_group_segment_fixed_size 20480
		.amdhsa_private_segment_fixed_size 0
		.amdhsa_kernarg_size 464
		.amdhsa_user_sgpr_count 6
		.amdhsa_user_sgpr_private_segment_buffer 1
		.amdhsa_user_sgpr_dispatch_ptr 0
		.amdhsa_user_sgpr_queue_ptr 0
		.amdhsa_user_sgpr_kernarg_segment_ptr 1
		.amdhsa_user_sgpr_dispatch_id 0
		.amdhsa_user_sgpr_flat_scratch_init 0
		.amdhsa_user_sgpr_private_segment_size 0
		.amdhsa_uses_dynamic_stack 0
		.amdhsa_system_sgpr_private_segment_wavefront_offset 0
		.amdhsa_system_sgpr_workgroup_id_x 1
		.amdhsa_system_sgpr_workgroup_id_y 1
		.amdhsa_system_sgpr_workgroup_id_z 1
		.amdhsa_system_sgpr_workgroup_info 0
		.amdhsa_system_vgpr_workitem_id 1
		.amdhsa_next_free_vgpr 78
		.amdhsa_next_free_sgpr 98
		.amdhsa_reserve_vcc 1
		.amdhsa_reserve_flat_scratch 0
		.amdhsa_float_round_mode_32 0
		.amdhsa_float_round_mode_16_64 0
		.amdhsa_float_denorm_mode_32 3
		.amdhsa_float_denorm_mode_16_64 3
		.amdhsa_dx10_clamp 1
		.amdhsa_ieee_mode 1
		.amdhsa_fp16_overflow 0
		.amdhsa_exception_fp_ieee_invalid_op 0
		.amdhsa_exception_fp_denorm_src 0
		.amdhsa_exception_fp_ieee_div_zero 0
		.amdhsa_exception_fp_ieee_overflow 0
		.amdhsa_exception_fp_ieee_underflow 0
		.amdhsa_exception_fp_ieee_inexact 0
		.amdhsa_exception_int_div_zero 0
	.end_amdhsa_kernel
	.section	.text._ZL15flash_attn_tileILi128ELi128ELi2ELi4ELb1EEvPKcS1_S1_S1_S1_PKiPfP15HIP_vector_typeIfLj2EEffffjfiS5_IjLj3EEiiiiiiiiiiiliiliiiiil,"axG",@progbits,_ZL15flash_attn_tileILi128ELi128ELi2ELi4ELb1EEvPKcS1_S1_S1_S1_PKiPfP15HIP_vector_typeIfLj2EEffffjfiS5_IjLj3EEiiiiiiiiiiiliiliiiiil,comdat
.Lfunc_end78:
	.size	_ZL15flash_attn_tileILi128ELi128ELi2ELi4ELb1EEvPKcS1_S1_S1_S1_PKiPfP15HIP_vector_typeIfLj2EEffffjfiS5_IjLj3EEiiiiiiiiiiiliiliiiiil, .Lfunc_end78-_ZL15flash_attn_tileILi128ELi128ELi2ELi4ELb1EEvPKcS1_S1_S1_S1_PKiPfP15HIP_vector_typeIfLj2EEffffjfiS5_IjLj3EEiiiiiiiiiiiliiliiiiil
                                        ; -- End function
	.set _ZL15flash_attn_tileILi128ELi128ELi2ELi4ELb1EEvPKcS1_S1_S1_S1_PKiPfP15HIP_vector_typeIfLj2EEffffjfiS5_IjLj3EEiiiiiiiiiiiliiliiiiil.num_vgpr, 78
	.set _ZL15flash_attn_tileILi128ELi128ELi2ELi4ELb1EEvPKcS1_S1_S1_S1_PKiPfP15HIP_vector_typeIfLj2EEffffjfiS5_IjLj3EEiiiiiiiiiiiliiliiiiil.num_agpr, 0
	.set _ZL15flash_attn_tileILi128ELi128ELi2ELi4ELb1EEvPKcS1_S1_S1_S1_PKiPfP15HIP_vector_typeIfLj2EEffffjfiS5_IjLj3EEiiiiiiiiiiiliiliiiiil.numbered_sgpr, 40
	.set _ZL15flash_attn_tileILi128ELi128ELi2ELi4ELb1EEvPKcS1_S1_S1_S1_PKiPfP15HIP_vector_typeIfLj2EEffffjfiS5_IjLj3EEiiiiiiiiiiiliiliiiiil.num_named_barrier, 0
	.set _ZL15flash_attn_tileILi128ELi128ELi2ELi4ELb1EEvPKcS1_S1_S1_S1_PKiPfP15HIP_vector_typeIfLj2EEffffjfiS5_IjLj3EEiiiiiiiiiiiliiliiiiil.private_seg_size, 0
	.set _ZL15flash_attn_tileILi128ELi128ELi2ELi4ELb1EEvPKcS1_S1_S1_S1_PKiPfP15HIP_vector_typeIfLj2EEffffjfiS5_IjLj3EEiiiiiiiiiiiliiliiiiil.uses_vcc, 1
	.set _ZL15flash_attn_tileILi128ELi128ELi2ELi4ELb1EEvPKcS1_S1_S1_S1_PKiPfP15HIP_vector_typeIfLj2EEffffjfiS5_IjLj3EEiiiiiiiiiiiliiliiiiil.uses_flat_scratch, 0
	.set _ZL15flash_attn_tileILi128ELi128ELi2ELi4ELb1EEvPKcS1_S1_S1_S1_PKiPfP15HIP_vector_typeIfLj2EEffffjfiS5_IjLj3EEiiiiiiiiiiiliiliiiiil.has_dyn_sized_stack, 0
	.set _ZL15flash_attn_tileILi128ELi128ELi2ELi4ELb1EEvPKcS1_S1_S1_S1_PKiPfP15HIP_vector_typeIfLj2EEffffjfiS5_IjLj3EEiiiiiiiiiiiliiliiiiil.has_recursion, 0
	.set _ZL15flash_attn_tileILi128ELi128ELi2ELi4ELb1EEvPKcS1_S1_S1_S1_PKiPfP15HIP_vector_typeIfLj2EEffffjfiS5_IjLj3EEiiiiiiiiiiiliiliiiiil.has_indirect_call, 0
	.section	.AMDGPU.csdata,"",@progbits
; Kernel info:
; codeLenInByte = 7256
; TotalNumSgprs: 44
; NumVgprs: 78
; ScratchSize: 0
; MemoryBound: 0
; FloatMode: 240
; IeeeMode: 1
; LDSByteSize: 20480 bytes/workgroup (compile time only)
; SGPRBlocks: 12
; VGPRBlocks: 19
; NumSGPRsForWavesPerEU: 102
; NumVGPRsForWavesPerEU: 78
; Occupancy: 3
; WaveLimiterHint : 1
; COMPUTE_PGM_RSRC2:SCRATCH_EN: 0
; COMPUTE_PGM_RSRC2:USER_SGPR: 6
; COMPUTE_PGM_RSRC2:TRAP_HANDLER: 0
; COMPUTE_PGM_RSRC2:TGID_X_EN: 1
; COMPUTE_PGM_RSRC2:TGID_Y_EN: 1
; COMPUTE_PGM_RSRC2:TGID_Z_EN: 1
; COMPUTE_PGM_RSRC2:TIDIG_COMP_CNT: 1
	.section	.text._ZL15flash_attn_tileILi128ELi128ELi1ELi4ELb1EEvPKcS1_S1_S1_S1_PKiPfP15HIP_vector_typeIfLj2EEffffjfiS5_IjLj3EEiiiiiiiiiiiliiliiiiil,"axG",@progbits,_ZL15flash_attn_tileILi128ELi128ELi1ELi4ELb1EEvPKcS1_S1_S1_S1_PKiPfP15HIP_vector_typeIfLj2EEffffjfiS5_IjLj3EEiiiiiiiiiiiliiliiiiil,comdat
	.globl	_ZL15flash_attn_tileILi128ELi128ELi1ELi4ELb1EEvPKcS1_S1_S1_S1_PKiPfP15HIP_vector_typeIfLj2EEffffjfiS5_IjLj3EEiiiiiiiiiiiliiliiiiil ; -- Begin function _ZL15flash_attn_tileILi128ELi128ELi1ELi4ELb1EEvPKcS1_S1_S1_S1_PKiPfP15HIP_vector_typeIfLj2EEffffjfiS5_IjLj3EEiiiiiiiiiiiliiliiiiil
	.p2align	8
	.type	_ZL15flash_attn_tileILi128ELi128ELi1ELi4ELb1EEvPKcS1_S1_S1_S1_PKiPfP15HIP_vector_typeIfLj2EEffffjfiS5_IjLj3EEiiiiiiiiiiiliiliiiiil,@function
_ZL15flash_attn_tileILi128ELi128ELi1ELi4ELb1EEvPKcS1_S1_S1_S1_PKiPfP15HIP_vector_typeIfLj2EEffffjfiS5_IjLj3EEiiiiiiiiiiiliiliiiiil: ; @_ZL15flash_attn_tileILi128ELi128ELi1ELi4ELb1EEvPKcS1_S1_S1_S1_PKiPfP15HIP_vector_typeIfLj2EEffffjfiS5_IjLj3EEiiiiiiiiiiiliiliiiiil
; %bb.0:
	s_load_dwordx4 s[0:3], s[4:5], 0x5c
	s_load_dwordx2 s[28:29], s[4:5], 0x80
	s_load_dwordx2 s[34:35], s[4:5], 0xb8
	s_mov_b64 s[30:31], 0
	s_waitcnt lgkmcnt(0)
	s_ashr_i32 s9, s3, 31
	s_lshr_b32 s9, s9, 30
	s_add_i32 s9, s3, s9
	s_ashr_i32 s9, s9, 2
	v_cvt_f32_u32_e32 v2, s9
	s_sub_i32 s10, 0, s9
	v_rcp_iflag_f32_e32 v2, v2
	v_mul_f32_e32 v2, 0x4f7ffffe, v2
	v_cvt_u32_f32_e32 v2, v2
	v_readfirstlane_b32 s11, v2
	s_mul_i32 s10, s10, s11
	s_mul_hi_u32 s10, s11, s10
	s_add_i32 s11, s11, s10
	s_mul_hi_u32 s10, s8, s11
	s_mul_i32 s11, s10, s9
	s_sub_i32 s11, s8, s11
	s_add_i32 s12, s10, 1
	s_sub_i32 s13, s11, s9
	s_cmp_ge_u32 s11, s9
	s_cselect_b32 s10, s12, s10
	s_cselect_b32 s11, s13, s11
	s_add_i32 s12, s10, 1
	s_cmp_ge_u32 s11, s9
	s_cselect_b32 s33, s12, s10
	s_abs_i32 s9, s29
	v_cvt_f32_u32_e32 v2, s9
	s_lshl_b32 s8, s8, 2
	s_mul_i32 s12, s33, s3
	s_xor_b32 s10, s3, s29
	v_rcp_iflag_f32_e32 v2, v2
	s_sub_i32 s13, 0, s9
	s_sub_i32 s29, s8, s12
	s_abs_i32 s11, s3
	v_mul_f32_e32 v2, 0x4f7ffffe, v2
	v_cvt_u32_f32_e32 v2, v2
	s_ashr_i32 s10, s10, 31
	v_readfirstlane_b32 s8, v2
	s_mul_i32 s13, s13, s8
	s_mul_hi_u32 s12, s8, s13
	s_add_i32 s8, s8, s12
	s_mul_hi_u32 s8, s11, s8
	s_mul_i32 s12, s8, s9
	s_sub_i32 s11, s11, s12
	s_add_i32 s13, s8, 1
	s_sub_i32 s12, s11, s9
	s_cmp_ge_u32 s11, s9
	s_cselect_b32 s8, s13, s8
	s_cselect_b32 s11, s12, s11
	s_add_i32 s12, s8, 1
	s_cmp_ge_u32 s11, s9
	s_cselect_b32 s8, s12, s8
	s_xor_b32 s8, s8, s10
	s_sub_i32 s37, s8, s10
	s_abs_i32 s36, s37
	v_cvt_f32_u32_e32 v2, s36
	s_load_dwordx16 s[8:23], s[4:5], 0x0
	v_rcp_iflag_f32_e32 v2, v2
	s_waitcnt lgkmcnt(0)
	s_cmp_eq_u64 s[14:15], 0
	v_mul_f32_e32 v2, 0x4f7ffffe, v2
	v_cvt_u32_f32_e32 v2, v2
	v_readfirstlane_b32 s38, v2
	s_cbranch_scc1 .LBB79_2
; %bb.1:
	s_abs_i32 s26, s34
	v_cvt_f32_u32_e32 v2, s26
	s_sub_i32 s31, 0, s26
	s_abs_i32 s30, s33
	s_ashr_i32 s27, s33, 31
	v_rcp_iflag_f32_e32 v2, v2
	s_load_dwordx2 s[24:25], s[4:5], 0xc8
	v_mul_f32_e32 v2, 0x4f7ffffe, v2
	v_cvt_u32_f32_e32 v2, v2
	v_readfirstlane_b32 s34, v2
	s_mul_i32 s31, s31, s34
	s_mul_hi_u32 s31, s34, s31
	s_add_i32 s34, s34, s31
	s_mul_hi_u32 s31, s30, s34
	s_mul_i32 s31, s31, s26
	s_sub_i32 s30, s30, s31
	s_sub_i32 s31, s30, s26
	s_cmp_ge_u32 s30, s26
	s_cselect_b32 s30, s31, s30
	s_sub_i32 s31, s30, s26
	s_cmp_ge_u32 s30, s26
	s_cselect_b32 s26, s31, s30
	s_xor_b32 s26, s26, s27
	s_sub_i32 s26, s26, s27
	s_ashr_i32 s27, s26, 31
	s_waitcnt lgkmcnt(0)
	s_mul_hi_u32 s30, s24, s26
	s_mul_i32 s27, s24, s27
	s_mul_i32 s25, s25, s26
	s_add_i32 s27, s30, s27
	s_add_i32 s27, s27, s25
	s_mul_i32 s24, s24, s26
	s_add_u32 s30, s14, s24
	s_addc_u32 s31, s15, s27
.LBB79_2:
	v_lshrrev_b32_e32 v2, 2, v1
	s_load_dwordx4 s[24:27], s[4:5], 0x70
	v_add_u32_e32 v37, s6, v2
	v_mul_hi_u32 v2, s0, v37
	v_and_b32_e32 v38, 3, v1
	v_lshlrev_b32_e32 v40, 3, v0
	s_waitcnt lgkmcnt(0)
	s_mul_i32 s14, s33, s26
	v_add_u32_e32 v2, v37, v2
	s_ashr_i32 s26, s14, 31
	v_lshrrev_b32_e32 v2, s1, v2
	s_mul_i32 s15, s29, s25
	s_add_u32 s8, s8, s14
	v_mul_lo_u32 v2, v2, s2
	s_addc_u32 s9, s9, s26
	s_ashr_i32 s14, s15, 31
	s_add_u32 s26, s8, s15
	s_addc_u32 s27, s9, s14
	s_ashr_i32 s9, s25, 31
	s_mov_b32 s8, s25
	s_ashr_i32 s25, s24, 31
	s_lshr_b64 s[14:15], s[8:9], 2
	v_sub_u32_e32 v2, v37, v2
	s_lshr_b64 s[0:1], s[24:25], 2
	v_mad_u64_u32 v[3:4], s[14:15], s14, v38, 0
	v_mad_u64_u32 v[5:6], s[0:1], s0, v2, 0
	s_lshr_b32 s0, s9, 2
	v_mad_u64_u32 v[7:8], s[0:1], s0, v38, v[4:5]
	v_mov_b32_e32 v4, v6
	s_lshr_b32 s0, s25, 2
	v_mad_u64_u32 v[8:9], s[0:1], s0, v2, v[4:5]
	v_mov_b32_e32 v4, v7
	v_lshlrev_b64 v[3:4], 2, v[3:4]
	v_mov_b32_e32 v6, v8
	v_mov_b32_e32 v7, s27
	v_add_co_u32_e32 v8, vcc, s26, v3
	v_addc_co_u32_e32 v7, vcc, v7, v4, vcc
	v_lshlrev_b64 v[3:4], 2, v[5:6]
	v_lshlrev_b32_e32 v5, 4, v0
	v_add_co_u32_e32 v3, vcc, v8, v3
	v_addc_co_u32_e32 v4, vcc, v7, v4, vcc
	v_add_co_u32_e32 v3, vcc, v3, v5
	v_addc_co_u32_e32 v4, vcc, 0, v4, vcc
	global_load_dwordx4 v[3:6], v[3:4], off
	s_load_dword s0, s[4:5], 0x40
	v_mov_b32_e32 v7, 0x4400
	v_lshl_add_u32 v41, v1, 8, v7
	v_add_u32_e32 v7, v41, v40
	s_cmp_eq_u64 s[18:19], 0
	s_waitcnt vmcnt(0) lgkmcnt(0)
	v_fma_mixlo_f16 v3, s0, v3, 0
	v_fma_mixlo_f16 v4, s0, v4, 0
	;; [unrolled: 1-line block ×4, first 2 shown]
	v_lshlrev_b32_e32 v4, 16, v4
	v_and_b32_e32 v3, 0xffff, v3
	v_lshlrev_b32_e32 v6, 16, v6
	v_and_b32_e32 v5, 0xffff, v5
	v_or_b32_e32 v3, v4, v3
	v_or3_b32 v4, v6, v5, 0
	v_or3_b32 v3, 0, 0, v3
	ds_write_b64 v7, v[3:4]
	s_waitcnt lgkmcnt(0)
	s_barrier
	s_cbranch_scc1 .LBB79_4
; %bb.3:
	s_load_dword s0, s[4:5], 0xd0
	s_mov_b32 s1, 0
	s_waitcnt lgkmcnt(0)
	s_mul_i32 s0, s0, s33
	s_add_i32 s0, s0, s6
	s_lshl_b64 s[0:1], s[0:1], 2
	s_add_u32 s0, s18, s0
	s_addc_u32 s1, s19, s1
	s_load_dword s28, s[0:1], 0x0
.LBB79_4:
	s_lshl_b32 s6, s7, 6
	s_waitcnt lgkmcnt(0)
	s_cmp_lt_i32 s6, s28
	v_mbcnt_lo_u32_b32 v68, -1, 0
	s_cbranch_scc1 .LBB79_12
; %bb.5:
	v_mbcnt_hi_u32_b32 v44, -1, v68
	v_and_b32_e32 v3, 0x60, v44
	v_add_u32_e32 v72, 32, v3
	v_xor_b32_e32 v71, 16, v44
	v_xor_b32_e32 v36, 8, v44
	;; [unrolled: 1-line block ×5, first 2 shown]
	v_lshlrev_b32_e32 v39, 2, v0
	s_cbranch_execz .LBB79_13
; %bb.6:
	v_mov_b32_e32 v68, 0
	v_mov_b32_e32 v75, 0
	v_mov_b32_e32 v1, 0xfeffffff
	v_mov_b32_e32 v67, 0
.LBB79_7:
	v_cmp_lt_i32_e32 vcc, v71, v72
	v_cndmask_b32_e32 v2, v44, v71, vcc
	v_lshlrev_b32_e32 v2, 2, v2
	ds_bpermute_b32 v2, v2, v75
	v_cmp_lt_i32_e32 vcc, v36, v72
	v_cndmask_b32_e32 v3, v44, v36, vcc
	v_lshlrev_b32_e32 v3, 2, v3
	v_cmp_lt_i32_e32 vcc, v35, v72
	s_waitcnt lgkmcnt(0)
	v_add_f32_e32 v2, v75, v2
	ds_bpermute_b32 v3, v3, v2
	v_cndmask_b32_e32 v4, v44, v35, vcc
	v_lshlrev_b32_e32 v4, 2, v4
	v_cmp_lt_i32_e32 vcc, v73, v72
	s_cmp_lg_u64 s[16:17], 0
	s_waitcnt lgkmcnt(0)
	v_add_f32_e32 v2, v2, v3
	ds_bpermute_b32 v3, v4, v2
	v_cndmask_b32_e32 v4, v44, v73, vcc
	v_lshlrev_b32_e32 v4, 2, v4
	v_cmp_lt_i32_e32 vcc, v74, v72
	v_cndmask_b32_e32 v5, v44, v74, vcc
	s_waitcnt lgkmcnt(0)
	v_add_f32_e32 v2, v2, v3
	ds_bpermute_b32 v4, v4, v2
	v_lshlrev_b32_e32 v5, 2, v5
	s_cselect_b64 s[0:1], -1, 0
	s_cmp_eq_u32 s7, 0
	s_cselect_b64 s[8:9], -1, 0
	s_waitcnt lgkmcnt(0)
	v_add_f32_e32 v2, v2, v4
	ds_bpermute_b32 v4, v5, v2
	s_and_b64 s[0:1], s[8:9], s[0:1]
	v_add_u32_e32 v3, s29, v38
	s_and_b64 vcc, exec, s[0:1]
	s_waitcnt lgkmcnt(0)
	v_add_f32_e32 v2, v2, v4
	s_cbranch_vccz .LBB79_9
; %bb.8:
	v_ashrrev_i32_e32 v4, 31, v3
	v_lshlrev_b64 v[4:5], 2, v[3:4]
	v_mov_b32_e32 v6, s17
	v_add_co_u32_e32 v4, vcc, s16, v4
	v_addc_co_u32_e32 v5, vcc, v6, v5, vcc
	global_load_dword v4, v[4:5], off
	v_max_f32_e32 v5, v1, v1
	s_mov_b32 s0, 0x3fb8aa3b
	s_mov_b32 s1, 0xc2ce8ed0
	s_waitcnt vmcnt(0)
	v_max_f32_e32 v6, v4, v4
	v_max_f32_e32 v5, v5, v6
	v_sub_f32_e32 v1, v1, v5
	v_sub_f32_e32 v4, v4, v5
	v_mul_f32_e32 v6, 0x3fb8aa3b, v1
	v_mul_f32_e32 v7, 0x3fb8aa3b, v4
	v_fma_f32 v8, v1, s0, -v6
	v_rndne_f32_e32 v9, v6
	v_fma_f32 v10, v4, s0, -v7
	v_rndne_f32_e32 v11, v7
	v_fmac_f32_e32 v8, 0x32a5705f, v1
	v_sub_f32_e32 v6, v6, v9
	v_fmac_f32_e32 v10, 0x32a5705f, v4
	v_sub_f32_e32 v7, v7, v11
	v_add_f32_e32 v6, v6, v8
	v_cvt_i32_f32_e32 v9, v9
	v_add_f32_e32 v7, v7, v10
	v_exp_f32_e32 v6, v6
	v_cvt_i32_f32_e32 v11, v11
	v_exp_f32_e32 v7, v7
	v_cmp_ngt_f32_e32 vcc, s1, v1
	v_ldexp_f32 v6, v6, v9
	s_mov_b32 s0, 0x42b17218
	v_ldexp_f32 v7, v7, v11
	v_cndmask_b32_e32 v6, 0, v6, vcc
	v_cmp_ngt_f32_e32 vcc, s1, v4
	v_mov_b32_e32 v8, 0x7f800000
	v_cndmask_b32_e32 v7, 0, v7, vcc
	v_cmp_nlt_f32_e32 vcc, s0, v1
	v_cndmask_b32_e32 v1, v8, v6, vcc
	v_cvt_f16_f32_e32 v6, v1
	v_cmp_nlt_f32_e32 vcc, s0, v4
	v_cndmask_b32_e32 v4, v8, v7, vcc
	v_fmac_f32_e32 v4, v2, v1
	v_mul_u32_u24_e32 v1, 0x10001, v6
	v_mov_b32_e32 v2, v4
	v_pk_mul_f16 v67, v67, v1
	v_pk_mul_f16 v68, v68, v1
	v_mov_b32_e32 v1, v5
.LBB79_9:
	v_div_scale_f32 v4, s[0:1], v2, v2, 1.0
	v_div_scale_f32 v6, vcc, 1.0, v2, 1.0
	s_mul_i32 s33, s33, s2
	s_load_dword s4, s[4:5], 0xd4
	v_cmp_eq_u32_e64 s[0:1], 0, v0
	v_add_u32_e32 v0, s33, v37
	v_mov_b32_e32 v5, 0
	v_cvt_f32_f16_e32 v10, v68
	v_cvt_f32_f16_sdwa v11, v68 dst_sel:DWORD dst_unused:UNUSED_PAD src0_sel:WORD_1
	s_waitcnt lgkmcnt(0)
	s_cmp_lg_u32 s4, 1
	v_rcp_f32_e32 v7, v4
	v_fma_f32 v8, -v4, v7, 1.0
	v_fmac_f32_e32 v7, v8, v7
	v_mul_f32_e32 v8, v6, v7
	v_fma_f32 v9, -v4, v8, v6
	v_fmac_f32_e32 v8, v9, v7
	v_fma_f32 v4, -v4, v8, v6
	v_div_fmas_f32 v6, v4, v7, v8
	v_mad_u64_u32 v[3:4], s[2:3], v0, s3, v[3:4]
	v_cvt_f32_f16_e32 v0, v67
	v_cvt_f32_f16_sdwa v7, v67 dst_sel:DWORD dst_unused:UNUSED_PAD src0_sel:WORD_1
	v_mul_lo_u32 v3, s4, v3
	s_cselect_b64 s[2:3], -1, 0
	v_mov_b32_e32 v9, s21
	s_and_b64 s[0:1], s[0:1], s[2:3]
	v_add_u32_e32 v3, s7, v3
	v_lshl_add_u32 v4, v3, 7, v39
	v_lshlrev_b64 v[4:5], 2, v[4:5]
	v_add_co_u32_e32 v8, vcc, s20, v4
	v_addc_co_u32_e32 v9, vcc, v9, v5, vcc
	v_div_fixup_f32 v4, v6, v2, 1.0
	v_cndmask_b32_e64 v12, v4, 1.0, s[2:3]
	v_mul_f32_e32 v4, v12, v0
	v_mul_f32_e32 v5, v12, v7
	;; [unrolled: 1-line block ×4, first 2 shown]
	global_store_dwordx4 v[8:9], v[4:7], off
	s_and_saveexec_b64 s[2:3], s[0:1]
	s_cbranch_execz .LBB79_11
; %bb.10:
	v_ashrrev_i32_e32 v4, 31, v3
	v_lshlrev_b64 v[3:4], 3, v[3:4]
	v_mov_b32_e32 v0, s23
	v_add_co_u32_e32 v3, vcc, s22, v3
	v_addc_co_u32_e32 v4, vcc, v0, v4, vcc
	global_store_dwordx2 v[3:4], v[1:2], off
.LBB79_11:
	s_endpgm
.LBB79_12:
                                        ; implicit-def: $vgpr44
                                        ; implicit-def: $vgpr72
                                        ; implicit-def: $vgpr71
                                        ; implicit-def: $vgpr36
                                        ; implicit-def: $vgpr35
                                        ; implicit-def: $vgpr73
                                        ; implicit-def: $vgpr74
	v_lshlrev_b32_e32 v39, 2, v0
.LBB79_13:
	s_sub_i32 s0, 0, s36
	s_mul_i32 s0, s0, s38
	s_mul_hi_u32 s0, s38, s0
	s_add_i32 s38, s38, s0
	s_load_dwordx4 s[24:27], s[4:5], 0x98
	s_load_dword s14, s[4:5], 0x54
	s_load_dwordx2 s[0:1], s[4:5], 0x8c
	s_abs_i32 s19, s29
	s_mul_hi_u32 s34, s19, s38
	s_waitcnt lgkmcnt(0)
	s_ashr_i32 s15, s26, 2
	s_ashr_i32 s26, s35, 1
	;; [unrolled: 1-line block ×4, first 2 shown]
	s_mul_hi_u32 s35, s24, s33
	s_mul_i32 s39, s24, s0
	s_add_i32 s35, s35, s39
	s_mul_i32 s25, s25, s33
	s_ashr_i32 s38, s29, 31
	s_ashr_i32 s37, s37, 31
	s_add_i32 s35, s35, s25
	s_mul_i32 s24, s24, s33
	s_add_u32 s10, s10, s24
	s_mul_i32 s25, s34, s36
	s_addc_u32 s11, s11, s35
	s_sub_i32 s19, s19, s25
	s_xor_b32 s24, s38, s37
	s_add_i32 s25, s34, 1
	s_sub_i32 s35, s19, s36
	s_cmp_ge_u32 s19, s36
	s_cselect_b32 s25, s25, s34
	s_cselect_b32 s19, s35, s19
	s_add_i32 s34, s25, 1
	s_cmp_ge_u32 s19, s36
	s_load_dwordx2 s[8:9], s[4:5], 0xa8
	s_cselect_b32 s19, s34, s25
	s_xor_b32 s19, s19, s24
	s_sub_i32 s19, s19, s24
	s_mul_i32 s1, s19, s1
	s_ashr_i32 s24, s1, 31
	s_add_u32 s10, s10, s1
	s_waitcnt lgkmcnt(0)
	s_mul_hi_u32 s1, s8, s33
	s_mul_i32 s0, s8, s0
	s_addc_u32 s11, s11, s24
	s_add_i32 s0, s1, s0
	s_mul_i32 s1, s9, s33
	s_add_i32 s0, s0, s1
	s_mul_i32 s1, s8, s33
	v_lshrrev_b32_e32 v3, 4, v0
	s_add_u32 s1, s12, s1
	s_mul_i32 s19, s19, s27
	v_lshl_add_u32 v21, v1, 1, v3
	s_addc_u32 s0, s13, s0
	s_ashr_i32 s8, s19, 31
	v_mul_lo_u32 v4, s18, v21
	s_add_u32 s12, s1, s19
	v_and_b32_e32 v36, 60, v39
	s_addc_u32 s13, s0, s8
	v_lshlrev_b32_e32 v22, 2, v36
	s_movk_i32 s0, 0x110
	v_mad_u32_u24 v42, v21, s0, v22
	s_lshl_b32 s0, s18, 3
	v_add_u32_e32 v6, s0, v4
	v_add_u32_e32 v8, s0, v6
	;; [unrolled: 1-line block ×5, first 2 shown]
	v_mul_lo_u32 v20, s15, v21
	v_add_u32_e32 v16, s0, v14
	v_add_u32_e32 v18, s0, v16
	v_mad_u64_u32 v[2:3], s[0:1], v2, s26, v[0:1]
	s_lshl_b32 s0, s15, 3
	v_lshl_or_b32 v54, v21, 8, v22
	v_add_u32_e32 v22, s0, v20
	v_add_u32_e32 v24, s0, v22
	;; [unrolled: 1-line block ×7, first 2 shown]
	v_ashrrev_i32_e32 v5, 31, v4
	v_ashrrev_i32_e32 v7, 31, v6
	;; [unrolled: 1-line block ×8, first 2 shown]
	v_mov_b32_e32 v3, 0x4800
	v_ashrrev_i32_e32 v21, 31, v20
	v_ashrrev_i32_e32 v23, 31, v22
	;; [unrolled: 1-line block ×8, first 2 shown]
	v_lshl_add_u32 v52, v1, 7, v3
	s_add_u32 s0, s4, 0xd0
	v_lshlrev_b64 v[3:4], 2, v[4:5]
	v_lshlrev_b64 v[5:6], 2, v[6:7]
	;; [unrolled: 1-line block ×16, first 2 shown]
	v_mov_b32_e32 v67, 0
	v_add_u32_e32 v43, 0x880, v42
	v_add_u32_e32 v45, 0x1100, v42
	;; [unrolled: 1-line block ×7, first 2 shown]
	v_mul_u32_u24_e32 v51, 0x110, v0
	v_lshl_add_u32 v53, v0, 1, v52
	v_add_u32_e32 v55, 0x800, v54
	v_add_u32_e32 v56, 0x1000, v54
	v_add_u32_e32 v57, 0x1800, v54
	v_add_u32_e32 v58, 0x2000, v54
	v_add_u32_e32 v59, 0x2800, v54
	v_add_u32_e32 v60, 0x3000, v54
	v_add_u32_e32 v61, 0x3800, v54
	s_addc_u32 s1, s5, 0
	v_mov_b32_e32 v70, 0xfeffffff
	v_lshlrev_b32_e32 v62, 2, v36
	s_mov_b32 s19, 0x3f200000
	s_mov_b32 s24, 0x3fb8aa3b
	;; [unrolled: 1-line block ×4, first 2 shown]
	v_mov_b32_e32 v63, 0xbd5c1c4e
	v_mov_b32_e32 v64, 0x3e088382
	;; [unrolled: 1-line block ×3, first 2 shown]
	s_brev_b32 s27, -2
	s_mov_b32 s34, 0x10001
	v_mov_b32_e32 v66, 0x7f800000
	v_mbcnt_hi_u32_b32 v44, -1, v68
	v_mov_b32_e32 v68, 0
	v_mov_b32_e32 v69, 0
.LBB79_14:                              ; =>This Inner Loop Header: Depth=1
	s_mul_hi_i32 s9, s6, s18
	s_mul_i32 s8, s6, s18
	s_lshl_b64 s[8:9], s[8:9], 2
	s_add_u32 s8, s10, s8
	s_addc_u32 s9, s11, s9
	v_mov_b32_e32 v1, s9
	v_add_co_u32_e32 v35, vcc, s8, v3
	v_addc_co_u32_e32 v1, vcc, v1, v4, vcc
	v_add_co_u32_e32 v35, vcc, v35, v62
	v_addc_co_u32_e32 v36, vcc, 0, v1, vcc
	v_mov_b32_e32 v1, s9
	v_add_co_u32_e32 v71, vcc, s8, v5
	v_addc_co_u32_e32 v1, vcc, v1, v6, vcc
	v_add_co_u32_e32 v75, vcc, v71, v62
	v_addc_co_u32_e32 v76, vcc, 0, v1, vcc
	global_load_dwordx4 v[71:74], v[35:36], off
	s_nop 0
	global_load_dwordx4 v[75:78], v[75:76], off
	v_mov_b32_e32 v1, s9
	v_add_co_u32_e32 v35, vcc, s8, v7
	v_addc_co_u32_e32 v1, vcc, v1, v8, vcc
	v_add_co_u32_e32 v35, vcc, v35, v62
	v_addc_co_u32_e32 v36, vcc, 0, v1, vcc
	v_mov_b32_e32 v1, s9
	v_add_co_u32_e32 v79, vcc, s8, v9
	v_addc_co_u32_e32 v1, vcc, v1, v10, vcc
	v_add_co_u32_e32 v83, vcc, v79, v62
	v_addc_co_u32_e32 v84, vcc, 0, v1, vcc
	global_load_dwordx4 v[79:82], v[35:36], off
	s_nop 0
	global_load_dwordx4 v[83:86], v[83:84], off
	;; [unrolled: 13-line block ×4, first 2 shown]
	v_mov_b32_e32 v1, 0
	s_waitcnt vmcnt(7)
	ds_write_b128 v42, v[71:74]
	s_waitcnt vmcnt(6)
	ds_write_b128 v43, v[75:78]
	;; [unrolled: 2-line block ×8, first 2 shown]
	s_waitcnt lgkmcnt(0)
	s_barrier
	ds_read_b128 v[71:74], v51
	ds_read_b128 v[75:78], v41
	ds_read_b128 v[79:82], v51 offset:8704
	s_waitcnt lgkmcnt(1)
	;;#ASMSTART
	v_dot2_f32_f16 v1, v71, v75, v1
	;;#ASMEND
	;;#ASMSTART
	v_dot2_f32_f16 v1, v72, v76, v1
	;;#ASMEND
	;; [unrolled: 3-line block ×3, first 2 shown]
	v_mov_b32_e32 v72, 0
	;;#ASMSTART
	v_dot2_f32_f16 v1, v74, v78, v1
	;;#ASMEND
	s_waitcnt lgkmcnt(0)
	;;#ASMSTART
	v_dot2_f32_f16 v72, v79, v75, v72
	;;#ASMEND
	;;#ASMSTART
	v_dot2_f32_f16 v72, v80, v76, v72
	;;#ASMEND
	;;#ASMSTART
	v_dot2_f32_f16 v72, v81, v77, v72
	;;#ASMEND
	;;#ASMSTART
	v_dot2_f32_f16 v72, v82, v78, v72
	;;#ASMEND
	ds_read_b128 v[73:76], v51 offset:16
	ds_read_b128 v[77:80], v41 offset:16
	ds_read_b128 v[81:84], v51 offset:8720
	s_waitcnt lgkmcnt(1)
	;;#ASMSTART
	v_dot2_f32_f16 v1, v73, v77, v1
	;;#ASMEND
	;;#ASMSTART
	v_dot2_f32_f16 v1, v74, v78, v1
	;;#ASMEND
	;;#ASMSTART
	v_dot2_f32_f16 v1, v75, v79, v1
	;;#ASMEND
	;;#ASMSTART
	v_dot2_f32_f16 v1, v76, v80, v1
	;;#ASMEND
	s_waitcnt lgkmcnt(0)
	;;#ASMSTART
	v_dot2_f32_f16 v72, v81, v77, v72
	;;#ASMEND
	;;#ASMSTART
	v_dot2_f32_f16 v72, v82, v78, v72
	;;#ASMEND
	;;#ASMSTART
	v_dot2_f32_f16 v72, v83, v79, v72
	;;#ASMEND
	;;#ASMSTART
	v_dot2_f32_f16 v72, v84, v80, v72
	;;#ASMEND
	ds_read_b128 v[73:76], v51 offset:32
	ds_read_b128 v[77:80], v41 offset:32
	ds_read_b128 v[81:84], v51 offset:8736
	s_waitcnt lgkmcnt(1)
	;;#ASMSTART
	v_dot2_f32_f16 v1, v73, v77, v1
	;;#ASMEND
	;;#ASMSTART
	v_dot2_f32_f16 v1, v74, v78, v1
	;;#ASMEND
	;;#ASMSTART
	v_dot2_f32_f16 v1, v75, v79, v1
	;;#ASMEND
	;; [unrolled: 29-line block ×15, first 2 shown]
	;;#ASMSTART
	v_dot2_f32_f16 v1, v76, v80, v1
	;;#ASMEND
	s_waitcnt lgkmcnt(0)
	;;#ASMSTART
	v_dot2_f32_f16 v72, v81, v77, v72
	;;#ASMEND
	;;#ASMSTART
	v_dot2_f32_f16 v72, v82, v78, v72
	;;#ASMEND
	;; [unrolled: 3-line block ×3, first 2 shown]
	v_cmp_nlt_f32_e64 s[8:9], |v1|, s19
	;;#ASMSTART
	v_dot2_f32_f16 v72, v84, v80, v72
	;;#ASMEND
                                        ; implicit-def: $vgpr71
	s_and_saveexec_b64 s[36:37], s[8:9]
	s_xor_b64 s[8:9], exec, s[36:37]
	s_cbranch_execz .LBB79_16
; %bb.15:                               ;   in Loop: Header=BB79_14 Depth=1
	v_add_f32_e64 v35, |v1|, |v1|
	v_mul_f32_e32 v36, 0x3fb8aa3b, v35
	v_rndne_f32_e32 v71, v36
	v_sub_f32_e32 v73, v36, v71
	v_fma_f32 v36, v35, s24, -v36
	v_fmac_f32_e32 v36, 0x32a5705f, v35
	v_add_f32_e32 v36, v73, v36
	v_cvt_i32_f32_e32 v71, v71
	v_exp_f32_e32 v36, v36
	v_cmp_ngt_f32_e32 vcc, s25, v35
	v_ldexp_f32 v36, v36, v71
	v_cndmask_b32_e32 v36, 0, v36, vcc
	v_cmp_nlt_f32_e32 vcc, s26, v35
	v_cndmask_b32_e32 v35, v66, v36, vcc
	v_add_f32_e32 v35, 1.0, v35
	v_rcp_f32_e32 v35, v35
	v_fma_f32 v71, v35, -2.0, 1.0
.LBB79_16:                              ;   in Loop: Header=BB79_14 Depth=1
	s_andn2_saveexec_b64 s[8:9], s[8:9]
; %bb.17:                               ;   in Loop: Header=BB79_14 Depth=1
	v_mul_f32_e32 v35, v1, v1
	v_mov_b32_e32 v36, 0x3ca908c9
	v_fmac_f32_e32 v36, 0xbbbac73d, v35
	v_fma_f32 v36, v35, v36, v63
	v_fma_f32 v36, v35, v36, v64
	;; [unrolled: 1-line block ×3, first 2 shown]
	v_mul_f32_e64 v36, |v1|, v36
	v_fma_f32 v71, v35, v36, |v1|
; %bb.18:                               ;   in Loop: Header=BB79_14 Depth=1
	s_or_b64 exec, exec, s[8:9]
	v_add_u32_e32 v35, s6, v2
	v_ashrrev_i32_e32 v36, 31, v35
	v_lshlrev_b64 v[35:36], 1, v[35:36]
	v_mov_b32_e32 v73, s31
	v_add_co_u32_e32 v35, vcc, s30, v35
	v_addc_co_u32_e32 v36, vcc, v73, v36, vcc
	global_load_ushort v73, v[35:36], off
	v_cmp_nlt_f32_e64 s[8:9], |v72|, s19
                                        ; implicit-def: $vgpr74
	s_and_saveexec_b64 s[36:37], s[8:9]
	s_xor_b64 s[8:9], exec, s[36:37]
	s_cbranch_execz .LBB79_20
; %bb.19:                               ;   in Loop: Header=BB79_14 Depth=1
	v_add_f32_e64 v74, |v72|, |v72|
	v_mul_f32_e32 v75, 0x3fb8aa3b, v74
	v_rndne_f32_e32 v76, v75
	v_sub_f32_e32 v77, v75, v76
	v_fma_f32 v75, v74, s24, -v75
	v_fmac_f32_e32 v75, 0x32a5705f, v74
	v_add_f32_e32 v75, v77, v75
	v_cvt_i32_f32_e32 v76, v76
	v_exp_f32_e32 v75, v75
	v_cmp_ngt_f32_e32 vcc, s25, v74
	v_ldexp_f32 v75, v75, v76
	v_cndmask_b32_e32 v75, 0, v75, vcc
	v_cmp_nlt_f32_e32 vcc, s26, v74
	v_cndmask_b32_e32 v74, v66, v75, vcc
	v_add_f32_e32 v74, 1.0, v74
	v_rcp_f32_e32 v74, v74
	v_fma_f32 v74, v74, -2.0, 1.0
.LBB79_20:                              ;   in Loop: Header=BB79_14 Depth=1
	s_andn2_saveexec_b64 s[8:9], s[8:9]
; %bb.21:                               ;   in Loop: Header=BB79_14 Depth=1
	v_mul_f32_e32 v74, v72, v72
	v_mov_b32_e32 v75, 0x3ca908c9
	v_fmac_f32_e32 v75, 0xbbbac73d, v74
	v_fma_f32 v75, v74, v75, v63
	v_fma_f32 v75, v74, v75, v64
	;; [unrolled: 1-line block ×3, first 2 shown]
	v_mul_f32_e64 v75, |v72|, v75
	v_fma_f32 v74, v74, v75, |v72|
; %bb.22:                               ;   in Loop: Header=BB79_14 Depth=1
	s_or_b64 exec, exec, s[8:9]
	global_load_ushort v75, v[35:36], off offset:64
	v_and_b32_e32 v76, 0x60, v44
	v_xor_b32_e32 v35, 4, v44
	v_bfi_b32 v77, s27, v74, v72
	s_mul_hi_i32 s9, s6, s15
	s_mul_i32 s8, s6, s15
	v_add_u32_e32 v72, 32, v76
	v_bfi_b32 v1, s27, v71, v1
	v_xor_b32_e32 v36, 8, v44
	s_lshl_b64 s[8:9], s[8:9], 2
	v_cmp_lt_i32_e32 vcc, v35, v72
	v_xor_b32_e32 v71, 16, v44
	s_waitcnt vmcnt(1)
	v_fma_mix_f32 v108, s14, v1, v73 op_sel_hi:[0,0,1]
	v_cndmask_b32_e32 v73, v44, v35, vcc
	v_cmp_lt_i32_e32 vcc, v36, v72
	s_add_u32 s8, s12, s8
	v_cndmask_b32_e32 v74, v44, v36, vcc
	v_cmp_lt_i32_e32 vcc, v71, v72
	s_addc_u32 s9, s13, s9
	v_cndmask_b32_e32 v76, v44, v71, vcc
	v_lshlrev_b32_e32 v79, 2, v73
	v_mov_b32_e32 v73, s9
	v_add_co_u32_e32 v85, vcc, s8, v19
	v_addc_co_u32_e32 v86, vcc, v73, v20, vcc
	v_lshlrev_b32_e32 v78, 2, v74
	v_mov_b32_e32 v74, s9
	v_add_co_u32_e32 v87, vcc, s8, v21
	v_addc_co_u32_e32 v88, vcc, v74, v22, vcc
	v_mov_b32_e32 v80, s9
	v_add_co_u32_e32 v89, vcc, s8, v23
	v_addc_co_u32_e32 v90, vcc, v80, v24, vcc
	;; [unrolled: 3-line block ×5, first 2 shown]
	v_mov_b32_e32 v84, s9
	v_add_co_u32_e32 v95, vcc, s8, v31
	v_add_f32_e32 v1, 0x40051340, v108
	v_addc_co_u32_e32 v98, vcc, v84, v32, vcc
	v_lshlrev_b32_e32 v76, 2, v76
	v_add_co_u32_e32 v73, vcc, v85, v62
	v_addc_co_u32_e32 v74, vcc, 0, v86, vcc
	v_add_co_u32_e32 v80, vcc, v87, v62
	v_addc_co_u32_e32 v81, vcc, 0, v88, vcc
	;; [unrolled: 2-line block ×5, first 2 shown]
	v_add_co_u32_e32 v96, vcc, v94, v62
	s_waitcnt vmcnt(0)
	v_fma_mix_f32 v75, s14, v77, v75 op_sel_hi:[0,0,1]
	v_add_f32_e32 v77, 0x40051340, v75
	v_max3_f32 v1, v70, v1, v77
	ds_bpermute_b32 v76, v76, v1
	v_addc_co_u32_e32 v97, vcc, 0, v83, vcc
	v_add_co_u32_e32 v100, vcc, v95, v62
	s_waitcnt lgkmcnt(0)
	v_max_f32_e32 v76, v76, v76
	v_max_f32_e32 v1, v1, v76
	ds_bpermute_b32 v76, v78, v1
	v_addc_co_u32_e32 v101, vcc, 0, v98, vcc
	v_add_co_u32_e32 v77, vcc, s8, v33
	s_waitcnt lgkmcnt(0)
	v_max_f32_e32 v76, v76, v76
	v_max_f32_e32 v1, v1, v76
	v_mov_b32_e32 v76, s9
	v_addc_co_u32_e32 v76, vcc, v76, v34, vcc
	v_add_co_u32_e32 v104, vcc, v77, v62
	v_addc_co_u32_e32 v105, vcc, 0, v76, vcc
	s_barrier
	ds_bpermute_b32 v109, v79, v1
	global_load_dwordx4 v[76:79], v[73:74], off
	s_nop 0
	global_load_dwordx4 v[80:83], v[80:81], off
	s_nop 0
	;; [unrolled: 2-line block ×7, first 2 shown]
	global_load_dwordx4 v[104:107], v[104:105], off
	v_xor_b32_e32 v73, 2, v44
	v_cmp_lt_i32_e32 vcc, v73, v72
	v_cndmask_b32_e32 v74, v44, v73, vcc
	s_waitcnt lgkmcnt(0)
	v_max_f32_e32 v109, v109, v109
	v_lshlrev_b32_e32 v74, 2, v74
	v_max_f32_e32 v1, v1, v109
	ds_bpermute_b32 v109, v74, v1
	v_xor_b32_e32 v74, 1, v44
	v_cmp_lt_i32_e32 vcc, v74, v72
	v_cndmask_b32_e32 v110, v44, v74, vcc
	v_lshlrev_b32_e32 v110, 2, v110
	s_waitcnt lgkmcnt(0)
	v_max_f32_e32 v109, v109, v109
	v_max_f32_e32 v1, v1, v109
	ds_bpermute_b32 v109, v110, v1
	s_waitcnt lgkmcnt(0)
	v_max_f32_e32 v109, v109, v109
	v_max_f32_e32 v1, v1, v109
	v_sub_f32_e32 v108, v108, v1
	v_mul_f32_e32 v109, 0x3fb8aa3b, v108
	v_fma_f32 v110, v108, s24, -v109
	v_rndne_f32_e32 v111, v109
	v_fmac_f32_e32 v110, 0x32a5705f, v108
	v_sub_f32_e32 v109, v109, v111
	v_add_f32_e32 v109, v109, v110
	v_exp_f32_e32 v109, v109
	v_cvt_i32_f32_e32 v110, v111
	v_sub_f32_e32 v75, v75, v1
	v_sub_f32_e32 v70, v70, v1
	v_cmp_ngt_f32_e32 vcc, s25, v108
	v_ldexp_f32 v109, v109, v110
	v_mul_f32_e32 v110, 0x3fb8aa3b, v75
	v_fma_f32 v111, v75, s24, -v110
	v_rndne_f32_e32 v112, v110
	v_fmac_f32_e32 v111, 0x32a5705f, v75
	v_sub_f32_e32 v110, v110, v112
	v_add_f32_e32 v110, v110, v111
	v_exp_f32_e32 v110, v110
	v_cvt_i32_f32_e32 v111, v112
	v_cndmask_b32_e32 v109, 0, v109, vcc
	v_cmp_nlt_f32_e32 vcc, s26, v108
	v_cndmask_b32_e32 v108, v66, v109, vcc
	v_ldexp_f32 v110, v110, v111
	v_mul_f32_e32 v111, 0x3fb8aa3b, v70
	v_fma_f32 v112, v70, s24, -v111
	v_rndne_f32_e32 v113, v111
	v_fmac_f32_e32 v112, 0x32a5705f, v70
	v_sub_f32_e32 v111, v111, v113
	v_add_f32_e32 v111, v111, v112
	v_exp_f32_e32 v111, v111
	v_cvt_i32_f32_e32 v112, v113
	v_cmp_ngt_f32_e32 vcc, s25, v75
	v_cndmask_b32_e32 v110, 0, v110, vcc
	v_cmp_nlt_f32_e32 vcc, s26, v75
	v_cndmask_b32_e32 v110, v66, v110, vcc
	v_ldexp_f32 v75, v111, v112
	v_cmp_ngt_f32_e32 vcc, s25, v70
	v_cvt_f16_f32_e32 v109, v108
	v_cndmask_b32_e32 v75, 0, v75, vcc
	v_cmp_nlt_f32_e32 vcc, s26, v70
	v_cndmask_b32_e32 v70, v66, v75, vcc
	v_add_f32_e32 v75, v108, v110
	v_cvt_f16_f32_e32 v108, v110
	v_cvt_f16_f32_e32 v111, v70
	v_fmac_f32_e32 v75, v69, v70
	ds_write_b16 v53, v109
	ds_write_b16 v53, v108 offset:64
	s_waitcnt vmcnt(7)
	ds_write_b128 v54, v[76:79]
	s_waitcnt vmcnt(6)
	ds_write_b128 v55, v[80:83]
	;; [unrolled: 2-line block ×8, first 2 shown]
	s_waitcnt lgkmcnt(0)
	s_barrier
	ds_read_b128 v[76:79], v52
	ds_read2_b64 v[80:83], v40 offset1:32
	ds_read_b128 v[84:87], v52 offset:16
	ds_read_b128 v[88:91], v52 offset:32
	;; [unrolled: 1-line block ×3, first 2 shown]
	s_waitcnt lgkmcnt(4)
	v_mul_u32_u24_sdwa v70, v76, s34 dst_sel:DWORD dst_unused:UNUSED_PAD src0_sel:WORD_0 src1_sel:DWORD
	v_mul_u32_u24_e32 v69, 0x10001, v111
	s_waitcnt lgkmcnt(3)
	v_pk_mul_f16 v80, v80, v70
	v_pk_fma_f16 v80, v67, v69, v80
	v_pk_mul_f16 v67, v81, v70
	v_pk_fma_f16 v81, v68, v69, v67
	ds_read2_b64 v[67:70], v40 offset0:64 offset1:96
	v_mul_u32_u24_sdwa v76, v76, s34 dst_sel:DWORD dst_unused:UNUSED_PAD src0_sel:WORD_1 src1_sel:DWORD
	v_pk_fma_f16 v80, v82, v76, v80
	v_pk_fma_f16 v76, v83, v76, v81
	v_mul_u32_u24_sdwa v81, v77, s34 dst_sel:DWORD dst_unused:UNUSED_PAD src0_sel:WORD_0 src1_sel:DWORD
	s_waitcnt lgkmcnt(0)
	v_pk_fma_f16 v67, v67, v81, v80
	v_pk_fma_f16 v68, v68, v81, v76
	ds_read2_b64 v[80:83], v40 offset0:128 offset1:160
	v_mul_u32_u24_sdwa v76, v77, s34 dst_sel:DWORD dst_unused:UNUSED_PAD src0_sel:WORD_1 src1_sel:DWORD
	v_pk_fma_f16 v67, v69, v76, v67
	v_pk_fma_f16 v68, v70, v76, v68
	v_mul_u32_u24_sdwa v69, v78, s34 dst_sel:DWORD dst_unused:UNUSED_PAD src0_sel:WORD_0 src1_sel:DWORD
	s_waitcnt lgkmcnt(0)
	v_pk_fma_f16 v76, v80, v69, v67
	v_pk_fma_f16 v77, v81, v69, v68
	ds_read2_b64 v[67:70], v40 offset0:192 offset1:224
	v_mul_u32_u24_sdwa v78, v78, s34 dst_sel:DWORD dst_unused:UNUSED_PAD src0_sel:WORD_1 src1_sel:DWORD
	v_add_u32_e32 v96, 0x800, v40
	v_pk_fma_f16 v76, v82, v78, v76
	v_pk_fma_f16 v77, v83, v78, v77
	ds_read2_b64 v[80:83], v96 offset1:32
	v_mul_u32_u24_sdwa v78, v79, s34 dst_sel:DWORD dst_unused:UNUSED_PAD src0_sel:WORD_0 src1_sel:DWORD
	s_waitcnt lgkmcnt(1)
	v_pk_fma_f16 v67, v67, v78, v76
	v_pk_fma_f16 v68, v68, v78, v77
	v_mul_u32_u24_sdwa v76, v79, s34 dst_sel:DWORD dst_unused:UNUSED_PAD src0_sel:WORD_1 src1_sel:DWORD
	v_pk_fma_f16 v67, v69, v76, v67
	v_pk_fma_f16 v68, v70, v76, v68
	v_mul_u32_u24_sdwa v69, v84, s34 dst_sel:DWORD dst_unused:UNUSED_PAD src0_sel:WORD_0 src1_sel:DWORD
	s_waitcnt lgkmcnt(0)
	v_pk_fma_f16 v76, v80, v69, v67
	v_pk_fma_f16 v77, v81, v69, v68
	ds_read2_b64 v[67:70], v96 offset0:64 offset1:96
	v_mul_u32_u24_sdwa v78, v84, s34 dst_sel:DWORD dst_unused:UNUSED_PAD src0_sel:WORD_1 src1_sel:DWORD
	v_pk_fma_f16 v76, v82, v78, v76
	v_pk_fma_f16 v77, v83, v78, v77
	v_mul_u32_u24_sdwa v78, v85, s34 dst_sel:DWORD dst_unused:UNUSED_PAD src0_sel:WORD_0 src1_sel:DWORD
	s_waitcnt lgkmcnt(0)
	v_pk_fma_f16 v67, v67, v78, v76
	v_pk_fma_f16 v68, v68, v78, v77
	ds_read2_b64 v[76:79], v96 offset0:128 offset1:160
	;; [unrolled: 8-line block ×3, first 2 shown]
	v_mul_u32_u24_sdwa v80, v86, s34 dst_sel:DWORD dst_unused:UNUSED_PAD src0_sel:WORD_1 src1_sel:DWORD
	v_pk_fma_f16 v76, v78, v80, v76
	v_pk_fma_f16 v77, v79, v80, v77
	v_mul_u32_u24_sdwa v78, v87, s34 dst_sel:DWORD dst_unused:UNUSED_PAD src0_sel:WORD_0 src1_sel:DWORD
	v_add_u32_e32 v80, 0x1000, v40
	s_waitcnt lgkmcnt(0)
	v_pk_fma_f16 v67, v67, v78, v76
	v_pk_fma_f16 v68, v68, v78, v77
	ds_read2_b64 v[76:79], v80 offset1:32
	v_mul_u32_u24_sdwa v81, v87, s34 dst_sel:DWORD dst_unused:UNUSED_PAD src0_sel:WORD_1 src1_sel:DWORD
	v_pk_fma_f16 v67, v69, v81, v67
	v_pk_fma_f16 v68, v70, v81, v68
	v_mul_u32_u24_sdwa v69, v88, s34 dst_sel:DWORD dst_unused:UNUSED_PAD src0_sel:WORD_0 src1_sel:DWORD
	s_waitcnt lgkmcnt(0)
	v_pk_fma_f16 v76, v76, v69, v67
	v_pk_fma_f16 v77, v77, v69, v68
	ds_read2_b64 v[67:70], v80 offset0:64 offset1:96
	v_mul_u32_u24_sdwa v81, v88, s34 dst_sel:DWORD dst_unused:UNUSED_PAD src0_sel:WORD_1 src1_sel:DWORD
	v_pk_fma_f16 v76, v78, v81, v76
	v_pk_fma_f16 v77, v79, v81, v77
	v_mul_u32_u24_sdwa v78, v89, s34 dst_sel:DWORD dst_unused:UNUSED_PAD src0_sel:WORD_0 src1_sel:DWORD
	s_waitcnt lgkmcnt(0)
	v_pk_fma_f16 v67, v67, v78, v76
	v_pk_fma_f16 v68, v68, v78, v77
	ds_read2_b64 v[76:79], v80 offset0:128 offset1:160
	;; [unrolled: 8-line block ×3, first 2 shown]
	v_mul_u32_u24_sdwa v80, v90, s34 dst_sel:DWORD dst_unused:UNUSED_PAD src0_sel:WORD_1 src1_sel:DWORD
	v_pk_fma_f16 v76, v78, v80, v76
	v_pk_fma_f16 v77, v79, v80, v77
	v_mul_u32_u24_sdwa v78, v91, s34 dst_sel:DWORD dst_unused:UNUSED_PAD src0_sel:WORD_0 src1_sel:DWORD
	v_add_u32_e32 v80, 0x1800, v40
	s_waitcnt lgkmcnt(0)
	v_pk_fma_f16 v67, v67, v78, v76
	v_pk_fma_f16 v68, v68, v78, v77
	ds_read2_b64 v[76:79], v80 offset1:32
	v_mul_u32_u24_sdwa v81, v91, s34 dst_sel:DWORD dst_unused:UNUSED_PAD src0_sel:WORD_1 src1_sel:DWORD
	v_pk_fma_f16 v67, v69, v81, v67
	v_pk_fma_f16 v68, v70, v81, v68
	v_mul_u32_u24_sdwa v69, v92, s34 dst_sel:DWORD dst_unused:UNUSED_PAD src0_sel:WORD_0 src1_sel:DWORD
	s_waitcnt lgkmcnt(0)
	v_pk_fma_f16 v76, v76, v69, v67
	v_pk_fma_f16 v77, v77, v69, v68
	ds_read2_b64 v[67:70], v80 offset0:64 offset1:96
	v_mul_u32_u24_sdwa v81, v92, s34 dst_sel:DWORD dst_unused:UNUSED_PAD src0_sel:WORD_1 src1_sel:DWORD
	v_pk_fma_f16 v76, v78, v81, v76
	v_pk_fma_f16 v77, v79, v81, v77
	v_mul_u32_u24_sdwa v78, v93, s34 dst_sel:DWORD dst_unused:UNUSED_PAD src0_sel:WORD_0 src1_sel:DWORD
	s_waitcnt lgkmcnt(0)
	v_pk_fma_f16 v67, v67, v78, v76
	v_pk_fma_f16 v68, v68, v78, v77
	ds_read2_b64 v[76:79], v80 offset0:128 offset1:160
	;; [unrolled: 8-line block ×3, first 2 shown]
	v_mul_u32_u24_sdwa v80, v94, s34 dst_sel:DWORD dst_unused:UNUSED_PAD src0_sel:WORD_1 src1_sel:DWORD
	v_pk_fma_f16 v76, v78, v80, v76
	v_pk_fma_f16 v77, v79, v80, v77
	v_mul_u32_u24_sdwa v78, v95, s34 dst_sel:DWORD dst_unused:UNUSED_PAD src0_sel:WORD_0 src1_sel:DWORD
	s_waitcnt lgkmcnt(0)
	v_pk_fma_f16 v67, v67, v78, v76
	v_pk_fma_f16 v68, v68, v78, v77
	v_add_u32_e32 v88, 0x2000, v40
	ds_read_b128 v[76:79], v52 offset:64
	ds_read2_b64 v[80:83], v88 offset1:32
	v_mul_u32_u24_sdwa v84, v95, s34 dst_sel:DWORD dst_unused:UNUSED_PAD src0_sel:WORD_1 src1_sel:DWORD
	v_pk_fma_f16 v85, v69, v84, v67
	v_pk_fma_f16 v84, v70, v84, v68
	s_waitcnt lgkmcnt(1)
	v_mul_u32_u24_sdwa v86, v76, s34 dst_sel:DWORD dst_unused:UNUSED_PAD src0_sel:WORD_0 src1_sel:DWORD
	s_waitcnt lgkmcnt(0)
	v_pk_fma_f16 v80, v80, v86, v85
	v_pk_fma_f16 v81, v81, v86, v84
	ds_read2_b64 v[84:87], v88 offset0:64 offset1:96
	v_mul_u32_u24_sdwa v76, v76, s34 dst_sel:DWORD dst_unused:UNUSED_PAD src0_sel:WORD_1 src1_sel:DWORD
	v_pk_fma_f16 v80, v82, v76, v80
	v_pk_fma_f16 v76, v83, v76, v81
	v_mul_u32_u24_sdwa v81, v77, s34 dst_sel:DWORD dst_unused:UNUSED_PAD src0_sel:WORD_0 src1_sel:DWORD
	s_waitcnt lgkmcnt(0)
	v_pk_fma_f16 v84, v84, v81, v80
	v_pk_fma_f16 v76, v85, v81, v76
	ds_read2_b64 v[80:83], v88 offset0:128 offset1:160
	v_mul_u32_u24_sdwa v77, v77, s34 dst_sel:DWORD dst_unused:UNUSED_PAD src0_sel:WORD_1 src1_sel:DWORD
	v_pk_fma_f16 v84, v86, v77, v84
	v_pk_fma_f16 v76, v87, v77, v76
	v_mul_u32_u24_sdwa v77, v78, s34 dst_sel:DWORD dst_unused:UNUSED_PAD src0_sel:WORD_0 src1_sel:DWORD
	s_waitcnt lgkmcnt(0)
	v_pk_fma_f16 v80, v80, v77, v84
	ds_read2_b64 v[84:87], v88 offset0:192 offset1:224
	v_pk_fma_f16 v76, v81, v77, v76
	v_mul_u32_u24_sdwa v77, v78, s34 dst_sel:DWORD dst_unused:UNUSED_PAD src0_sel:WORD_1 src1_sel:DWORD
	v_pk_fma_f16 v78, v82, v77, v80
	v_pk_fma_f16 v76, v83, v77, v76
	v_mul_u32_u24_sdwa v77, v79, s34 dst_sel:DWORD dst_unused:UNUSED_PAD src0_sel:WORD_0 src1_sel:DWORD
	ds_read_b128 v[67:70], v52 offset:80
	s_waitcnt lgkmcnt(1)
	v_pk_fma_f16 v78, v84, v77, v78
	v_add_u32_e32 v84, 0x2800, v40
	ds_read2_b64 v[80:83], v84 offset1:32
	v_pk_fma_f16 v76, v85, v77, v76
	v_mul_u32_u24_sdwa v77, v79, s34 dst_sel:DWORD dst_unused:UNUSED_PAD src0_sel:WORD_1 src1_sel:DWORD
	v_pk_fma_f16 v78, v86, v77, v78
	v_pk_fma_f16 v76, v87, v77, v76
	s_waitcnt lgkmcnt(1)
	v_mul_u32_u24_sdwa v77, v67, s34 dst_sel:DWORD dst_unused:UNUSED_PAD src0_sel:WORD_0 src1_sel:DWORD
	s_waitcnt lgkmcnt(0)
	v_pk_fma_f16 v80, v80, v77, v78
	v_pk_fma_f16 v81, v81, v77, v76
	ds_read2_b64 v[76:79], v84 offset0:64 offset1:96
	v_mul_u32_u24_sdwa v67, v67, s34 dst_sel:DWORD dst_unused:UNUSED_PAD src0_sel:WORD_1 src1_sel:DWORD
	v_pk_fma_f16 v80, v82, v67, v80
	v_pk_fma_f16 v67, v83, v67, v81
	v_mul_u32_u24_sdwa v81, v68, s34 dst_sel:DWORD dst_unused:UNUSED_PAD src0_sel:WORD_0 src1_sel:DWORD
	s_waitcnt lgkmcnt(0)
	v_pk_fma_f16 v76, v76, v81, v80
	v_pk_fma_f16 v67, v77, v81, v67
	ds_read2_b64 v[80:83], v84 offset0:128 offset1:160
	v_mul_u32_u24_sdwa v68, v68, s34 dst_sel:DWORD dst_unused:UNUSED_PAD src0_sel:WORD_1 src1_sel:DWORD
	v_pk_fma_f16 v76, v78, v68, v76
	v_pk_fma_f16 v67, v79, v68, v67
	v_mul_u32_u24_sdwa v68, v69, s34 dst_sel:DWORD dst_unused:UNUSED_PAD src0_sel:WORD_0 src1_sel:DWORD
	s_waitcnt lgkmcnt(0)
	v_pk_fma_f16 v80, v80, v68, v76
	ds_read2_b64 v[76:79], v84 offset0:192 offset1:224
	v_pk_fma_f16 v67, v81, v68, v67
	v_mul_u32_u24_sdwa v68, v69, s34 dst_sel:DWORD dst_unused:UNUSED_PAD src0_sel:WORD_1 src1_sel:DWORD
	v_pk_fma_f16 v69, v82, v68, v80
	v_pk_fma_f16 v67, v83, v68, v67
	v_mul_u32_u24_sdwa v68, v70, s34 dst_sel:DWORD dst_unused:UNUSED_PAD src0_sel:WORD_0 src1_sel:DWORD
	s_waitcnt lgkmcnt(0)
	v_pk_fma_f16 v76, v76, v68, v69
	v_pk_fma_f16 v77, v77, v68, v67
	v_mul_u32_u24_sdwa v84, v70, s34 dst_sel:DWORD dst_unused:UNUSED_PAD src0_sel:WORD_1 src1_sel:DWORD
	v_add_u32_e32 v88, 0x3000, v40
	ds_read_b128 v[67:70], v52 offset:96
	ds_read2_b64 v[80:83], v88 offset1:32
	v_pk_fma_f16 v85, v78, v84, v76
	v_pk_fma_f16 v84, v79, v84, v77
	ds_read_b128 v[76:79], v52 offset:112
	s_waitcnt lgkmcnt(2)
	v_mul_u32_u24_sdwa v86, v67, s34 dst_sel:DWORD dst_unused:UNUSED_PAD src0_sel:WORD_0 src1_sel:DWORD
	s_waitcnt lgkmcnt(1)
	v_pk_fma_f16 v80, v80, v86, v85
	v_pk_fma_f16 v81, v81, v86, v84
	ds_read2_b64 v[84:87], v88 offset0:64 offset1:96
	v_mul_u32_u24_sdwa v67, v67, s34 dst_sel:DWORD dst_unused:UNUSED_PAD src0_sel:WORD_1 src1_sel:DWORD
	v_pk_fma_f16 v80, v82, v67, v80
	v_pk_fma_f16 v67, v83, v67, v81
	v_mul_u32_u24_sdwa v81, v68, s34 dst_sel:DWORD dst_unused:UNUSED_PAD src0_sel:WORD_0 src1_sel:DWORD
	s_waitcnt lgkmcnt(0)
	v_pk_fma_f16 v84, v84, v81, v80
	v_pk_fma_f16 v67, v85, v81, v67
	ds_read2_b64 v[80:83], v88 offset0:128 offset1:160
	v_mul_u32_u24_sdwa v68, v68, s34 dst_sel:DWORD dst_unused:UNUSED_PAD src0_sel:WORD_1 src1_sel:DWORD
	v_pk_fma_f16 v84, v86, v68, v84
	v_pk_fma_f16 v67, v87, v68, v67
	v_mul_u32_u24_sdwa v68, v69, s34 dst_sel:DWORD dst_unused:UNUSED_PAD src0_sel:WORD_0 src1_sel:DWORD
	s_waitcnt lgkmcnt(0)
	v_pk_fma_f16 v80, v80, v68, v84
	ds_read2_b64 v[84:87], v88 offset0:192 offset1:224
	v_pk_fma_f16 v67, v81, v68, v67
	v_mul_u32_u24_sdwa v68, v69, s34 dst_sel:DWORD dst_unused:UNUSED_PAD src0_sel:WORD_1 src1_sel:DWORD
	v_pk_fma_f16 v69, v82, v68, v80
	v_pk_fma_f16 v67, v83, v68, v67
	v_mul_u32_u24_sdwa v68, v70, s34 dst_sel:DWORD dst_unused:UNUSED_PAD src0_sel:WORD_0 src1_sel:DWORD
	s_waitcnt lgkmcnt(0)
	v_pk_fma_f16 v69, v84, v68, v69
	v_add_u32_e32 v84, 0x3800, v40
	ds_read2_b64 v[80:83], v84 offset1:32
	v_pk_fma_f16 v67, v85, v68, v67
	v_mul_u32_u24_sdwa v68, v70, s34 dst_sel:DWORD dst_unused:UNUSED_PAD src0_sel:WORD_1 src1_sel:DWORD
	v_pk_fma_f16 v69, v86, v68, v69
	v_pk_fma_f16 v67, v87, v68, v67
	v_mul_u32_u24_sdwa v68, v76, s34 dst_sel:DWORD dst_unused:UNUSED_PAD src0_sel:WORD_0 src1_sel:DWORD
	s_waitcnt lgkmcnt(0)
	v_pk_fma_f16 v80, v80, v68, v69
	v_pk_fma_f16 v81, v81, v68, v67
	ds_read2_b64 v[67:70], v84 offset0:64 offset1:96
	v_mul_u32_u24_sdwa v76, v76, s34 dst_sel:DWORD dst_unused:UNUSED_PAD src0_sel:WORD_1 src1_sel:DWORD
	v_pk_fma_f16 v80, v82, v76, v80
	v_pk_fma_f16 v76, v83, v76, v81
	v_mul_u32_u24_sdwa v81, v77, s34 dst_sel:DWORD dst_unused:UNUSED_PAD src0_sel:WORD_0 src1_sel:DWORD
	s_waitcnt lgkmcnt(0)
	v_pk_fma_f16 v67, v67, v81, v80
	v_pk_fma_f16 v68, v68, v81, v76
	ds_read2_b64 v[80:83], v84 offset0:128 offset1:160
	v_mul_u32_u24_sdwa v76, v77, s34 dst_sel:DWORD dst_unused:UNUSED_PAD src0_sel:WORD_1 src1_sel:DWORD
	v_pk_fma_f16 v67, v69, v76, v67
	v_pk_fma_f16 v68, v70, v76, v68
	v_mul_u32_u24_sdwa v69, v78, s34 dst_sel:DWORD dst_unused:UNUSED_PAD src0_sel:WORD_0 src1_sel:DWORD
	s_waitcnt lgkmcnt(0)
	v_pk_fma_f16 v67, v80, v69, v67
	v_pk_fma_f16 v68, v81, v69, v68
	v_mul_u32_u24_sdwa v69, v78, s34 dst_sel:DWORD dst_unused:UNUSED_PAD src0_sel:WORD_1 src1_sel:DWORD
	v_pk_fma_f16 v76, v82, v69, v67
	v_pk_fma_f16 v77, v83, v69, v68
	ds_read2_b64 v[67:70], v84 offset0:192 offset1:224
	s_waitcnt lgkmcnt(0)
	s_barrier
	s_load_dword s8, s[0:1], 0x4
	v_mul_u32_u24_sdwa v78, v79, s34 dst_sel:DWORD dst_unused:UNUSED_PAD src0_sel:WORD_0 src1_sel:DWORD
	v_pk_fma_f16 v67, v67, v78, v76
	v_pk_fma_f16 v68, v68, v78, v77
	v_mul_u32_u24_sdwa v76, v79, s34 dst_sel:DWORD dst_unused:UNUSED_PAD src0_sel:WORD_1 src1_sel:DWORD
	s_waitcnt lgkmcnt(0)
	s_lshl_b32 s8, s8, 6
	s_add_i32 s6, s8, s6
	v_pk_fma_f16 v67, v69, v76, v67
	s_cmp_ge_i32 s6, s28
	v_pk_fma_f16 v68, v70, v76, v68
	s_cbranch_scc1 .LBB79_7
; %bb.23:                               ;   in Loop: Header=BB79_14 Depth=1
	v_mov_b32_e32 v70, v1
	v_mov_b32_e32 v69, v75
	s_branch .LBB79_14
	.section	.rodata,"a",@progbits
	.p2align	6, 0x0
	.amdhsa_kernel _ZL15flash_attn_tileILi128ELi128ELi1ELi4ELb1EEvPKcS1_S1_S1_S1_PKiPfP15HIP_vector_typeIfLj2EEffffjfiS5_IjLj3EEiiiiiiiiiiiliiliiiiil
		.amdhsa_group_segment_fixed_size 18944
		.amdhsa_private_segment_fixed_size 0
		.amdhsa_kernarg_size 464
		.amdhsa_user_sgpr_count 6
		.amdhsa_user_sgpr_private_segment_buffer 1
		.amdhsa_user_sgpr_dispatch_ptr 0
		.amdhsa_user_sgpr_queue_ptr 0
		.amdhsa_user_sgpr_kernarg_segment_ptr 1
		.amdhsa_user_sgpr_dispatch_id 0
		.amdhsa_user_sgpr_flat_scratch_init 0
		.amdhsa_user_sgpr_private_segment_size 0
		.amdhsa_uses_dynamic_stack 0
		.amdhsa_system_sgpr_private_segment_wavefront_offset 0
		.amdhsa_system_sgpr_workgroup_id_x 1
		.amdhsa_system_sgpr_workgroup_id_y 1
		.amdhsa_system_sgpr_workgroup_id_z 1
		.amdhsa_system_sgpr_workgroup_info 0
		.amdhsa_system_vgpr_workitem_id 1
		.amdhsa_next_free_vgpr 114
		.amdhsa_next_free_sgpr 98
		.amdhsa_reserve_vcc 1
		.amdhsa_reserve_flat_scratch 0
		.amdhsa_float_round_mode_32 0
		.amdhsa_float_round_mode_16_64 0
		.amdhsa_float_denorm_mode_32 3
		.amdhsa_float_denorm_mode_16_64 3
		.amdhsa_dx10_clamp 1
		.amdhsa_ieee_mode 1
		.amdhsa_fp16_overflow 0
		.amdhsa_exception_fp_ieee_invalid_op 0
		.amdhsa_exception_fp_denorm_src 0
		.amdhsa_exception_fp_ieee_div_zero 0
		.amdhsa_exception_fp_ieee_overflow 0
		.amdhsa_exception_fp_ieee_underflow 0
		.amdhsa_exception_fp_ieee_inexact 0
		.amdhsa_exception_int_div_zero 0
	.end_amdhsa_kernel
	.section	.text._ZL15flash_attn_tileILi128ELi128ELi1ELi4ELb1EEvPKcS1_S1_S1_S1_PKiPfP15HIP_vector_typeIfLj2EEffffjfiS5_IjLj3EEiiiiiiiiiiiliiliiiiil,"axG",@progbits,_ZL15flash_attn_tileILi128ELi128ELi1ELi4ELb1EEvPKcS1_S1_S1_S1_PKiPfP15HIP_vector_typeIfLj2EEffffjfiS5_IjLj3EEiiiiiiiiiiiliiliiiiil,comdat
.Lfunc_end79:
	.size	_ZL15flash_attn_tileILi128ELi128ELi1ELi4ELb1EEvPKcS1_S1_S1_S1_PKiPfP15HIP_vector_typeIfLj2EEffffjfiS5_IjLj3EEiiiiiiiiiiiliiliiiiil, .Lfunc_end79-_ZL15flash_attn_tileILi128ELi128ELi1ELi4ELb1EEvPKcS1_S1_S1_S1_PKiPfP15HIP_vector_typeIfLj2EEffffjfiS5_IjLj3EEiiiiiiiiiiiliiliiiiil
                                        ; -- End function
	.set _ZL15flash_attn_tileILi128ELi128ELi1ELi4ELb1EEvPKcS1_S1_S1_S1_PKiPfP15HIP_vector_typeIfLj2EEffffjfiS5_IjLj3EEiiiiiiiiiiiliiliiiiil.num_vgpr, 114
	.set _ZL15flash_attn_tileILi128ELi128ELi1ELi4ELb1EEvPKcS1_S1_S1_S1_PKiPfP15HIP_vector_typeIfLj2EEffffjfiS5_IjLj3EEiiiiiiiiiiiliiliiiiil.num_agpr, 0
	.set _ZL15flash_attn_tileILi128ELi128ELi1ELi4ELb1EEvPKcS1_S1_S1_S1_PKiPfP15HIP_vector_typeIfLj2EEffffjfiS5_IjLj3EEiiiiiiiiiiiliiliiiiil.numbered_sgpr, 40
	.set _ZL15flash_attn_tileILi128ELi128ELi1ELi4ELb1EEvPKcS1_S1_S1_S1_PKiPfP15HIP_vector_typeIfLj2EEffffjfiS5_IjLj3EEiiiiiiiiiiiliiliiiiil.num_named_barrier, 0
	.set _ZL15flash_attn_tileILi128ELi128ELi1ELi4ELb1EEvPKcS1_S1_S1_S1_PKiPfP15HIP_vector_typeIfLj2EEffffjfiS5_IjLj3EEiiiiiiiiiiiliiliiiiil.private_seg_size, 0
	.set _ZL15flash_attn_tileILi128ELi128ELi1ELi4ELb1EEvPKcS1_S1_S1_S1_PKiPfP15HIP_vector_typeIfLj2EEffffjfiS5_IjLj3EEiiiiiiiiiiiliiliiiiil.uses_vcc, 1
	.set _ZL15flash_attn_tileILi128ELi128ELi1ELi4ELb1EEvPKcS1_S1_S1_S1_PKiPfP15HIP_vector_typeIfLj2EEffffjfiS5_IjLj3EEiiiiiiiiiiiliiliiiiil.uses_flat_scratch, 0
	.set _ZL15flash_attn_tileILi128ELi128ELi1ELi4ELb1EEvPKcS1_S1_S1_S1_PKiPfP15HIP_vector_typeIfLj2EEffffjfiS5_IjLj3EEiiiiiiiiiiiliiliiiiil.has_dyn_sized_stack, 0
	.set _ZL15flash_attn_tileILi128ELi128ELi1ELi4ELb1EEvPKcS1_S1_S1_S1_PKiPfP15HIP_vector_typeIfLj2EEffffjfiS5_IjLj3EEiiiiiiiiiiiliiliiiiil.has_recursion, 0
	.set _ZL15flash_attn_tileILi128ELi128ELi1ELi4ELb1EEvPKcS1_S1_S1_S1_PKiPfP15HIP_vector_typeIfLj2EEffffjfiS5_IjLj3EEiiiiiiiiiiiliiliiiiil.has_indirect_call, 0
	.section	.AMDGPU.csdata,"",@progbits
; Kernel info:
; codeLenInByte = 7776
; TotalNumSgprs: 44
; NumVgprs: 114
; ScratchSize: 0
; MemoryBound: 0
; FloatMode: 240
; IeeeMode: 1
; LDSByteSize: 18944 bytes/workgroup (compile time only)
; SGPRBlocks: 12
; VGPRBlocks: 28
; NumSGPRsForWavesPerEU: 102
; NumVGPRsForWavesPerEU: 114
; Occupancy: 2
; WaveLimiterHint : 1
; COMPUTE_PGM_RSRC2:SCRATCH_EN: 0
; COMPUTE_PGM_RSRC2:USER_SGPR: 6
; COMPUTE_PGM_RSRC2:TRAP_HANDLER: 0
; COMPUTE_PGM_RSRC2:TGID_X_EN: 1
; COMPUTE_PGM_RSRC2:TGID_Y_EN: 1
; COMPUTE_PGM_RSRC2:TGID_Z_EN: 1
; COMPUTE_PGM_RSRC2:TIDIG_COMP_CNT: 1
	.section	.text._ZL15flash_attn_tileILi128ELi128ELi32ELi2ELb1EEvPKcS1_S1_S1_S1_PKiPfP15HIP_vector_typeIfLj2EEffffjfiS5_IjLj3EEiiiiiiiiiiiliiliiiiil,"axG",@progbits,_ZL15flash_attn_tileILi128ELi128ELi32ELi2ELb1EEvPKcS1_S1_S1_S1_PKiPfP15HIP_vector_typeIfLj2EEffffjfiS5_IjLj3EEiiiiiiiiiiiliiliiiiil,comdat
	.globl	_ZL15flash_attn_tileILi128ELi128ELi32ELi2ELb1EEvPKcS1_S1_S1_S1_PKiPfP15HIP_vector_typeIfLj2EEffffjfiS5_IjLj3EEiiiiiiiiiiiliiliiiiil ; -- Begin function _ZL15flash_attn_tileILi128ELi128ELi32ELi2ELb1EEvPKcS1_S1_S1_S1_PKiPfP15HIP_vector_typeIfLj2EEffffjfiS5_IjLj3EEiiiiiiiiiiiliiliiiiil
	.p2align	8
	.type	_ZL15flash_attn_tileILi128ELi128ELi32ELi2ELb1EEvPKcS1_S1_S1_S1_PKiPfP15HIP_vector_typeIfLj2EEffffjfiS5_IjLj3EEiiiiiiiiiiiliiliiiiil,@function
_ZL15flash_attn_tileILi128ELi128ELi32ELi2ELb1EEvPKcS1_S1_S1_S1_PKiPfP15HIP_vector_typeIfLj2EEffffjfiS5_IjLj3EEiiiiiiiiiiiliiliiiiil: ; @_ZL15flash_attn_tileILi128ELi128ELi32ELi2ELb1EEvPKcS1_S1_S1_S1_PKiPfP15HIP_vector_typeIfLj2EEffffjfiS5_IjLj3EEiiiiiiiiiiiliiliiiiil
; %bb.0:
	s_load_dwordx4 s[0:3], s[4:5], 0x5c
	s_load_dwordx2 s[30:31], s[4:5], 0x80
	s_load_dwordx2 s[36:37], s[4:5], 0xb8
	s_mov_b64 s[34:35], 0
	s_waitcnt lgkmcnt(0)
	s_lshr_b32 s9, s3, 31
	s_add_i32 s9, s3, s9
	s_ashr_i32 s9, s9, 1
	v_cvt_f32_u32_e32 v2, s9
	s_sub_i32 s10, 0, s9
	v_rcp_iflag_f32_e32 v2, v2
	v_mul_f32_e32 v2, 0x4f7ffffe, v2
	v_cvt_u32_f32_e32 v2, v2
	v_readfirstlane_b32 s11, v2
	s_mul_i32 s10, s10, s11
	s_mul_hi_u32 s10, s11, s10
	s_add_i32 s11, s11, s10
	s_mul_hi_u32 s10, s8, s11
	s_mul_i32 s11, s10, s9
	s_sub_i32 s11, s8, s11
	s_add_i32 s12, s10, 1
	s_sub_i32 s13, s11, s9
	s_cmp_ge_u32 s11, s9
	s_cselect_b32 s10, s12, s10
	s_cselect_b32 s11, s13, s11
	s_add_i32 s12, s10, 1
	s_cmp_ge_u32 s11, s9
	s_cselect_b32 s33, s12, s10
	s_abs_i32 s9, s31
	v_cvt_f32_u32_e32 v2, s9
	s_lshl_b32 s8, s8, 1
	s_mul_i32 s12, s33, s3
	s_sub_i32 s13, 0, s9
	v_rcp_iflag_f32_e32 v2, v2
	s_sub_i32 s28, s8, s12
	s_abs_i32 s11, s3
	s_xor_b32 s10, s3, s31
	v_mul_f32_e32 v2, 0x4f7ffffe, v2
	v_cvt_u32_f32_e32 v2, v2
	s_ashr_i32 s10, s10, 31
	v_readfirstlane_b32 s8, v2
	s_mul_i32 s13, s13, s8
	s_mul_hi_u32 s12, s8, s13
	s_add_i32 s8, s8, s12
	s_mul_hi_u32 s8, s11, s8
	s_mul_i32 s12, s8, s9
	s_sub_i32 s11, s11, s12
	s_add_i32 s13, s8, 1
	s_sub_i32 s12, s11, s9
	s_cmp_ge_u32 s11, s9
	s_cselect_b32 s8, s13, s8
	s_cselect_b32 s11, s12, s11
	s_add_i32 s12, s8, 1
	s_cmp_ge_u32 s11, s9
	s_cselect_b32 s8, s12, s8
	s_xor_b32 s8, s8, s10
	s_sub_i32 s31, s8, s10
	s_abs_i32 s29, s31
	v_cvt_f32_u32_e32 v2, s29
	s_load_dwordx16 s[8:23], s[4:5], 0x0
	v_rcp_iflag_f32_e32 v2, v2
	s_waitcnt lgkmcnt(0)
	s_cmp_eq_u64 s[14:15], 0
	v_mul_f32_e32 v2, 0x4f7ffffe, v2
	v_cvt_u32_f32_e32 v2, v2
	v_readfirstlane_b32 s38, v2
	s_cbranch_scc1 .LBB80_2
; %bb.1:
	s_abs_i32 s26, s36
	v_cvt_f32_u32_e32 v2, s26
	s_sub_i32 s35, 0, s26
	s_abs_i32 s34, s33
	s_ashr_i32 s27, s33, 31
	v_rcp_iflag_f32_e32 v2, v2
	s_load_dwordx2 s[24:25], s[4:5], 0xc8
	v_mul_f32_e32 v2, 0x4f7ffffe, v2
	v_cvt_u32_f32_e32 v2, v2
	v_readfirstlane_b32 s36, v2
	s_mul_i32 s35, s35, s36
	s_mul_hi_u32 s35, s36, s35
	s_add_i32 s36, s36, s35
	s_mul_hi_u32 s35, s34, s36
	s_mul_i32 s35, s35, s26
	s_sub_i32 s34, s34, s35
	s_sub_i32 s35, s34, s26
	s_cmp_ge_u32 s34, s26
	s_cselect_b32 s34, s35, s34
	s_sub_i32 s35, s34, s26
	s_cmp_ge_u32 s34, s26
	s_cselect_b32 s26, s35, s34
	s_xor_b32 s26, s26, s27
	s_sub_i32 s26, s26, s27
	s_ashr_i32 s27, s26, 31
	s_waitcnt lgkmcnt(0)
	s_mul_hi_u32 s34, s24, s26
	s_mul_i32 s27, s24, s27
	s_mul_i32 s25, s25, s26
	s_add_i32 s27, s34, s27
	s_add_i32 s27, s27, s25
	s_mul_i32 s24, s24, s26
	s_add_u32 s34, s14, s24
	s_addc_u32 s35, s15, s27
.LBB80_2:
	s_lshl_b32 s14, s6, 5
	v_lshlrev_b32_e32 v45, 2, v1
	s_load_dwordx4 s[24:27], s[4:5], 0x70
	v_add_u32_e32 v47, s14, v45
	v_mul_hi_u32 v2, v47, s0
	v_lshlrev_b32_e32 v9, 11, v1
	s_waitcnt lgkmcnt(0)
	s_mul_i32 s15, s33, s26
	v_add_u32_e32 v2, v47, v2
	s_ashr_i32 s27, s15, 31
	v_lshrrev_b32_e32 v2, s1, v2
	s_mul_i32 s26, s28, s25
	s_add_u32 s8, s8, s15
	v_mul_lo_u32 v2, v2, s2
	s_addc_u32 s9, s9, s27
	s_ashr_i32 s27, s26, 31
	s_add_u32 s15, s8, s26
	s_addc_u32 s26, s9, s27
	s_ashr_i32 s41, s24, 31
	s_mov_b32 s40, s24
	s_lshr_b64 s[8:9], s[40:41], 2
	v_sub_u32_e32 v4, v47, v2
	v_mad_u64_u32 v[2:3], s[42:43], s8, v4, 0
	s_lshr_b32 s24, s41, 2
	s_ashr_i32 s27, s25, 31
	v_mad_u64_u32 v[5:6], s[40:41], s24, v4, v[3:4]
	s_and_b32 s25, s25, -4
	s_add_u32 s36, s15, s25
	v_mov_b32_e32 v3, v5
	v_lshlrev_b64 v[15:16], 2, v[2:3]
	v_mov_b32_e32 v2, s26
	v_add_co_u32_e32 v3, vcc, s15, v15
	v_addc_co_u32_e32 v6, vcc, v2, v16, vcc
	v_lshlrev_b32_e32 v2, 4, v0
	v_add_co_u32_e32 v5, vcc, v3, v2
	v_addc_co_u32_e32 v6, vcc, 0, v6, vcc
	global_load_dwordx4 v[11:14], v[5:6], off
	v_lshlrev_b32_e32 v5, 3, v1
	v_or_b32_e32 v7, 2, v5
	v_or_b32_e32 v8, 3, v5
	v_lshrrev_b32_e32 v44, 1, v7
	v_lshrrev_b32_e32 v42, 1, v8
	v_add_u32_e32 v46, s14, v44
	v_add_u32_e32 v43, s14, v42
	v_mul_hi_u32 v17, v46, s0
	v_mul_hi_u32 v18, v43, s0
	v_or_b32_e32 v10, 4, v5
	s_load_dword s9, s[4:5], 0x40
	v_add_u32_e32 v17, v46, v17
	v_add_u32_e32 v18, v43, v18
	v_lshrrev_b32_e32 v17, s1, v17
	v_lshrrev_b32_e32 v18, s1, v18
	v_mul_lo_u32 v17, v17, s2
	v_mul_lo_u32 v18, v18, s2
	v_lshrrev_b32_e32 v37, 1, v10
	s_addc_u32 s39, s26, s27
	v_sub_u32_e32 v21, v46, v17
	v_sub_u32_e32 v23, v43, v18
	v_mad_u64_u32 v[17:18], s[40:41], s8, v21, 0
	v_mad_u64_u32 v[19:20], s[40:41], s8, v23, 0
	v_add_u32_e32 v40, s14, v37
	v_add_co_u32_e32 v15, vcc, s36, v15
	v_mad_u64_u32 v[21:22], s[40:41], s24, v21, v[18:19]
	v_mul_hi_u32 v25, v40, s0
	v_mov_b32_e32 v24, s26
	v_mad_u64_u32 v[22:23], s[40:41], s24, v23, v[20:21]
	v_mov_b32_e32 v23, s39
	v_mov_b32_e32 v18, v21
	v_addc_co_u32_e32 v16, vcc, v23, v16, vcc
	v_mov_b32_e32 v20, v22
	v_lshlrev_b64 v[21:22], 2, v[17:18]
	v_add_co_u32_e32 v15, vcc, v15, v2
	v_addc_co_u32_e32 v16, vcc, 0, v16, vcc
	v_add_co_u32_e32 v21, vcc, s15, v21
	v_addc_co_u32_e32 v22, vcc, v24, v22, vcc
	v_lshlrev_b64 v[19:20], 2, v[19:20]
	v_add_co_u32_e32 v23, vcc, v21, v2
	v_addc_co_u32_e32 v24, vcc, 0, v22, vcc
	v_mov_b32_e32 v26, s39
	v_or_b32_e32 v58, 5, v5
	global_load_dwordx4 v[15:18], v[15:16], off
	v_lshrrev_b32_e32 v38, 1, v58
	v_add_u32_e32 v39, s14, v38
	v_or_b32_e32 v59, 6, v5
	v_lshrrev_b32_e32 v35, 1, v59
	v_add_u32_e32 v36, s14, v35
	v_or_b32_e32 v60, 7, v5
	v_lshlrev_b32_e32 v3, 3, v0
	v_or_b32_e32 v6, v3, v9
	v_lshl_add_u32 v8, v8, 8, v3
	v_lshl_add_u32 v10, v10, 8, v3
	s_cmp_eq_u64 s[18:19], 0
	s_waitcnt vmcnt(1) lgkmcnt(0)
	v_fma_mixlo_f16 v41, s9, v13, 0
	v_fma_mixlo_f16 v13, s9, v14, 0
	v_lshlrev_b32_e32 v56, 16, v13
	v_add_u32_e32 v13, v40, v25
	v_fma_mixlo_f16 v11, s9, v11, 0
	v_fma_mixlo_f16 v12, s9, v12, 0
	v_lshrrev_b32_e32 v13, s1, v13
	v_lshlrev_b32_e32 v12, 16, v12
	v_and_b32_e32 v11, 0xffff, v11
	v_mul_lo_u32 v27, v13, s2
	v_or_b32_e32 v57, v12, v11
	v_add_co_u32_e32 v11, vcc, s36, v19
	v_addc_co_u32_e32 v12, vcc, v26, v20, vcc
	v_add_co_u32_e32 v25, vcc, v11, v2
	v_addc_co_u32_e32 v26, vcc, 0, v12, vcc
	global_load_dwordx4 v[11:14], v[23:24], off
	global_load_dwordx4 v[19:22], v[25:26], off
	v_sub_u32_e32 v25, v40, v27
	v_mad_u64_u32 v[23:24], s[40:41], s8, v25, 0
	v_mul_hi_u32 v26, v39, s0
	v_mov_b32_e32 v27, s26
	v_mad_u64_u32 v[24:25], s[40:41], s24, v25, v[24:25]
	v_add_u32_e32 v25, v39, v26
	v_lshrrev_b32_e32 v25, s1, v25
	v_mul_lo_u32 v25, v25, s2
	v_lshlrev_b64 v[23:24], 2, v[23:24]
	v_and_b32_e32 v41, 0xffff, v41
	v_add_co_u32_e32 v29, vcc, s15, v23
	v_sub_u32_e32 v28, v39, v25
	v_mad_u64_u32 v[25:26], s[40:41], s8, v28, 0
	v_addc_co_u32_e32 v27, vcc, v27, v24, vcc
	v_mov_b32_e32 v23, v26
	v_mad_u64_u32 v[23:24], s[40:41], s24, v28, v[23:24]
	v_add_co_u32_e32 v31, vcc, v29, v2
	v_mov_b32_e32 v26, v23
	v_lshlrev_b64 v[23:24], 2, v[25:26]
	v_mul_hi_u32 v26, v36, s0
	v_addc_co_u32_e32 v32, vcc, 0, v27, vcc
	v_mov_b32_e32 v25, s39
	v_add_co_u32_e32 v23, vcc, s36, v23
	v_addc_co_u32_e32 v24, vcc, v25, v24, vcc
	v_add_u32_e32 v25, v36, v26
	v_lshrrev_b32_e32 v25, s1, v25
	v_mul_lo_u32 v48, v25, s2
	v_add_co_u32_e32 v33, vcc, v23, v2
	v_addc_co_u32_e32 v34, vcc, 0, v24, vcc
	global_load_dwordx4 v[23:26], v[31:32], off
	global_load_dwordx4 v[27:30], v[33:34], off
	v_lshrrev_b32_e32 v33, 1, v60
	v_sub_u32_e32 v48, v36, v48
	v_add_u32_e32 v34, s14, v33
	v_mad_u64_u32 v[31:32], s[40:41], s8, v48, 0
	v_mul_hi_u32 v50, v34, s0
	s_waitcnt vmcnt(4)
	v_fma_mixlo_f16 v15, s9, v15, 0
	v_mad_u64_u32 v[48:49], s[40:41], s24, v48, v[32:33]
	v_add_u32_e32 v32, v34, v50
	v_lshrrev_b32_e32 v32, s1, v32
	v_mul_lo_u32 v49, v32, s2
	v_mov_b32_e32 v32, v48
	v_mov_b32_e32 v48, s26
	v_lshlrev_b64 v[31:32], 2, v[31:32]
	v_sub_u32_e32 v49, v34, v49
	v_mad_u64_u32 v[52:53], s[26:27], s8, v49, 0
	v_add_co_u32_e32 v50, vcc, s15, v31
	v_mov_b32_e32 v31, v53
	v_addc_co_u32_e32 v51, vcc, v48, v32, vcc
	v_mad_u64_u32 v[31:32], s[24:25], s24, v49, v[31:32]
	v_add_co_u32_e32 v48, vcc, v50, v2
	v_mov_b32_e32 v53, v31
	v_addc_co_u32_e32 v49, vcc, 0, v51, vcc
	v_lshlrev_b64 v[31:32], 2, v[52:53]
	global_load_dwordx4 v[48:51], v[48:49], off
	v_mov_b32_e32 v52, s39
	v_add_co_u32_e32 v31, vcc, s36, v31
	v_addc_co_u32_e32 v32, vcc, v52, v32, vcc
	v_add_co_u32_e32 v31, vcc, v31, v2
	v_addc_co_u32_e32 v32, vcc, 0, v32, vcc
	global_load_dwordx4 v[52:55], v[31:32], off
	v_fma_mixlo_f16 v16, s9, v16, 0
	v_lshlrev_b32_e32 v16, 16, v16
	v_and_b32_e32 v15, 0xffff, v15
	v_or_b32_e32 v15, v16, v15
	v_fma_mixlo_f16 v16, s9, v17, 0
	v_fma_mixlo_f16 v17, s9, v18, 0
	v_lshlrev_b32_e32 v17, 16, v17
	v_and_b32_e32 v16, 0xffff, v16
	v_or3_b32 v32, v56, v41, 0
	v_or3_b32 v31, 0, 0, v57
	;; [unrolled: 1-line block ×4, first 2 shown]
	ds_write2_b64 v6, v[31:32], v[15:16] offset1:32
	s_waitcnt vmcnt(5)
	v_fma_mixlo_f16 v6, s9, v11, 0
	v_fma_mixlo_f16 v11, s9, v12, 0
	v_lshlrev_b32_e32 v11, 16, v11
	v_and_b32_e32 v6, 0xffff, v6
	v_or_b32_e32 v6, v11, v6
	v_fma_mixlo_f16 v11, s9, v13, 0
	v_fma_mixlo_f16 v12, s9, v14, 0
	v_lshl_add_u32 v13, v7, 8, v3
	v_lshlrev_b32_e32 v7, 16, v12
	v_and_b32_e32 v11, 0xffff, v11
	v_or3_b32 v7, v7, v11, 0
	v_or3_b32 v6, 0, 0, v6
	ds_write_b64 v13, v[6:7]
	s_waitcnt vmcnt(4)
	v_fma_mixlo_f16 v6, s9, v19, 0
	v_fma_mixlo_f16 v7, s9, v20, 0
	v_lshlrev_b32_e32 v7, 16, v7
	v_and_b32_e32 v6, 0xffff, v6
	v_or_b32_e32 v6, v7, v6
	v_fma_mixlo_f16 v7, s9, v21, 0
	v_fma_mixlo_f16 v11, s9, v22, 0
	v_lshlrev_b32_e32 v11, 16, v11
	v_and_b32_e32 v7, 0xffff, v7
	v_or3_b32 v7, v11, v7, 0
	v_or3_b32 v6, 0, 0, v6
	ds_write_b64 v8, v[6:7]
	s_waitcnt vmcnt(3)
	v_fma_mixlo_f16 v6, s9, v23, 0
	v_fma_mixlo_f16 v7, s9, v24, 0
	v_lshlrev_b32_e32 v7, 16, v7
	v_and_b32_e32 v6, 0xffff, v6
	v_or_b32_e32 v6, v7, v6
	v_fma_mixlo_f16 v7, s9, v25, 0
	v_fma_mixlo_f16 v8, s9, v26, 0
	;; [unrolled: 13-line block ×3, first 2 shown]
	v_lshlrev_b32_e32 v8, 16, v8
	v_and_b32_e32 v7, 0xffff, v7
	v_lshl_add_u32 v10, v58, 8, v3
	v_or3_b32 v7, v8, v7, 0
	v_or3_b32 v6, 0, 0, v6
	ds_write_b64 v10, v[6:7]
	v_lshl_add_u32 v10, v59, 8, v3
	s_waitcnt vmcnt(1)
	v_fma_mixlo_f16 v6, s9, v48, 0
	v_fma_mixlo_f16 v7, s9, v49, 0
	v_lshlrev_b32_e32 v7, 16, v7
	v_and_b32_e32 v6, 0xffff, v6
	v_or_b32_e32 v6, v7, v6
	v_fma_mixlo_f16 v7, s9, v50, 0
	v_fma_mixlo_f16 v8, s9, v51, 0
	v_lshlrev_b32_e32 v8, 16, v8
	v_and_b32_e32 v7, 0xffff, v7
	v_or3_b32 v7, v8, v7, 0
	v_or3_b32 v6, 0, 0, v6
	ds_write_b64 v10, v[6:7]
	s_waitcnt vmcnt(0)
	v_fma_mixlo_f16 v6, s9, v52, 0
	v_fma_mixlo_f16 v7, s9, v53, 0
	v_lshlrev_b32_e32 v7, 16, v7
	v_and_b32_e32 v6, 0xffff, v6
	v_or_b32_e32 v6, v7, v6
	v_fma_mixlo_f16 v7, s9, v54, 0
	v_fma_mixlo_f16 v8, s9, v55, 0
	v_lshlrev_b32_e32 v8, 16, v8
	v_and_b32_e32 v7, 0xffff, v7
	v_lshl_add_u32 v10, v60, 8, v3
	v_or3_b32 v7, v8, v7, 0
	v_or3_b32 v6, 0, 0, v6
	ds_write_b64 v10, v[6:7]
	s_waitcnt lgkmcnt(0)
	s_barrier
	s_cbranch_scc1 .LBB80_4
; %bb.3:
	s_load_dword s8, s[4:5], 0xd0
	s_mov_b32 s9, 0
	s_waitcnt lgkmcnt(0)
	s_mul_i32 s8, s8, s33
	s_add_i32 s8, s8, s6
	s_lshl_b64 s[8:9], s[8:9], 2
	s_add_u32 s8, s18, s8
	s_addc_u32 s9, s19, s9
	s_load_dword s30, s[8:9], 0x0
.LBB80_4:
	s_lshl_b32 s6, s7, 6
	s_waitcnt lgkmcnt(0)
	s_cmp_lt_i32 s6, s30
	v_mbcnt_lo_u32_b32 v6, -1, 0
	s_cbranch_scc1 .LBB80_10
; %bb.5:
	v_mbcnt_hi_u32_b32 v10, -1, v6
	v_and_b32_e32 v7, 0x60, v10
	v_add_u32_e32 v88, 32, v7
	v_xor_b32_e32 v89, 16, v10
	v_xor_b32_e32 v92, 8, v10
	;; [unrolled: 1-line block ×5, first 2 shown]
	v_lshlrev_b32_e32 v41, 2, v0
	s_cbranch_execz .LBB80_11
; %bb.6:
	v_mov_b32_e32 v62, 0
	v_mov_b32_e32 v83, 0
	;; [unrolled: 1-line block ×32, first 2 shown]
.LBB80_7:
	v_cmp_lt_i32_e32 vcc, v89, v88
	v_cndmask_b32_e32 v9, v10, v89, vcc
	v_cmp_lt_i32_e32 vcc, v92, v88
	v_lshlrev_b32_e32 v12, 2, v9
	v_cndmask_b32_e32 v9, v10, v92, vcc
	v_lshlrev_b32_e32 v13, 2, v9
	ds_bpermute_b32 v9, v12, v76
	v_cmp_lt_i32_e32 vcc, v90, v88
	v_cndmask_b32_e32 v11, v10, v90, vcc
	v_lshlrev_b32_e32 v14, 2, v11
	v_cmp_lt_i32_e32 vcc, v93, v88
	s_waitcnt lgkmcnt(0)
	v_add_f32_e32 v9, v76, v9
	ds_bpermute_b32 v15, v13, v9
	v_cndmask_b32_e32 v11, v10, v93, vcc
	v_lshlrev_b32_e32 v16, 2, v11
	ds_bpermute_b32 v11, v12, v77
	v_cmp_lt_i32_e32 vcc, v91, v88
	s_waitcnt lgkmcnt(1)
	v_add_f32_e32 v9, v9, v15
	ds_bpermute_b32 v15, v14, v9
	v_cndmask_b32_e32 v10, v10, v91, vcc
	s_waitcnt lgkmcnt(1)
	v_add_f32_e32 v11, v77, v11
	v_lshlrev_b32_e32 v18, 2, v10
	ds_bpermute_b32 v10, v12, v78
	s_waitcnt lgkmcnt(1)
	v_add_f32_e32 v9, v9, v15
	ds_bpermute_b32 v15, v16, v9
	ds_bpermute_b32 v17, v13, v11
	;; [unrolled: 1-line block ×3, first 2 shown]
	s_waitcnt lgkmcnt(3)
	v_add_f32_e32 v10, v78, v10
	ds_bpermute_b32 v19, v13, v10
	s_waitcnt lgkmcnt(3)
	v_add_f32_e32 v9, v9, v15
	ds_bpermute_b32 v15, v18, v9
	;; [unrolled: 3-line block ×6, first 2 shown]
	s_waitcnt lgkmcnt(2)
	v_add_f32_e32 v10, v10, v19
	s_cmp_lg_u64 s[16:17], 0
	s_waitcnt lgkmcnt(1)
	v_add_f32_e32 v15, v80, v15
	ds_bpermute_b32 v21, v13, v15
	s_waitcnt lgkmcnt(1)
	v_add_f32_e32 v11, v11, v17
	v_add_f32_e32 v17, v79, v20
	ds_bpermute_b32 v20, v16, v10
	ds_bpermute_b32 v22, v18, v11
	s_waitcnt lgkmcnt(2)
	v_add_f32_e32 v15, v15, v21
	ds_bpermute_b32 v21, v14, v15
	ds_bpermute_b32 v19, v13, v17
	s_waitcnt lgkmcnt(3)
	v_add_f32_e32 v20, v10, v20
	ds_bpermute_b32 v23, v18, v20
	s_waitcnt lgkmcnt(3)
	v_add_f32_e32 v10, v11, v22
	s_waitcnt lgkmcnt(2)
	v_add_f32_e32 v15, v15, v21
	ds_bpermute_b32 v21, v16, v15
	s_waitcnt lgkmcnt(2)
	v_add_f32_e32 v17, v17, v19
	s_waitcnt lgkmcnt(1)
	v_add_f32_e32 v11, v20, v23
	ds_bpermute_b32 v20, v12, v81
	ds_bpermute_b32 v19, v14, v17
	s_waitcnt lgkmcnt(2)
	v_add_f32_e32 v15, v15, v21
	ds_bpermute_b32 v21, v12, v82
	ds_bpermute_b32 v12, v12, v83
	s_waitcnt lgkmcnt(3)
	v_add_f32_e32 v20, v81, v20
	ds_bpermute_b32 v23, v13, v20
	s_waitcnt lgkmcnt(3)
	v_add_f32_e32 v17, v17, v19
	s_waitcnt lgkmcnt(2)
	v_add_f32_e32 v21, v82, v21
	;; [unrolled: 2-line block ×3, first 2 shown]
	ds_bpermute_b32 v24, v13, v21
	ds_bpermute_b32 v13, v13, v12
	s_waitcnt lgkmcnt(2)
	v_add_f32_e32 v20, v20, v23
	ds_bpermute_b32 v23, v14, v20
	ds_bpermute_b32 v19, v16, v17
	s_waitcnt lgkmcnt(3)
	v_add_f32_e32 v21, v21, v24
	s_waitcnt lgkmcnt(2)
	v_add_f32_e32 v12, v12, v13
	ds_bpermute_b32 v24, v14, v21
	ds_bpermute_b32 v13, v14, v12
	s_waitcnt lgkmcnt(3)
	v_add_f32_e32 v14, v20, v23
	ds_bpermute_b32 v20, v16, v14
	s_waitcnt lgkmcnt(3)
	v_add_f32_e32 v17, v17, v19
	s_waitcnt lgkmcnt(2)
	v_add_f32_e32 v21, v21, v24
	;; [unrolled: 2-line block ×3, first 2 shown]
	ds_bpermute_b32 v23, v16, v21
	ds_bpermute_b32 v13, v16, v12
	s_waitcnt lgkmcnt(2)
	v_add_f32_e32 v14, v14, v20
	ds_bpermute_b32 v19, v18, v17
	ds_bpermute_b32 v22, v18, v15
	s_waitcnt lgkmcnt(3)
	v_add_f32_e32 v20, v21, v23
	s_waitcnt lgkmcnt(2)
	v_add_f32_e32 v23, v12, v13
	ds_bpermute_b32 v16, v18, v14
	ds_bpermute_b32 v21, v18, v20
	;; [unrolled: 1-line block ×3, first 2 shown]
	s_cselect_b64 s[0:1], -1, 0
	s_cmp_eq_u32 s7, 0
	s_cselect_b64 s[8:9], -1, 0
	s_and_b64 s[0:1], s[8:9], s[0:1]
	s_waitcnt lgkmcnt(4)
	v_add_f32_e32 v12, v17, v19
	s_waitcnt lgkmcnt(3)
	v_add_f32_e32 v13, v15, v22
	;; [unrolled: 2-line block ×5, first 2 shown]
	s_and_b64 vcc, exec, s[0:1]
	s_cbranch_vccz .LBB80_78
; %bb.8:
	s_ashr_i32 s29, s28, 31
	s_lshl_b64 s[0:1], s[28:29], 2
	s_add_u32 s0, s16, s0
	s_addc_u32 s1, s17, s1
	v_mov_b32_e32 v17, 0
	global_load_dwordx2 v[23:24], v17, s[0:1]
	v_max_f32_e32 v17, v1, v1
	v_max_f32_e32 v18, v2, v2
	s_mov_b32 s6, 0x3fb8aa3b
	s_mov_b32 s1, 0xc2ce8ed0
	v_max_f32_e32 v19, v3, v3
	s_mov_b32 s0, 0x42b17218
	v_mov_b32_e32 v64, 0x7f800000
	s_waitcnt vmcnt(0)
	v_max_f32_e32 v31, v23, v23
	v_max_f32_e32 v25, v17, v31
	;; [unrolled: 1-line block ×3, first 2 shown]
	v_sub_f32_e32 v1, v1, v25
	v_max_f32_e32 v26, v18, v32
	v_sub_f32_e32 v17, v23, v25
	v_mul_f32_e32 v20, 0x3fb8aa3b, v1
	v_sub_f32_e32 v2, v2, v26
	v_mul_f32_e32 v21, 0x3fb8aa3b, v17
	v_fma_f32 v65, v1, s6, -v20
	v_rndne_f32_e32 v66, v20
	v_sub_f32_e32 v18, v24, v26
	v_mul_f32_e32 v22, 0x3fb8aa3b, v2
	v_fma_f32 v67, v17, s6, -v21
	v_rndne_f32_e32 v68, v21
	v_fmac_f32_e32 v65, 0x32a5705f, v1
	v_sub_f32_e32 v20, v20, v66
	v_mul_f32_e32 v28, 0x3fb8aa3b, v18
	v_fma_f32 v69, v2, s6, -v22
	v_rndne_f32_e32 v70, v22
	v_fmac_f32_e32 v67, 0x32a5705f, v17
	v_sub_f32_e32 v21, v21, v68
	v_add_f32_e32 v20, v20, v65
	v_fma_f32 v71, v18, s6, -v28
	v_rndne_f32_e32 v72, v28
	v_cvt_i32_f32_e32 v66, v66
	v_fmac_f32_e32 v69, 0x32a5705f, v2
	v_sub_f32_e32 v22, v22, v70
	v_add_f32_e32 v21, v21, v67
	v_exp_f32_e32 v20, v20
	v_cvt_i32_f32_e32 v68, v68
	v_fmac_f32_e32 v71, 0x32a5705f, v18
	v_sub_f32_e32 v28, v28, v72
	v_add_f32_e32 v22, v22, v69
	v_exp_f32_e32 v21, v21
	v_cvt_i32_f32_e32 v70, v70
	v_add_f32_e32 v28, v28, v71
	v_exp_f32_e32 v22, v22
	v_cvt_i32_f32_e32 v72, v72
	v_exp_f32_e32 v28, v28
	v_ldexp_f32 v20, v20, v66
	v_cmp_ngt_f32_e32 vcc, s1, v1
	v_max_f32_e32 v27, v19, v31
	v_ldexp_f32 v21, v21, v68
	v_cndmask_b32_e32 v20, 0, v20, vcc
	v_cmp_ngt_f32_e32 vcc, s1, v17
	v_sub_f32_e32 v3, v3, v27
	v_ldexp_f32 v22, v22, v70
	v_cndmask_b32_e32 v21, 0, v21, vcc
	v_cmp_ngt_f32_e32 vcc, s1, v2
	v_mul_f32_e32 v29, 0x3fb8aa3b, v3
	v_ldexp_f32 v28, v28, v72
	v_cndmask_b32_e32 v22, 0, v22, vcc
	v_cmp_ngt_f32_e32 vcc, s1, v18
	v_sub_f32_e32 v19, v23, v27
	v_fma_f32 v73, v3, s6, -v29
	v_rndne_f32_e32 v74, v29
	v_cndmask_b32_e32 v28, 0, v28, vcc
	v_cmp_nlt_f32_e32 vcc, s0, v1
	v_mul_f32_e32 v30, 0x3fb8aa3b, v19
	v_fmac_f32_e32 v73, 0x32a5705f, v3
	v_sub_f32_e32 v29, v29, v74
	v_cndmask_b32_e32 v1, v64, v20, vcc
	v_cmp_nlt_f32_e32 vcc, s0, v17
	v_fma_f32 v75, v19, s6, -v30
	v_rndne_f32_e32 v76, v30
	v_add_f32_e32 v29, v29, v73
	v_cndmask_b32_e32 v17, v64, v21, vcc
	v_cmp_nlt_f32_e32 vcc, s0, v2
	v_cvt_i32_f32_e32 v74, v74
	v_fmac_f32_e32 v75, 0x32a5705f, v19
	v_sub_f32_e32 v30, v30, v76
	v_exp_f32_e32 v29, v29
	v_cndmask_b32_e32 v2, v64, v22, vcc
	v_cvt_f16_f32_e32 v20, v1
	v_add_f32_e32 v30, v30, v75
	v_cvt_f16_f32_e32 v21, v2
	v_cvt_i32_f32_e32 v76, v76
	v_exp_f32_e32 v30, v30
	v_cmp_nlt_f32_e32 vcc, s0, v18
	v_ldexp_f32 v29, v29, v74
	v_cndmask_b32_e32 v18, v64, v28, vcc
	v_fmac_f32_e32 v17, v9, v1
	v_mul_u32_u24_e32 v1, 0x10001, v20
	v_cmp_ngt_f32_e32 vcc, s1, v3
	v_fmac_f32_e32 v18, v10, v2
	v_mul_u32_u24_e32 v2, 0x10001, v21
	v_pk_mul_f16 v62, v62, v1
	v_pk_mul_f16 v63, v63, v1
	v_cndmask_b32_e32 v1, 0, v29, vcc
	v_cmp_nlt_f32_e32 vcc, s0, v3
	v_pk_mul_f16 v60, v60, v2
	v_pk_mul_f16 v61, v61, v2
	v_cndmask_b32_e32 v1, v64, v1, vcc
	v_ldexp_f32 v2, v30, v76
	v_cmp_ngt_f32_e32 vcc, s1, v19
	v_cndmask_b32_e32 v2, 0, v2, vcc
	v_cmp_nlt_f32_e32 vcc, s0, v19
	v_cndmask_b32_e32 v19, v64, v2, vcc
	v_max_f32_e32 v2, v4, v4
	v_max_f32_e32 v28, v2, v32
	v_sub_f32_e32 v2, v4, v28
	v_mul_f32_e32 v3, 0x3fb8aa3b, v2
	v_fma_f32 v4, v2, s6, -v3
	v_rndne_f32_e32 v9, v3
	v_fmac_f32_e32 v4, 0x32a5705f, v2
	v_sub_f32_e32 v3, v3, v9
	v_fmac_f32_e32 v19, v11, v1
	v_cvt_f16_f32_e32 v1, v1
	v_add_f32_e32 v3, v3, v4
	v_exp_f32_e32 v3, v3
	v_cvt_i32_f32_e32 v4, v9
	v_mul_u32_u24_e32 v1, 0x10001, v1
	v_pk_mul_f16 v58, v58, v1
	v_pk_mul_f16 v59, v59, v1
	v_ldexp_f32 v1, v3, v4
	v_sub_f32_e32 v3, v24, v28
	v_mul_f32_e32 v4, 0x3fb8aa3b, v3
	v_fma_f32 v9, v3, s6, -v4
	v_rndne_f32_e32 v10, v4
	v_fmac_f32_e32 v9, 0x32a5705f, v3
	v_sub_f32_e32 v4, v4, v10
	v_add_f32_e32 v4, v4, v9
	v_exp_f32_e32 v4, v4
	v_cvt_i32_f32_e32 v9, v10
	v_cmp_ngt_f32_e32 vcc, s1, v2
	v_cndmask_b32_e32 v1, 0, v1, vcc
	v_cmp_nlt_f32_e32 vcc, s0, v2
	v_cndmask_b32_e32 v1, v64, v1, vcc
	v_ldexp_f32 v2, v4, v9
	v_cmp_ngt_f32_e32 vcc, s1, v3
	v_cndmask_b32_e32 v2, 0, v2, vcc
	v_cmp_nlt_f32_e32 vcc, s0, v3
	v_cndmask_b32_e32 v20, v64, v2, vcc
	v_max_f32_e32 v2, v5, v5
	v_max_f32_e32 v29, v2, v31
	v_sub_f32_e32 v2, v5, v29
	v_mul_f32_e32 v3, 0x3fb8aa3b, v2
	v_fma_f32 v4, v2, s6, -v3
	v_rndne_f32_e32 v5, v3
	v_fmac_f32_e32 v4, 0x32a5705f, v2
	v_sub_f32_e32 v3, v3, v5
	v_fmac_f32_e32 v20, v12, v1
	v_cvt_f16_f32_e32 v1, v1
	v_add_f32_e32 v3, v3, v4
	v_exp_f32_e32 v3, v3
	v_cvt_i32_f32_e32 v4, v5
	v_mul_u32_u24_e32 v1, 0x10001, v1
	v_pk_mul_f16 v56, v56, v1
	v_pk_mul_f16 v57, v57, v1
	v_ldexp_f32 v1, v3, v4
	v_sub_f32_e32 v3, v23, v29
	v_mul_f32_e32 v4, 0x3fb8aa3b, v3
	v_fma_f32 v5, v3, s6, -v4
	v_rndne_f32_e32 v9, v4
	v_fmac_f32_e32 v5, 0x32a5705f, v3
	v_sub_f32_e32 v4, v4, v9
	v_add_f32_e32 v4, v4, v5
	v_exp_f32_e32 v4, v4
	v_cvt_i32_f32_e32 v5, v9
	v_cmp_ngt_f32_e32 vcc, s1, v2
	v_cndmask_b32_e32 v1, 0, v1, vcc
	v_cmp_nlt_f32_e32 vcc, s0, v2
	;; [unrolled: 35-line block ×5, first 2 shown]
	v_cndmask_b32_e32 v1, v64, v1, vcc
	v_ldexp_f32 v2, v4, v5
	v_cvt_f16_f32_e32 v4, v1
	v_cmp_ngt_f32_e32 vcc, s1, v3
	v_cndmask_b32_e32 v2, 0, v2, vcc
	v_cmp_nlt_f32_e32 vcc, s0, v3
	v_cndmask_b32_e32 v24, v64, v2, vcc
	v_fmac_f32_e32 v24, v16, v1
	v_mul_u32_u24_e32 v1, 0x10001, v4
	v_pk_mul_f16 v49, v49, v1
	v_pk_mul_f16 v48, v48, v1
	v_mov_b32_e32 v1, v25
	v_mov_b32_e32 v2, v26
	;; [unrolled: 1-line block ×16, first 2 shown]
	v_cmp_gt_i32_e32 vcc, s2, v47
	s_and_saveexec_b64 s[0:1], vcc
	s_cbranch_execnz .LBB80_79
.LBB80_9:
	s_endpgm
.LBB80_10:
                                        ; implicit-def: $vgpr10
                                        ; implicit-def: $vgpr88
                                        ; implicit-def: $vgpr89
                                        ; implicit-def: $vgpr92
                                        ; implicit-def: $vgpr90
                                        ; implicit-def: $vgpr93
                                        ; implicit-def: $vgpr91
	v_lshlrev_b32_e32 v41, 2, v0
.LBB80_11:
	s_sub_i32 s8, 0, s29
	s_mul_i32 s8, s8, s38
	s_mul_hi_u32 s8, s38, s8
	s_add_i32 s38, s38, s8
	s_load_dwordx4 s[24:27], s[4:5], 0x98
	s_load_dword s15, s[4:5], 0x54
	s_load_dwordx2 s[8:9], s[4:5], 0x8c
	s_abs_i32 s36, s28
	s_mul_hi_u32 s40, s36, s38
	s_waitcnt lgkmcnt(0)
	s_ashr_i32 s18, s26, 2
	s_ashr_i32 s26, s37, 1
	;; [unrolled: 1-line block ×4, first 2 shown]
	s_mul_hi_u32 s37, s24, s33
	s_mul_i32 s42, s24, s8
	s_add_i32 s37, s37, s42
	s_mul_i32 s25, s25, s33
	s_ashr_i32 s41, s28, 31
	s_ashr_i32 s31, s31, 31
	s_add_i32 s37, s37, s25
	s_mul_i32 s24, s24, s33
	s_add_u32 s10, s10, s24
	s_mul_i32 s25, s40, s29
	s_addc_u32 s11, s11, s37
	s_sub_i32 s25, s36, s25
	s_xor_b32 s24, s41, s31
	s_add_i32 s31, s40, 1
	s_sub_i32 s36, s25, s29
	s_cmp_ge_u32 s25, s29
	s_cselect_b32 s31, s31, s40
	s_cselect_b32 s25, s36, s25
	s_add_i32 s36, s31, 1
	s_cmp_ge_u32 s25, s29
	s_cselect_b32 s25, s36, s31
	s_load_dwordx2 s[38:39], s[4:5], 0xa8
	s_xor_b32 s25, s25, s24
	s_sub_i32 s24, s25, s24
	v_lshrrev_b32_e32 v7, 2, v0
	s_mul_i32 s9, s24, s9
	v_add_u32_e32 v5, v7, v5
	s_ashr_i32 s25, s9, 31
	v_mul_lo_u32 v7, s19, v5
	s_add_u32 s9, s10, s9
	s_addc_u32 s10, s11, s25
	s_waitcnt lgkmcnt(0)
	s_mul_hi_u32 s11, s38, s33
	s_mul_i32 s8, s38, s8
	s_add_i32 s8, s11, s8
	s_mul_i32 s11, s39, s33
	v_and_b32_e32 v8, 12, v41
	s_add_i32 s8, s8, s11
	s_mul_i32 s11, s38, s33
	v_mul_u32_u24_e32 v10, 0x50, v5
	v_lshlrev_b32_e32 v5, 2, v8
	v_ashrrev_i32_e32 v8, 31, v7
	s_add_u32 s11, s12, s11
	v_lshlrev_b64 v[7:8], 2, v[7:8]
	s_addc_u32 s8, s13, s8
	s_movk_i32 s13, 0x6000
	v_add3_u32 v11, v10, v5, s13
	v_mov_b32_e32 v10, s10
	v_add_co_u32_e32 v7, vcc, s9, v7
	v_addc_co_u32_e32 v8, vcc, v10, v8, vcc
	v_add_u32_e32 v10, 1, v47
	s_mul_i32 s24, s24, s27
	v_mul_hi_u32 v15, s0, v10
	s_ashr_i32 s12, s24, 31
	s_add_u32 s11, s11, s24
	s_addc_u32 s8, s8, s12
	s_movk_i32 s12, 0x50
	v_add_co_u32_e32 v12, vcc, v7, v5
	v_mov_b32_e32 v5, 0x6000
	v_mad_u32_u24 v14, v0, s12, v5
	v_add_u32_e32 v5, v10, v15
	v_lshrrev_b32_e32 v5, s1, v5
	v_mul_lo_u32 v5, v5, s2
	v_mul_lo_u32 v15, v4, s26
	v_add_u32_e32 v4, 2, v47
	v_addc_co_u32_e32 v13, vcc, 0, v8, vcc
	v_mul_hi_u32 v7, s0, v4
	v_add_u32_e32 v8, 3, v47
	v_sub_u32_e32 v5, v10, v5
	v_mul_hi_u32 v10, s0, v8
	v_add_u32_e32 v7, v4, v7
	v_lshrrev_b32_e32 v7, s1, v7
	v_mul_lo_u32 v7, v7, s2
	v_add_u32_e32 v10, v8, v10
	v_lshrrev_b32_e32 v10, s1, v10
	v_mul_lo_u32 v10, v10, s2
	v_sub_u32_e32 v4, v4, v7
	v_mul_lo_u32 v17, v4, s26
	v_mul_lo_u32 v16, v5, s26
	v_sub_u32_e32 v4, v8, v10
	v_mul_lo_u32 v18, v4, s26
	v_mov_b32_e32 v4, 0x4000
	v_lshl_add_u32 v19, v1, 10, v4
	v_lshrrev_b32_e32 v4, 4, v0
	v_lshl_add_u32 v1, v1, 1, v4
	v_mul_lo_u32 v4, s18, v1
	v_and_b32_e32 v5, 60, v41
	v_lshlrev_b32_e32 v7, 2, v5
	v_lshl_or_b32 v1, v1, 8, v7
	v_ashrrev_i32_e32 v5, 31, v4
	v_lshlrev_b64 v[4:5], 2, v[4:5]
	v_add_u32_e32 v20, 0x6000, v1
	v_mov_b32_e32 v1, s8
	v_add_co_u32_e32 v4, vcc, s11, v4
	v_addc_co_u32_e32 v1, vcc, v1, v5, vcc
	v_add_co_u32_e32 v21, vcc, v4, v7
	s_add_u32 s0, s4, 0xd0
	v_mov_b32_e32 v71, 0
	v_addc_co_u32_e32 v22, vcc, 0, v1, vcc
	v_or_b32_e32 v23, 0x6000, v3
	s_addc_u32 s1, s5, 0
	v_mov_b32_e32 v75, 0xfeffffff
	v_mov_b32_e32 v48, 0
	s_mov_b32 s10, 0x3f200000
	s_mov_b32 s11, 0x3fb8aa3b
	;; [unrolled: 1-line block ×4, first 2 shown]
	v_mov_b32_e32 v24, 0xbd5c1c4e
	v_mov_b32_e32 v25, 0x3e088382
	;; [unrolled: 1-line block ×3, first 2 shown]
	s_brev_b32 s24, -2
	s_mov_b32 s25, 0x10001
	v_add_u32_e32 v27, v19, v2
	v_mov_b32_e32 v28, 0x7f800000
	v_mbcnt_hi_u32_b32 v10, -1, v6
	v_mov_b32_e32 v49, 0
	v_mov_b32_e32 v51, 0
	;; [unrolled: 1-line block ×29, first 2 shown]
.LBB80_12:                              ; =>This Inner Loop Header: Depth=1
	s_mul_hi_i32 s9, s6, s19
	s_mul_i32 s8, s6, s19
	s_lshl_b64 s[8:9], s[8:9], 2
	v_mov_b32_e32 v1, s9
	v_add_co_u32_e32 v5, vcc, s8, v12
	v_addc_co_u32_e32 v6, vcc, v13, v1, vcc
	global_load_dwordx4 v[1:4], v[5:6], off
	v_mov_b32_e32 v88, 0
	v_mov_b32_e32 v86, 0
	;; [unrolled: 1-line block ×16, first 2 shown]
	s_waitcnt vmcnt(0)
	ds_write_b128 v11, v[1:4]
	s_waitcnt lgkmcnt(0)
	s_barrier
	ds_read_b128 v[1:4], v14
	ds_read_b128 v[91:94], v14 offset:2560
	ds_read_b128 v[95:98], v9
	ds_read_b128 v[99:102], v9 offset:256
	ds_read_b128 v[103:106], v9 offset:512
	ds_read_b128 v[107:110], v9 offset:768
	ds_read_b128 v[111:114], v9 offset:1024
	ds_read_b128 v[115:118], v9 offset:1280
	ds_read_b128 v[119:122], v9 offset:1536
	ds_read_b128 v[123:126], v9 offset:1792
	s_waitcnt lgkmcnt(7)
	;;#ASMSTART
	v_dot2_f32_f16 v88, v1, v95, v88
	;;#ASMEND
	;;#ASMSTART
	v_dot2_f32_f16 v88, v2, v96, v88
	;;#ASMEND
	;;#ASMSTART
	v_dot2_f32_f16 v88, v3, v97, v88
	;;#ASMEND
	;;#ASMSTART
	v_dot2_f32_f16 v88, v4, v98, v88
	;;#ASMEND
	s_waitcnt lgkmcnt(6)
	;;#ASMSTART
	v_dot2_f32_f16 v86, v1, v99, v86
	;;#ASMEND
	;;#ASMSTART
	v_dot2_f32_f16 v86, v2, v100, v86
	;;#ASMEND
	;;#ASMSTART
	v_dot2_f32_f16 v86, v3, v101, v86
	;;#ASMEND
	;;#ASMSTART
	v_dot2_f32_f16 v86, v4, v102, v86
	;;#ASMEND
	;; [unrolled: 13-line block ×8, first 2 shown]
	;;#ASMSTART
	v_dot2_f32_f16 v90, v91, v95, v90
	;;#ASMEND
	;;#ASMSTART
	v_dot2_f32_f16 v90, v92, v96, v90
	;;#ASMEND
	;;#ASMSTART
	v_dot2_f32_f16 v90, v93, v97, v90
	;;#ASMEND
	;;#ASMSTART
	v_dot2_f32_f16 v90, v94, v98, v90
	;;#ASMEND
	;;#ASMSTART
	v_dot2_f32_f16 v87, v91, v99, v87
	;;#ASMEND
	;;#ASMSTART
	v_dot2_f32_f16 v87, v92, v100, v87
	;;#ASMEND
	;;#ASMSTART
	v_dot2_f32_f16 v87, v93, v101, v87
	;;#ASMEND
	;;#ASMSTART
	v_dot2_f32_f16 v87, v94, v102, v87
	;;#ASMEND
	;;#ASMSTART
	v_dot2_f32_f16 v85, v91, v103, v85
	;;#ASMEND
	;;#ASMSTART
	v_dot2_f32_f16 v85, v92, v104, v85
	;;#ASMEND
	;;#ASMSTART
	v_dot2_f32_f16 v85, v93, v105, v85
	;;#ASMEND
	;;#ASMSTART
	v_dot2_f32_f16 v85, v94, v106, v85
	;;#ASMEND
	;;#ASMSTART
	v_dot2_f32_f16 v84, v91, v107, v84
	;;#ASMEND
	;;#ASMSTART
	v_dot2_f32_f16 v84, v92, v108, v84
	;;#ASMEND
	;;#ASMSTART
	v_dot2_f32_f16 v84, v93, v109, v84
	;;#ASMEND
	;;#ASMSTART
	v_dot2_f32_f16 v84, v94, v110, v84
	;;#ASMEND
	;;#ASMSTART
	v_dot2_f32_f16 v81, v91, v111, v81
	;;#ASMEND
	;;#ASMSTART
	v_dot2_f32_f16 v81, v92, v112, v81
	;;#ASMEND
	;;#ASMSTART
	v_dot2_f32_f16 v81, v93, v113, v81
	;;#ASMEND
	;;#ASMSTART
	v_dot2_f32_f16 v81, v94, v114, v81
	;;#ASMEND
	;;#ASMSTART
	v_dot2_f32_f16 v79, v91, v115, v79
	;;#ASMEND
	;;#ASMSTART
	v_dot2_f32_f16 v79, v92, v116, v79
	;;#ASMEND
	;;#ASMSTART
	v_dot2_f32_f16 v79, v93, v117, v79
	;;#ASMEND
	;;#ASMSTART
	v_dot2_f32_f16 v79, v94, v118, v79
	;;#ASMEND
	;;#ASMSTART
	v_dot2_f32_f16 v77, v91, v119, v77
	;;#ASMEND
	;;#ASMSTART
	v_dot2_f32_f16 v77, v92, v120, v77
	;;#ASMEND
	;;#ASMSTART
	v_dot2_f32_f16 v77, v93, v121, v77
	;;#ASMEND
	;;#ASMSTART
	v_dot2_f32_f16 v77, v94, v122, v77
	;;#ASMEND
	;;#ASMSTART
	v_dot2_f32_f16 v8, v91, v123, v8
	;;#ASMEND
	;;#ASMSTART
	v_dot2_f32_f16 v8, v92, v124, v8
	;;#ASMEND
	;;#ASMSTART
	v_dot2_f32_f16 v8, v93, v125, v8
	;;#ASMEND
	;;#ASMSTART
	v_dot2_f32_f16 v8, v94, v126, v8
	;;#ASMEND
	ds_read_b128 v[91:94], v14 offset:16
	ds_read_b128 v[1:4], v14 offset:2576
	;; [unrolled: 1-line block ×10, first 2 shown]
	s_waitcnt lgkmcnt(7)
	;;#ASMSTART
	v_dot2_f32_f16 v88, v91, v95, v88
	;;#ASMEND
	;;#ASMSTART
	v_dot2_f32_f16 v88, v92, v96, v88
	;;#ASMEND
	;;#ASMSTART
	v_dot2_f32_f16 v88, v93, v97, v88
	;;#ASMEND
	;;#ASMSTART
	v_dot2_f32_f16 v88, v94, v98, v88
	;;#ASMEND
	s_waitcnt lgkmcnt(6)
	;;#ASMSTART
	v_dot2_f32_f16 v86, v91, v99, v86
	;;#ASMEND
	;;#ASMSTART
	v_dot2_f32_f16 v86, v92, v100, v86
	;;#ASMEND
	;;#ASMSTART
	v_dot2_f32_f16 v86, v93, v101, v86
	;;#ASMEND
	;;#ASMSTART
	v_dot2_f32_f16 v86, v94, v102, v86
	;;#ASMEND
	;; [unrolled: 13-line block ×8, first 2 shown]
	;;#ASMSTART
	v_dot2_f32_f16 v90, v1, v95, v90
	;;#ASMEND
	;;#ASMSTART
	v_dot2_f32_f16 v90, v2, v96, v90
	;;#ASMEND
	;; [unrolled: 3-line block ×32, first 2 shown]
	ds_read_b128 v[91:94], v14 offset:32
	ds_read_b128 v[1:4], v14 offset:2592
	;; [unrolled: 1-line block ×10, first 2 shown]
	s_waitcnt lgkmcnt(7)
	;;#ASMSTART
	v_dot2_f32_f16 v88, v91, v95, v88
	;;#ASMEND
	;;#ASMSTART
	v_dot2_f32_f16 v88, v92, v96, v88
	;;#ASMEND
	;;#ASMSTART
	v_dot2_f32_f16 v88, v93, v97, v88
	;;#ASMEND
	;;#ASMSTART
	v_dot2_f32_f16 v88, v94, v98, v88
	;;#ASMEND
	s_waitcnt lgkmcnt(6)
	;;#ASMSTART
	v_dot2_f32_f16 v86, v91, v99, v86
	;;#ASMEND
	;;#ASMSTART
	v_dot2_f32_f16 v86, v92, v100, v86
	;;#ASMEND
	;;#ASMSTART
	v_dot2_f32_f16 v86, v93, v101, v86
	;;#ASMEND
	;;#ASMSTART
	v_dot2_f32_f16 v86, v94, v102, v86
	;;#ASMEND
	;; [unrolled: 13-line block ×8, first 2 shown]
	;;#ASMSTART
	v_dot2_f32_f16 v90, v1, v95, v90
	;;#ASMEND
	;;#ASMSTART
	v_dot2_f32_f16 v90, v2, v96, v90
	;;#ASMEND
	;; [unrolled: 3-line block ×32, first 2 shown]
	ds_read_b128 v[91:94], v14 offset:48
	ds_read_b128 v[1:4], v14 offset:2608
	;; [unrolled: 1-line block ×10, first 2 shown]
	s_waitcnt lgkmcnt(7)
	;;#ASMSTART
	v_dot2_f32_f16 v88, v91, v95, v88
	;;#ASMEND
	;;#ASMSTART
	v_dot2_f32_f16 v88, v92, v96, v88
	;;#ASMEND
	;;#ASMSTART
	v_dot2_f32_f16 v88, v93, v97, v88
	;;#ASMEND
	;;#ASMSTART
	v_dot2_f32_f16 v88, v94, v98, v88
	;;#ASMEND
	s_waitcnt lgkmcnt(6)
	;;#ASMSTART
	v_dot2_f32_f16 v86, v91, v99, v86
	;;#ASMEND
	;;#ASMSTART
	v_dot2_f32_f16 v86, v92, v100, v86
	;;#ASMEND
	;;#ASMSTART
	v_dot2_f32_f16 v86, v93, v101, v86
	;;#ASMEND
	;;#ASMSTART
	v_dot2_f32_f16 v86, v94, v102, v86
	;;#ASMEND
	;; [unrolled: 13-line block ×8, first 2 shown]
	;;#ASMSTART
	v_dot2_f32_f16 v90, v1, v95, v90
	;;#ASMEND
	;;#ASMSTART
	v_dot2_f32_f16 v90, v2, v96, v90
	;;#ASMEND
	;; [unrolled: 3-line block ×32, first 2 shown]
	s_barrier
	global_load_dwordx4 v[1:4], v[5:6], off offset:64
	s_waitcnt vmcnt(0)
	ds_write_b128 v11, v[1:4]
	s_waitcnt lgkmcnt(0)
	s_barrier
	ds_read_b128 v[91:94], v14
	ds_read_b128 v[1:4], v14 offset:2560
	ds_read_b128 v[95:98], v9 offset:64
	ds_read_b128 v[99:102], v9 offset:320
	ds_read_b128 v[103:106], v9 offset:576
	ds_read_b128 v[107:110], v9 offset:832
	ds_read_b128 v[111:114], v9 offset:1088
	ds_read_b128 v[115:118], v9 offset:1344
	ds_read_b128 v[119:122], v9 offset:1600
	ds_read_b128 v[123:126], v9 offset:1856
	s_waitcnt lgkmcnt(7)
	;;#ASMSTART
	v_dot2_f32_f16 v88, v91, v95, v88
	;;#ASMEND
	;;#ASMSTART
	v_dot2_f32_f16 v88, v92, v96, v88
	;;#ASMEND
	;;#ASMSTART
	v_dot2_f32_f16 v88, v93, v97, v88
	;;#ASMEND
	;;#ASMSTART
	v_dot2_f32_f16 v88, v94, v98, v88
	;;#ASMEND
	s_waitcnt lgkmcnt(6)
	;;#ASMSTART
	v_dot2_f32_f16 v86, v91, v99, v86
	;;#ASMEND
	;;#ASMSTART
	v_dot2_f32_f16 v86, v92, v100, v86
	;;#ASMEND
	;;#ASMSTART
	v_dot2_f32_f16 v86, v93, v101, v86
	;;#ASMEND
	;;#ASMSTART
	v_dot2_f32_f16 v86, v94, v102, v86
	;;#ASMEND
	;; [unrolled: 13-line block ×8, first 2 shown]
	;;#ASMSTART
	v_dot2_f32_f16 v90, v1, v95, v90
	;;#ASMEND
	;;#ASMSTART
	v_dot2_f32_f16 v90, v2, v96, v90
	;;#ASMEND
	;; [unrolled: 3-line block ×32, first 2 shown]
	ds_read_b128 v[91:94], v14 offset:16
	ds_read_b128 v[1:4], v14 offset:2576
	;; [unrolled: 1-line block ×10, first 2 shown]
	s_waitcnt lgkmcnt(7)
	;;#ASMSTART
	v_dot2_f32_f16 v88, v91, v95, v88
	;;#ASMEND
	;;#ASMSTART
	v_dot2_f32_f16 v88, v92, v96, v88
	;;#ASMEND
	;;#ASMSTART
	v_dot2_f32_f16 v88, v93, v97, v88
	;;#ASMEND
	;;#ASMSTART
	v_dot2_f32_f16 v88, v94, v98, v88
	;;#ASMEND
	s_waitcnt lgkmcnt(6)
	;;#ASMSTART
	v_dot2_f32_f16 v86, v91, v99, v86
	;;#ASMEND
	;;#ASMSTART
	v_dot2_f32_f16 v86, v92, v100, v86
	;;#ASMEND
	;;#ASMSTART
	v_dot2_f32_f16 v86, v93, v101, v86
	;;#ASMEND
	;;#ASMSTART
	v_dot2_f32_f16 v86, v94, v102, v86
	;;#ASMEND
	;; [unrolled: 13-line block ×8, first 2 shown]
	;;#ASMSTART
	v_dot2_f32_f16 v90, v1, v95, v90
	;;#ASMEND
	;;#ASMSTART
	v_dot2_f32_f16 v90, v2, v96, v90
	;;#ASMEND
	;; [unrolled: 3-line block ×32, first 2 shown]
	ds_read_b128 v[91:94], v14 offset:32
	ds_read_b128 v[1:4], v14 offset:2592
	;; [unrolled: 1-line block ×10, first 2 shown]
	s_waitcnt lgkmcnt(7)
	;;#ASMSTART
	v_dot2_f32_f16 v88, v91, v95, v88
	;;#ASMEND
	;;#ASMSTART
	v_dot2_f32_f16 v88, v92, v96, v88
	;;#ASMEND
	;;#ASMSTART
	v_dot2_f32_f16 v88, v93, v97, v88
	;;#ASMEND
	;;#ASMSTART
	v_dot2_f32_f16 v88, v94, v98, v88
	;;#ASMEND
	s_waitcnt lgkmcnt(6)
	;;#ASMSTART
	v_dot2_f32_f16 v86, v91, v99, v86
	;;#ASMEND
	;;#ASMSTART
	v_dot2_f32_f16 v86, v92, v100, v86
	;;#ASMEND
	;;#ASMSTART
	v_dot2_f32_f16 v86, v93, v101, v86
	;;#ASMEND
	;;#ASMSTART
	v_dot2_f32_f16 v86, v94, v102, v86
	;;#ASMEND
	;; [unrolled: 13-line block ×8, first 2 shown]
	;;#ASMSTART
	v_dot2_f32_f16 v90, v1, v95, v90
	;;#ASMEND
	;;#ASMSTART
	v_dot2_f32_f16 v90, v2, v96, v90
	;;#ASMEND
	;; [unrolled: 3-line block ×32, first 2 shown]
	ds_read_b128 v[91:94], v14 offset:48
	ds_read_b128 v[1:4], v14 offset:2608
	ds_read_b128 v[95:98], v9 offset:112
	ds_read_b128 v[99:102], v9 offset:368
	ds_read_b128 v[103:106], v9 offset:624
	ds_read_b128 v[107:110], v9 offset:880
	ds_read_b128 v[111:114], v9 offset:1136
	ds_read_b128 v[115:118], v9 offset:1392
	ds_read_b128 v[119:122], v9 offset:1648
	ds_read_b128 v[123:126], v9 offset:1904
	s_waitcnt lgkmcnt(7)
	;;#ASMSTART
	v_dot2_f32_f16 v88, v91, v95, v88
	;;#ASMEND
	;;#ASMSTART
	v_dot2_f32_f16 v88, v92, v96, v88
	;;#ASMEND
	;;#ASMSTART
	v_dot2_f32_f16 v88, v93, v97, v88
	;;#ASMEND
	;;#ASMSTART
	v_dot2_f32_f16 v88, v94, v98, v88
	;;#ASMEND
	s_waitcnt lgkmcnt(6)
	;;#ASMSTART
	v_dot2_f32_f16 v86, v91, v99, v86
	;;#ASMEND
	;;#ASMSTART
	v_dot2_f32_f16 v86, v92, v100, v86
	;;#ASMEND
	;;#ASMSTART
	v_dot2_f32_f16 v86, v93, v101, v86
	;;#ASMEND
	;;#ASMSTART
	v_dot2_f32_f16 v86, v94, v102, v86
	;;#ASMEND
	;; [unrolled: 13-line block ×8, first 2 shown]
	;;#ASMSTART
	v_dot2_f32_f16 v90, v1, v95, v90
	;;#ASMEND
	;;#ASMSTART
	v_dot2_f32_f16 v90, v2, v96, v90
	;;#ASMEND
	;;#ASMSTART
	v_dot2_f32_f16 v90, v3, v97, v90
	;;#ASMEND
	;;#ASMSTART
	v_dot2_f32_f16 v90, v4, v98, v90
	;;#ASMEND
	;;#ASMSTART
	v_dot2_f32_f16 v87, v1, v99, v87
	;;#ASMEND
	;;#ASMSTART
	v_dot2_f32_f16 v87, v2, v100, v87
	;;#ASMEND
	;;#ASMSTART
	v_dot2_f32_f16 v87, v3, v101, v87
	;;#ASMEND
	;;#ASMSTART
	v_dot2_f32_f16 v87, v4, v102, v87
	;;#ASMEND
	;;#ASMSTART
	v_dot2_f32_f16 v85, v1, v103, v85
	;;#ASMEND
	;;#ASMSTART
	v_dot2_f32_f16 v85, v2, v104, v85
	;;#ASMEND
	;;#ASMSTART
	v_dot2_f32_f16 v85, v3, v105, v85
	;;#ASMEND
	;;#ASMSTART
	v_dot2_f32_f16 v85, v4, v106, v85
	;;#ASMEND
	;;#ASMSTART
	v_dot2_f32_f16 v84, v1, v107, v84
	;;#ASMEND
	;;#ASMSTART
	v_dot2_f32_f16 v84, v2, v108, v84
	;;#ASMEND
	;;#ASMSTART
	v_dot2_f32_f16 v84, v3, v109, v84
	;;#ASMEND
	;;#ASMSTART
	v_dot2_f32_f16 v84, v4, v110, v84
	;;#ASMEND
	;;#ASMSTART
	v_dot2_f32_f16 v81, v1, v111, v81
	;;#ASMEND
	;;#ASMSTART
	v_dot2_f32_f16 v81, v2, v112, v81
	;;#ASMEND
	;;#ASMSTART
	v_dot2_f32_f16 v81, v3, v113, v81
	;;#ASMEND
	;;#ASMSTART
	v_dot2_f32_f16 v81, v4, v114, v81
	;;#ASMEND
	;;#ASMSTART
	v_dot2_f32_f16 v79, v1, v115, v79
	;;#ASMEND
	;;#ASMSTART
	v_dot2_f32_f16 v79, v2, v116, v79
	;;#ASMEND
	;;#ASMSTART
	v_dot2_f32_f16 v79, v3, v117, v79
	;;#ASMEND
	;;#ASMSTART
	v_dot2_f32_f16 v79, v4, v118, v79
	;;#ASMEND
	;;#ASMSTART
	v_dot2_f32_f16 v77, v1, v119, v77
	;;#ASMEND
	;;#ASMSTART
	v_dot2_f32_f16 v77, v2, v120, v77
	;;#ASMEND
	;;#ASMSTART
	v_dot2_f32_f16 v77, v3, v121, v77
	;;#ASMEND
	;;#ASMSTART
	v_dot2_f32_f16 v77, v4, v122, v77
	;;#ASMEND
	;;#ASMSTART
	v_dot2_f32_f16 v8, v1, v123, v8
	;;#ASMEND
	;;#ASMSTART
	v_dot2_f32_f16 v8, v2, v124, v8
	;;#ASMEND
	;;#ASMSTART
	v_dot2_f32_f16 v8, v3, v125, v8
	;;#ASMEND
	;;#ASMSTART
	v_dot2_f32_f16 v8, v4, v126, v8
	;;#ASMEND
	s_barrier
	global_load_dwordx4 v[1:4], v[5:6], off offset:128
	s_waitcnt vmcnt(0)
	ds_write_b128 v11, v[1:4]
	s_waitcnt lgkmcnt(0)
	s_barrier
	ds_read_b128 v[91:94], v14
	ds_read_b128 v[1:4], v14 offset:2560
	ds_read_b128 v[95:98], v9 offset:128
	;; [unrolled: 1-line block ×9, first 2 shown]
	s_waitcnt lgkmcnt(7)
	;;#ASMSTART
	v_dot2_f32_f16 v88, v91, v95, v88
	;;#ASMEND
	;;#ASMSTART
	v_dot2_f32_f16 v88, v92, v96, v88
	;;#ASMEND
	;;#ASMSTART
	v_dot2_f32_f16 v88, v93, v97, v88
	;;#ASMEND
	;;#ASMSTART
	v_dot2_f32_f16 v88, v94, v98, v88
	;;#ASMEND
	s_waitcnt lgkmcnt(6)
	;;#ASMSTART
	v_dot2_f32_f16 v86, v91, v99, v86
	;;#ASMEND
	;;#ASMSTART
	v_dot2_f32_f16 v86, v92, v100, v86
	;;#ASMEND
	;;#ASMSTART
	v_dot2_f32_f16 v86, v93, v101, v86
	;;#ASMEND
	;;#ASMSTART
	v_dot2_f32_f16 v86, v94, v102, v86
	;;#ASMEND
	s_waitcnt lgkmcnt(5)
	;;#ASMSTART
	v_dot2_f32_f16 v83, v91, v103, v83
	;;#ASMEND
	;;#ASMSTART
	v_dot2_f32_f16 v83, v92, v104, v83
	;;#ASMEND
	;;#ASMSTART
	v_dot2_f32_f16 v83, v93, v105, v83
	;;#ASMEND
	;;#ASMSTART
	v_dot2_f32_f16 v83, v94, v106, v83
	;;#ASMEND
	s_waitcnt lgkmcnt(4)
	;;#ASMSTART
	v_dot2_f32_f16 v82, v91, v107, v82
	;;#ASMEND
	;;#ASMSTART
	v_dot2_f32_f16 v82, v92, v108, v82
	;;#ASMEND
	;;#ASMSTART
	v_dot2_f32_f16 v82, v93, v109, v82
	;;#ASMEND
	;;#ASMSTART
	v_dot2_f32_f16 v82, v94, v110, v82
	;;#ASMEND
	s_waitcnt lgkmcnt(3)
	;;#ASMSTART
	v_dot2_f32_f16 v80, v91, v111, v80
	;;#ASMEND
	;;#ASMSTART
	v_dot2_f32_f16 v80, v92, v112, v80
	;;#ASMEND
	;;#ASMSTART
	v_dot2_f32_f16 v80, v93, v113, v80
	;;#ASMEND
	;;#ASMSTART
	v_dot2_f32_f16 v80, v94, v114, v80
	;;#ASMEND
	s_waitcnt lgkmcnt(2)
	;;#ASMSTART
	v_dot2_f32_f16 v78, v91, v115, v78
	;;#ASMEND
	;;#ASMSTART
	v_dot2_f32_f16 v78, v92, v116, v78
	;;#ASMEND
	;;#ASMSTART
	v_dot2_f32_f16 v78, v93, v117, v78
	;;#ASMEND
	;;#ASMSTART
	v_dot2_f32_f16 v78, v94, v118, v78
	;;#ASMEND
	s_waitcnt lgkmcnt(1)
	;;#ASMSTART
	v_dot2_f32_f16 v76, v91, v119, v76
	;;#ASMEND
	;;#ASMSTART
	v_dot2_f32_f16 v76, v92, v120, v76
	;;#ASMEND
	;;#ASMSTART
	v_dot2_f32_f16 v76, v93, v121, v76
	;;#ASMEND
	;;#ASMSTART
	v_dot2_f32_f16 v76, v94, v122, v76
	;;#ASMEND
	s_waitcnt lgkmcnt(0)
	;;#ASMSTART
	v_dot2_f32_f16 v7, v91, v123, v7
	;;#ASMEND
	;;#ASMSTART
	v_dot2_f32_f16 v7, v92, v124, v7
	;;#ASMEND
	;;#ASMSTART
	v_dot2_f32_f16 v7, v93, v125, v7
	;;#ASMEND
	;;#ASMSTART
	v_dot2_f32_f16 v7, v94, v126, v7
	;;#ASMEND
	;;#ASMSTART
	v_dot2_f32_f16 v90, v1, v95, v90
	;;#ASMEND
	;;#ASMSTART
	v_dot2_f32_f16 v90, v2, v96, v90
	;;#ASMEND
	;; [unrolled: 3-line block ×32, first 2 shown]
	ds_read_b128 v[91:94], v14 offset:16
	ds_read_b128 v[1:4], v14 offset:2576
	;; [unrolled: 1-line block ×10, first 2 shown]
	s_waitcnt lgkmcnt(7)
	;;#ASMSTART
	v_dot2_f32_f16 v88, v91, v95, v88
	;;#ASMEND
	;;#ASMSTART
	v_dot2_f32_f16 v88, v92, v96, v88
	;;#ASMEND
	;;#ASMSTART
	v_dot2_f32_f16 v88, v93, v97, v88
	;;#ASMEND
	;;#ASMSTART
	v_dot2_f32_f16 v88, v94, v98, v88
	;;#ASMEND
	s_waitcnt lgkmcnt(6)
	;;#ASMSTART
	v_dot2_f32_f16 v86, v91, v99, v86
	;;#ASMEND
	;;#ASMSTART
	v_dot2_f32_f16 v86, v92, v100, v86
	;;#ASMEND
	;;#ASMSTART
	v_dot2_f32_f16 v86, v93, v101, v86
	;;#ASMEND
	;;#ASMSTART
	v_dot2_f32_f16 v86, v94, v102, v86
	;;#ASMEND
	;; [unrolled: 13-line block ×8, first 2 shown]
	;;#ASMSTART
	v_dot2_f32_f16 v90, v1, v95, v90
	;;#ASMEND
	;;#ASMSTART
	v_dot2_f32_f16 v90, v2, v96, v90
	;;#ASMEND
	;; [unrolled: 3-line block ×32, first 2 shown]
	ds_read_b128 v[91:94], v14 offset:32
	ds_read_b128 v[1:4], v14 offset:2592
	;; [unrolled: 1-line block ×10, first 2 shown]
	s_waitcnt lgkmcnt(7)
	;;#ASMSTART
	v_dot2_f32_f16 v88, v91, v95, v88
	;;#ASMEND
	;;#ASMSTART
	v_dot2_f32_f16 v88, v92, v96, v88
	;;#ASMEND
	;;#ASMSTART
	v_dot2_f32_f16 v88, v93, v97, v88
	;;#ASMEND
	;;#ASMSTART
	v_dot2_f32_f16 v88, v94, v98, v88
	;;#ASMEND
	s_waitcnt lgkmcnt(6)
	;;#ASMSTART
	v_dot2_f32_f16 v86, v91, v99, v86
	;;#ASMEND
	;;#ASMSTART
	v_dot2_f32_f16 v86, v92, v100, v86
	;;#ASMEND
	;;#ASMSTART
	v_dot2_f32_f16 v86, v93, v101, v86
	;;#ASMEND
	;;#ASMSTART
	v_dot2_f32_f16 v86, v94, v102, v86
	;;#ASMEND
	;; [unrolled: 13-line block ×8, first 2 shown]
	;;#ASMSTART
	v_dot2_f32_f16 v90, v1, v95, v90
	;;#ASMEND
	;;#ASMSTART
	v_dot2_f32_f16 v90, v2, v96, v90
	;;#ASMEND
	;; [unrolled: 3-line block ×32, first 2 shown]
	ds_read_b128 v[91:94], v14 offset:48
	ds_read_b128 v[1:4], v14 offset:2608
	;; [unrolled: 1-line block ×10, first 2 shown]
	s_waitcnt lgkmcnt(7)
	;;#ASMSTART
	v_dot2_f32_f16 v88, v91, v95, v88
	;;#ASMEND
	;;#ASMSTART
	v_dot2_f32_f16 v88, v92, v96, v88
	;;#ASMEND
	;;#ASMSTART
	v_dot2_f32_f16 v88, v93, v97, v88
	;;#ASMEND
	;;#ASMSTART
	v_dot2_f32_f16 v88, v94, v98, v88
	;;#ASMEND
	s_waitcnt lgkmcnt(6)
	;;#ASMSTART
	v_dot2_f32_f16 v86, v91, v99, v86
	;;#ASMEND
	;;#ASMSTART
	v_dot2_f32_f16 v86, v92, v100, v86
	;;#ASMEND
	;;#ASMSTART
	v_dot2_f32_f16 v86, v93, v101, v86
	;;#ASMEND
	;;#ASMSTART
	v_dot2_f32_f16 v86, v94, v102, v86
	;;#ASMEND
	s_waitcnt lgkmcnt(5)
	;;#ASMSTART
	v_dot2_f32_f16 v83, v91, v103, v83
	;;#ASMEND
	;;#ASMSTART
	v_dot2_f32_f16 v83, v92, v104, v83
	;;#ASMEND
	;;#ASMSTART
	v_dot2_f32_f16 v83, v93, v105, v83
	;;#ASMEND
	;;#ASMSTART
	v_dot2_f32_f16 v83, v94, v106, v83
	;;#ASMEND
	s_waitcnt lgkmcnt(4)
	;;#ASMSTART
	v_dot2_f32_f16 v82, v91, v107, v82
	;;#ASMEND
	;;#ASMSTART
	v_dot2_f32_f16 v82, v92, v108, v82
	;;#ASMEND
	;;#ASMSTART
	v_dot2_f32_f16 v82, v93, v109, v82
	;;#ASMEND
	;;#ASMSTART
	v_dot2_f32_f16 v82, v94, v110, v82
	;;#ASMEND
	s_waitcnt lgkmcnt(3)
	;;#ASMSTART
	v_dot2_f32_f16 v80, v91, v111, v80
	;;#ASMEND
	;;#ASMSTART
	v_dot2_f32_f16 v80, v92, v112, v80
	;;#ASMEND
	;;#ASMSTART
	v_dot2_f32_f16 v80, v93, v113, v80
	;;#ASMEND
	;;#ASMSTART
	v_dot2_f32_f16 v80, v94, v114, v80
	;;#ASMEND
	s_waitcnt lgkmcnt(2)
	;;#ASMSTART
	v_dot2_f32_f16 v78, v91, v115, v78
	;;#ASMEND
	;;#ASMSTART
	v_dot2_f32_f16 v78, v92, v116, v78
	;;#ASMEND
	;;#ASMSTART
	v_dot2_f32_f16 v78, v93, v117, v78
	;;#ASMEND
	;;#ASMSTART
	v_dot2_f32_f16 v78, v94, v118, v78
	;;#ASMEND
	s_waitcnt lgkmcnt(1)
	;;#ASMSTART
	v_dot2_f32_f16 v76, v91, v119, v76
	;;#ASMEND
	;;#ASMSTART
	v_dot2_f32_f16 v76, v92, v120, v76
	;;#ASMEND
	;;#ASMSTART
	v_dot2_f32_f16 v76, v93, v121, v76
	;;#ASMEND
	;;#ASMSTART
	v_dot2_f32_f16 v76, v94, v122, v76
	;;#ASMEND
	s_waitcnt lgkmcnt(0)
	;;#ASMSTART
	v_dot2_f32_f16 v7, v91, v123, v7
	;;#ASMEND
	;;#ASMSTART
	v_dot2_f32_f16 v7, v92, v124, v7
	;;#ASMEND
	;;#ASMSTART
	v_dot2_f32_f16 v7, v93, v125, v7
	;;#ASMEND
	;;#ASMSTART
	v_dot2_f32_f16 v7, v94, v126, v7
	;;#ASMEND
	;;#ASMSTART
	v_dot2_f32_f16 v90, v1, v95, v90
	;;#ASMEND
	;;#ASMSTART
	v_dot2_f32_f16 v90, v2, v96, v90
	;;#ASMEND
	;; [unrolled: 3-line block ×32, first 2 shown]
	s_barrier
	global_load_dwordx4 v[1:4], v[5:6], off offset:192
	s_waitcnt vmcnt(0)
	ds_write_b128 v11, v[1:4]
	s_waitcnt lgkmcnt(0)
	s_barrier
	ds_read_b128 v[91:94], v14
	ds_read_b128 v[1:4], v14 offset:2560
	ds_read_b128 v[95:98], v9 offset:192
	;; [unrolled: 1-line block ×9, first 2 shown]
	s_waitcnt lgkmcnt(7)
	;;#ASMSTART
	v_dot2_f32_f16 v88, v91, v95, v88
	;;#ASMEND
	;;#ASMSTART
	v_dot2_f32_f16 v88, v92, v96, v88
	;;#ASMEND
	;;#ASMSTART
	v_dot2_f32_f16 v88, v93, v97, v88
	;;#ASMEND
	;;#ASMSTART
	v_dot2_f32_f16 v88, v94, v98, v88
	;;#ASMEND
	s_waitcnt lgkmcnt(6)
	;;#ASMSTART
	v_dot2_f32_f16 v86, v91, v99, v86
	;;#ASMEND
	;;#ASMSTART
	v_dot2_f32_f16 v86, v92, v100, v86
	;;#ASMEND
	;;#ASMSTART
	v_dot2_f32_f16 v86, v93, v101, v86
	;;#ASMEND
	;;#ASMSTART
	v_dot2_f32_f16 v86, v94, v102, v86
	;;#ASMEND
	;; [unrolled: 13-line block ×8, first 2 shown]
	;;#ASMSTART
	v_dot2_f32_f16 v90, v1, v95, v90
	;;#ASMEND
	;;#ASMSTART
	v_dot2_f32_f16 v90, v2, v96, v90
	;;#ASMEND
	;; [unrolled: 3-line block ×32, first 2 shown]
	ds_read_b128 v[91:94], v14 offset:16
	ds_read_b128 v[1:4], v14 offset:2576
	;; [unrolled: 1-line block ×10, first 2 shown]
	s_waitcnt lgkmcnt(7)
	;;#ASMSTART
	v_dot2_f32_f16 v88, v91, v95, v88
	;;#ASMEND
	;;#ASMSTART
	v_dot2_f32_f16 v88, v92, v96, v88
	;;#ASMEND
	;;#ASMSTART
	v_dot2_f32_f16 v88, v93, v97, v88
	;;#ASMEND
	;;#ASMSTART
	v_dot2_f32_f16 v88, v94, v98, v88
	;;#ASMEND
	s_waitcnt lgkmcnt(6)
	;;#ASMSTART
	v_dot2_f32_f16 v86, v91, v99, v86
	;;#ASMEND
	;;#ASMSTART
	v_dot2_f32_f16 v86, v92, v100, v86
	;;#ASMEND
	;;#ASMSTART
	v_dot2_f32_f16 v86, v93, v101, v86
	;;#ASMEND
	;;#ASMSTART
	v_dot2_f32_f16 v86, v94, v102, v86
	;;#ASMEND
	;; [unrolled: 13-line block ×8, first 2 shown]
	;;#ASMSTART
	v_dot2_f32_f16 v90, v1, v95, v90
	;;#ASMEND
	;;#ASMSTART
	v_dot2_f32_f16 v90, v2, v96, v90
	;;#ASMEND
	;; [unrolled: 3-line block ×32, first 2 shown]
	ds_read_b128 v[91:94], v14 offset:32
	ds_read_b128 v[1:4], v14 offset:2592
	;; [unrolled: 1-line block ×10, first 2 shown]
	s_waitcnt lgkmcnt(7)
	;;#ASMSTART
	v_dot2_f32_f16 v88, v91, v95, v88
	;;#ASMEND
	;;#ASMSTART
	v_dot2_f32_f16 v88, v92, v96, v88
	;;#ASMEND
	;;#ASMSTART
	v_dot2_f32_f16 v88, v93, v97, v88
	;;#ASMEND
	;;#ASMSTART
	v_dot2_f32_f16 v88, v94, v98, v88
	;;#ASMEND
	s_waitcnt lgkmcnt(6)
	;;#ASMSTART
	v_dot2_f32_f16 v86, v91, v99, v86
	;;#ASMEND
	;;#ASMSTART
	v_dot2_f32_f16 v86, v92, v100, v86
	;;#ASMEND
	;;#ASMSTART
	v_dot2_f32_f16 v86, v93, v101, v86
	;;#ASMEND
	;;#ASMSTART
	v_dot2_f32_f16 v86, v94, v102, v86
	;;#ASMEND
	;; [unrolled: 13-line block ×8, first 2 shown]
	;;#ASMSTART
	v_dot2_f32_f16 v90, v1, v95, v90
	;;#ASMEND
	;;#ASMSTART
	v_dot2_f32_f16 v90, v2, v96, v90
	;;#ASMEND
	;; [unrolled: 3-line block ×32, first 2 shown]
	ds_read_b128 v[91:94], v14 offset:48
	ds_read_b128 v[1:4], v14 offset:2608
	;; [unrolled: 1-line block ×10, first 2 shown]
	s_waitcnt lgkmcnt(7)
	;;#ASMSTART
	v_dot2_f32_f16 v88, v91, v95, v88
	;;#ASMEND
	;;#ASMSTART
	v_dot2_f32_f16 v88, v92, v96, v88
	;;#ASMEND
	;;#ASMSTART
	v_dot2_f32_f16 v88, v93, v97, v88
	;;#ASMEND
	;;#ASMSTART
	v_dot2_f32_f16 v88, v94, v98, v88
	;;#ASMEND
	s_waitcnt lgkmcnt(6)
	;;#ASMSTART
	v_dot2_f32_f16 v86, v91, v99, v86
	;;#ASMEND
	;;#ASMSTART
	v_dot2_f32_f16 v86, v92, v100, v86
	;;#ASMEND
	;;#ASMSTART
	v_dot2_f32_f16 v86, v93, v101, v86
	;;#ASMEND
	;;#ASMSTART
	v_dot2_f32_f16 v86, v94, v102, v86
	;;#ASMEND
	;; [unrolled: 13-line block ×8, first 2 shown]
	;;#ASMSTART
	v_dot2_f32_f16 v90, v1, v95, v90
	;;#ASMEND
	;;#ASMSTART
	v_dot2_f32_f16 v90, v2, v96, v90
	;;#ASMEND
	;; [unrolled: 3-line block ×31, first 2 shown]
	v_cmp_nlt_f32_e64 s[8:9], |v88|, s10
	;;#ASMSTART
	v_dot2_f32_f16 v8, v4, v126, v8
	;;#ASMEND
                                        ; implicit-def: $vgpr3
	s_and_saveexec_b64 s[26:27], s[8:9]
	s_xor_b64 s[8:9], exec, s[26:27]
	s_cbranch_execz .LBB80_14
; %bb.13:                               ;   in Loop: Header=BB80_12 Depth=1
	v_add_f32_e64 v1, |v88|, |v88|
	v_mul_f32_e32 v2, 0x3fb8aa3b, v1
	v_rndne_f32_e32 v3, v2
	v_sub_f32_e32 v4, v2, v3
	v_fma_f32 v2, v1, s11, -v2
	v_fmac_f32_e32 v2, 0x32a5705f, v1
	v_add_f32_e32 v2, v4, v2
	v_cvt_i32_f32_e32 v3, v3
	v_exp_f32_e32 v2, v2
	v_cmp_ngt_f32_e32 vcc, s12, v1
	v_ldexp_f32 v2, v2, v3
	v_cndmask_b32_e32 v2, 0, v2, vcc
	v_cmp_nlt_f32_e32 vcc, s13, v1
	v_cndmask_b32_e32 v1, v28, v2, vcc
	v_add_f32_e32 v1, 1.0, v1
	v_rcp_f32_e32 v1, v1
	v_fma_f32 v3, v1, -2.0, 1.0
.LBB80_14:                              ;   in Loop: Header=BB80_12 Depth=1
	s_andn2_saveexec_b64 s[8:9], s[8:9]
; %bb.15:                               ;   in Loop: Header=BB80_12 Depth=1
	v_mul_f32_e32 v1, v88, v88
	v_mov_b32_e32 v2, 0x3ca908c9
	v_fmac_f32_e32 v2, 0xbbbac73d, v1
	v_fma_f32 v2, v1, v2, v24
	v_fma_f32 v2, v1, v2, v25
	;; [unrolled: 1-line block ×3, first 2 shown]
	v_mul_f32_e64 v2, |v88|, v2
	v_fma_f32 v3, v1, v2, |v88|
; %bb.16:                               ;   in Loop: Header=BB80_12 Depth=1
	s_or_b64 exec, exec, s[8:9]
	v_add_u32_e32 v5, s6, v0
	v_add_u32_e32 v1, v5, v15
	v_ashrrev_i32_e32 v2, 31, v1
	v_lshlrev_b64 v[1:2], 1, v[1:2]
	v_mov_b32_e32 v4, s35
	v_add_co_u32_e32 v1, vcc, s34, v1
	v_addc_co_u32_e32 v2, vcc, v4, v2, vcc
	global_load_ushort v6, v[1:2], off
	v_cmp_nlt_f32_e64 s[8:9], |v90|, s10
                                        ; implicit-def: $vgpr4
	s_and_saveexec_b64 s[26:27], s[8:9]
	s_xor_b64 s[8:9], exec, s[26:27]
	s_cbranch_execz .LBB80_18
; %bb.17:                               ;   in Loop: Header=BB80_12 Depth=1
	v_add_f32_e64 v4, |v90|, |v90|
	v_mul_f32_e32 v89, 0x3fb8aa3b, v4
	v_rndne_f32_e32 v91, v89
	v_sub_f32_e32 v92, v89, v91
	v_fma_f32 v89, v4, s11, -v89
	v_fmac_f32_e32 v89, 0x32a5705f, v4
	v_add_f32_e32 v89, v92, v89
	v_cvt_i32_f32_e32 v91, v91
	v_exp_f32_e32 v89, v89
	v_cmp_ngt_f32_e32 vcc, s12, v4
	v_ldexp_f32 v89, v89, v91
	v_cndmask_b32_e32 v89, 0, v89, vcc
	v_cmp_nlt_f32_e32 vcc, s13, v4
	v_cndmask_b32_e32 v4, v28, v89, vcc
	v_add_f32_e32 v4, 1.0, v4
	v_rcp_f32_e32 v4, v4
	v_fma_f32 v4, v4, -2.0, 1.0
.LBB80_18:                              ;   in Loop: Header=BB80_12 Depth=1
	s_andn2_saveexec_b64 s[8:9], s[8:9]
; %bb.19:                               ;   in Loop: Header=BB80_12 Depth=1
	v_mul_f32_e32 v4, v90, v90
	v_mov_b32_e32 v89, 0x3ca908c9
	v_fmac_f32_e32 v89, 0xbbbac73d, v4
	v_fma_f32 v89, v4, v89, v24
	v_fma_f32 v89, v4, v89, v25
	;; [unrolled: 1-line block ×3, first 2 shown]
	v_mul_f32_e64 v89, |v90|, v89
	v_fma_f32 v4, v4, v89, |v90|
; %bb.20:                               ;   in Loop: Header=BB80_12 Depth=1
	s_or_b64 exec, exec, s[8:9]
	global_load_ushort v1, v[1:2], off offset:64
	v_bfi_b32 v2, s24, v3, v88
	v_and_b32_e32 v3, 0x60, v10
	v_add_u32_e32 v88, 32, v3
	v_xor_b32_e32 v89, 16, v10
	v_bfi_b32 v4, s24, v4, v90
	s_waitcnt vmcnt(1)
	v_fma_mix_f32 v95, s15, v2, v6 op_sel_hi:[0,0,1]
	v_cmp_lt_i32_e32 vcc, v89, v88
	v_add_f32_e32 v2, 0x40051340, v95
	v_cndmask_b32_e32 v3, v10, v89, vcc
	v_lshlrev_b32_e32 v3, 2, v3
	v_xor_b32_e32 v92, 8, v10
	v_cmp_lt_i32_e32 vcc, v92, v88
	v_cmp_nlt_f32_e64 s[8:9], |v86|, s10
	s_waitcnt vmcnt(0)
	v_fma_mix_f32 v94, s15, v4, v1 op_sel_hi:[0,0,1]
	v_add_f32_e32 v4, 0x40051340, v94
	v_max3_f32 v2, v75, v2, v4
	ds_bpermute_b32 v90, v3, v2
	v_cndmask_b32_e32 v4, v10, v92, vcc
	v_lshlrev_b32_e32 v4, 2, v4
	s_waitcnt lgkmcnt(0)
	v_max_f32_e32 v90, v90, v90
	v_max_f32_e32 v2, v2, v90
	ds_bpermute_b32 v91, v4, v2
	v_xor_b32_e32 v90, 4, v10
	v_cmp_lt_i32_e32 vcc, v90, v88
	v_cndmask_b32_e32 v93, v10, v90, vcc
	v_lshlrev_b32_e32 v97, 2, v93
	s_waitcnt lgkmcnt(0)
	v_max_f32_e32 v91, v91, v91
	v_max_f32_e32 v2, v2, v91
	ds_bpermute_b32 v91, v97, v2
	v_xor_b32_e32 v93, 2, v10
	v_cmp_lt_i32_e32 vcc, v93, v88
	;; [unrolled: 8-line block ×3, first 2 shown]
	v_cndmask_b32_e32 v99, v10, v91, vcc
	v_lshlrev_b32_e32 v99, 2, v99
	s_waitcnt lgkmcnt(0)
	v_max_f32_e32 v96, v96, v96
	v_max_f32_e32 v96, v2, v96
	ds_bpermute_b32 v100, v99, v96
                                        ; implicit-def: $vgpr2
	s_and_saveexec_b64 s[26:27], s[8:9]
	s_xor_b64 s[8:9], exec, s[26:27]
	s_cbranch_execz .LBB80_22
; %bb.21:                               ;   in Loop: Header=BB80_12 Depth=1
	v_add_f32_e64 v2, |v86|, |v86|
	v_mul_f32_e32 v101, 0x3fb8aa3b, v2
	v_rndne_f32_e32 v102, v101
	v_sub_f32_e32 v103, v101, v102
	v_fma_f32 v101, v2, s11, -v101
	v_fmac_f32_e32 v101, 0x32a5705f, v2
	v_add_f32_e32 v101, v103, v101
	v_cvt_i32_f32_e32 v102, v102
	v_exp_f32_e32 v101, v101
	v_cmp_ngt_f32_e32 vcc, s12, v2
	v_ldexp_f32 v101, v101, v102
	v_cndmask_b32_e32 v101, 0, v101, vcc
	v_cmp_nlt_f32_e32 vcc, s13, v2
	v_cndmask_b32_e32 v2, v28, v101, vcc
	v_add_f32_e32 v2, 1.0, v2
	v_rcp_f32_e32 v2, v2
	v_fma_f32 v2, v2, -2.0, 1.0
.LBB80_22:                              ;   in Loop: Header=BB80_12 Depth=1
	s_andn2_saveexec_b64 s[8:9], s[8:9]
; %bb.23:                               ;   in Loop: Header=BB80_12 Depth=1
	v_mul_f32_e32 v2, v86, v86
	v_mov_b32_e32 v101, 0x3ca908c9
	v_fmac_f32_e32 v101, 0xbbbac73d, v2
	v_fma_f32 v101, v2, v101, v24
	v_fma_f32 v101, v2, v101, v25
	;; [unrolled: 1-line block ×3, first 2 shown]
	v_mul_f32_e64 v101, |v86|, v101
	v_fma_f32 v2, v2, v101, |v86|
; %bb.24:                               ;   in Loop: Header=BB80_12 Depth=1
	s_or_b64 exec, exec, s[8:9]
	v_cmp_nlt_f32_e64 s[8:9], |v87|, s10
                                        ; implicit-def: $vgpr103
	s_and_saveexec_b64 s[26:27], s[8:9]
	s_xor_b64 s[8:9], exec, s[26:27]
	s_cbranch_execz .LBB80_26
; %bb.25:                               ;   in Loop: Header=BB80_12 Depth=1
	v_add_f32_e64 v101, |v87|, |v87|
	v_mul_f32_e32 v102, 0x3fb8aa3b, v101
	v_rndne_f32_e32 v103, v102
	v_sub_f32_e32 v104, v102, v103
	v_fma_f32 v102, v101, s11, -v102
	v_fmac_f32_e32 v102, 0x32a5705f, v101
	v_add_f32_e32 v102, v104, v102
	v_cvt_i32_f32_e32 v103, v103
	v_exp_f32_e32 v102, v102
	v_cmp_ngt_f32_e32 vcc, s12, v101
	v_ldexp_f32 v102, v102, v103
	v_cndmask_b32_e32 v102, 0, v102, vcc
	v_cmp_nlt_f32_e32 vcc, s13, v101
	v_cndmask_b32_e32 v101, v28, v102, vcc
	v_add_f32_e32 v101, 1.0, v101
	v_rcp_f32_e32 v101, v101
	v_fma_f32 v103, v101, -2.0, 1.0
.LBB80_26:                              ;   in Loop: Header=BB80_12 Depth=1
	s_andn2_saveexec_b64 s[8:9], s[8:9]
; %bb.27:                               ;   in Loop: Header=BB80_12 Depth=1
	v_mul_f32_e32 v101, v87, v87
	v_mov_b32_e32 v102, 0x3ca908c9
	v_fmac_f32_e32 v102, 0xbbbac73d, v101
	v_fma_f32 v102, v101, v102, v24
	v_fma_f32 v102, v101, v102, v25
	;; [unrolled: 1-line block ×3, first 2 shown]
	v_mul_f32_e64 v102, |v87|, v102
	v_fma_f32 v103, v101, v102, |v87|
; %bb.28:                               ;   in Loop: Header=BB80_12 Depth=1
	s_or_b64 exec, exec, s[8:9]
	v_cvt_f32_f16_e32 v102, v6
	v_cvt_f32_f16_e32 v101, v1
	v_bfi_b32 v1, s24, v2, v86
	v_bfi_b32 v2, s24, v103, v87
	v_fmac_f32_e32 v102, s15, v1
	v_fmac_f32_e32 v101, s15, v2
	v_add_f32_e32 v1, 0x40051340, v102
	v_add_f32_e32 v2, 0x40051340, v101
	v_max3_f32 v1, v74, v1, v2
	ds_bpermute_b32 v2, v3, v1
	v_cmp_nlt_f32_e64 s[8:9], |v83|, s10
                                        ; implicit-def: $vgpr86
	s_waitcnt lgkmcnt(0)
	v_max_f32_e32 v2, v2, v2
	v_max_f32_e32 v1, v1, v2
	ds_bpermute_b32 v2, v4, v1
	s_waitcnt lgkmcnt(0)
	v_max_f32_e32 v2, v2, v2
	v_max_f32_e32 v1, v1, v2
	ds_bpermute_b32 v2, v97, v1
	;; [unrolled: 4-line block ×4, first 2 shown]
	s_and_saveexec_b64 s[26:27], s[8:9]
	s_xor_b64 s[8:9], exec, s[26:27]
	s_cbranch_execz .LBB80_30
; %bb.29:                               ;   in Loop: Header=BB80_12 Depth=1
	v_add_f32_e64 v1, |v83|, |v83|
	v_mul_f32_e32 v2, 0x3fb8aa3b, v1
	v_rndne_f32_e32 v6, v2
	v_sub_f32_e32 v86, v2, v6
	v_fma_f32 v2, v1, s11, -v2
	v_fmac_f32_e32 v2, 0x32a5705f, v1
	v_add_f32_e32 v2, v86, v2
	v_cvt_i32_f32_e32 v6, v6
	v_exp_f32_e32 v2, v2
	v_cmp_ngt_f32_e32 vcc, s12, v1
	v_ldexp_f32 v2, v2, v6
	v_cndmask_b32_e32 v2, 0, v2, vcc
	v_cmp_nlt_f32_e32 vcc, s13, v1
	v_cndmask_b32_e32 v1, v28, v2, vcc
	v_add_f32_e32 v1, 1.0, v1
	v_rcp_f32_e32 v1, v1
	v_fma_f32 v86, v1, -2.0, 1.0
.LBB80_30:                              ;   in Loop: Header=BB80_12 Depth=1
	s_andn2_saveexec_b64 s[8:9], s[8:9]
; %bb.31:                               ;   in Loop: Header=BB80_12 Depth=1
	v_mul_f32_e32 v1, v83, v83
	v_mov_b32_e32 v2, 0x3ca908c9
	v_fmac_f32_e32 v2, 0xbbbac73d, v1
	v_fma_f32 v2, v1, v2, v24
	v_fma_f32 v2, v1, v2, v25
	;; [unrolled: 1-line block ×3, first 2 shown]
	v_mul_f32_e64 v2, |v83|, v2
	v_fma_f32 v86, v1, v2, |v83|
; %bb.32:                               ;   in Loop: Header=BB80_12 Depth=1
	s_or_b64 exec, exec, s[8:9]
	v_add_u32_e32 v1, v5, v16
	v_ashrrev_i32_e32 v2, 31, v1
	v_lshlrev_b64 v[1:2], 1, v[1:2]
	v_mov_b32_e32 v6, s35
	v_add_co_u32_e32 v1, vcc, s34, v1
	v_addc_co_u32_e32 v2, vcc, v6, v2, vcc
	global_load_ushort v6, v[1:2], off
	v_cmp_nlt_f32_e64 s[8:9], |v85|, s10
                                        ; implicit-def: $vgpr104
	s_and_saveexec_b64 s[26:27], s[8:9]
	s_xor_b64 s[8:9], exec, s[26:27]
	s_cbranch_execz .LBB80_34
; %bb.33:                               ;   in Loop: Header=BB80_12 Depth=1
	v_add_f32_e64 v104, |v85|, |v85|
	v_mul_f32_e32 v105, 0x3fb8aa3b, v104
	v_rndne_f32_e32 v106, v105
	v_sub_f32_e32 v107, v105, v106
	v_fma_f32 v105, v104, s11, -v105
	v_fmac_f32_e32 v105, 0x32a5705f, v104
	v_add_f32_e32 v105, v107, v105
	v_cvt_i32_f32_e32 v106, v106
	v_exp_f32_e32 v105, v105
	v_cmp_ngt_f32_e32 vcc, s12, v104
	v_ldexp_f32 v105, v105, v106
	v_cndmask_b32_e32 v105, 0, v105, vcc
	v_cmp_nlt_f32_e32 vcc, s13, v104
	v_cndmask_b32_e32 v104, v28, v105, vcc
	v_add_f32_e32 v104, 1.0, v104
	v_rcp_f32_e32 v104, v104
	v_fma_f32 v104, v104, -2.0, 1.0
.LBB80_34:                              ;   in Loop: Header=BB80_12 Depth=1
	s_andn2_saveexec_b64 s[8:9], s[8:9]
; %bb.35:                               ;   in Loop: Header=BB80_12 Depth=1
	v_mul_f32_e32 v104, v85, v85
	v_mov_b32_e32 v105, 0x3ca908c9
	v_fmac_f32_e32 v105, 0xbbbac73d, v104
	v_fma_f32 v105, v104, v105, v24
	v_fma_f32 v105, v104, v105, v25
	;; [unrolled: 1-line block ×3, first 2 shown]
	v_mul_f32_e64 v105, |v85|, v105
	v_fma_f32 v104, v104, v105, |v85|
; %bb.36:                               ;   in Loop: Header=BB80_12 Depth=1
	s_or_b64 exec, exec, s[8:9]
	global_load_ushort v1, v[1:2], off offset:64
	v_bfi_b32 v2, s24, v86, v83
	v_bfi_b32 v83, s24, v104, v85
	s_waitcnt vmcnt(1)
	v_fma_mix_f32 v86, s15, v2, v6 op_sel_hi:[0,0,1]
	v_add_f32_e32 v2, 0x40051340, v86
	v_cmp_nlt_f32_e64 s[8:9], |v82|, s10
	s_waitcnt vmcnt(0)
	v_fma_mix_f32 v83, s15, v83, v1 op_sel_hi:[0,0,1]
	v_add_f32_e32 v85, 0x40051340, v83
	v_max3_f32 v2, v72, v2, v85
	ds_bpermute_b32 v85, v3, v2
	s_waitcnt lgkmcnt(0)
	v_max_f32_e32 v85, v85, v85
	v_max_f32_e32 v2, v2, v85
	ds_bpermute_b32 v85, v4, v2
	s_waitcnt lgkmcnt(0)
	v_max_f32_e32 v85, v85, v85
	v_max_f32_e32 v2, v2, v85
	;; [unrolled: 4-line block ×4, first 2 shown]
	ds_bpermute_b32 v106, v99, v105
                                        ; implicit-def: $vgpr2
	s_and_saveexec_b64 s[26:27], s[8:9]
	s_xor_b64 s[8:9], exec, s[26:27]
	s_cbranch_execz .LBB80_38
; %bb.37:                               ;   in Loop: Header=BB80_12 Depth=1
	v_add_f32_e64 v2, |v82|, |v82|
	v_mul_f32_e32 v85, 0x3fb8aa3b, v2
	v_rndne_f32_e32 v104, v85
	v_sub_f32_e32 v107, v85, v104
	v_fma_f32 v85, v2, s11, -v85
	v_fmac_f32_e32 v85, 0x32a5705f, v2
	v_add_f32_e32 v85, v107, v85
	v_cvt_i32_f32_e32 v104, v104
	v_exp_f32_e32 v85, v85
	v_cmp_ngt_f32_e32 vcc, s12, v2
	v_ldexp_f32 v85, v85, v104
	v_cndmask_b32_e32 v85, 0, v85, vcc
	v_cmp_nlt_f32_e32 vcc, s13, v2
	v_cndmask_b32_e32 v2, v28, v85, vcc
	v_add_f32_e32 v2, 1.0, v2
	v_rcp_f32_e32 v2, v2
	v_fma_f32 v2, v2, -2.0, 1.0
.LBB80_38:                              ;   in Loop: Header=BB80_12 Depth=1
	s_andn2_saveexec_b64 s[8:9], s[8:9]
; %bb.39:                               ;   in Loop: Header=BB80_12 Depth=1
	v_mul_f32_e32 v2, v82, v82
	v_mov_b32_e32 v85, 0x3ca908c9
	v_fmac_f32_e32 v85, 0xbbbac73d, v2
	v_fma_f32 v85, v2, v85, v24
	v_fma_f32 v85, v2, v85, v25
	;; [unrolled: 1-line block ×3, first 2 shown]
	v_mul_f32_e64 v85, |v82|, v85
	v_fma_f32 v2, v2, v85, |v82|
; %bb.40:                               ;   in Loop: Header=BB80_12 Depth=1
	s_or_b64 exec, exec, s[8:9]
	v_cmp_nlt_f32_e64 s[8:9], |v84|, s10
                                        ; implicit-def: $vgpr107
	s_and_saveexec_b64 s[26:27], s[8:9]
	s_xor_b64 s[8:9], exec, s[26:27]
	s_cbranch_execz .LBB80_42
; %bb.41:                               ;   in Loop: Header=BB80_12 Depth=1
	v_add_f32_e64 v85, |v84|, |v84|
	v_mul_f32_e32 v104, 0x3fb8aa3b, v85
	v_rndne_f32_e32 v107, v104
	v_sub_f32_e32 v108, v104, v107
	v_fma_f32 v104, v85, s11, -v104
	v_fmac_f32_e32 v104, 0x32a5705f, v85
	v_add_f32_e32 v104, v108, v104
	v_cvt_i32_f32_e32 v107, v107
	v_exp_f32_e32 v104, v104
	v_cmp_ngt_f32_e32 vcc, s12, v85
	v_ldexp_f32 v104, v104, v107
	v_cndmask_b32_e32 v104, 0, v104, vcc
	v_cmp_nlt_f32_e32 vcc, s13, v85
	v_cndmask_b32_e32 v85, v28, v104, vcc
	v_add_f32_e32 v85, 1.0, v85
	v_rcp_f32_e32 v85, v85
	v_fma_f32 v107, v85, -2.0, 1.0
.LBB80_42:                              ;   in Loop: Header=BB80_12 Depth=1
	s_andn2_saveexec_b64 s[8:9], s[8:9]
; %bb.43:                               ;   in Loop: Header=BB80_12 Depth=1
	v_mul_f32_e32 v85, v84, v84
	v_mov_b32_e32 v104, 0x3ca908c9
	v_fmac_f32_e32 v104, 0xbbbac73d, v85
	v_fma_f32 v104, v85, v104, v24
	v_fma_f32 v104, v85, v104, v25
	;; [unrolled: 1-line block ×3, first 2 shown]
	v_mul_f32_e64 v104, |v84|, v104
	v_fma_f32 v107, v85, v104, |v84|
; %bb.44:                               ;   in Loop: Header=BB80_12 Depth=1
	s_or_b64 exec, exec, s[8:9]
	v_cvt_f32_f16_e32 v104, v6
	v_cvt_f32_f16_e32 v85, v1
	v_bfi_b32 v1, s24, v2, v82
	v_bfi_b32 v2, s24, v107, v84
	v_fmac_f32_e32 v104, s15, v1
	v_fmac_f32_e32 v85, s15, v2
	v_add_f32_e32 v1, 0x40051340, v104
	v_add_f32_e32 v2, 0x40051340, v85
	v_max3_f32 v1, v69, v1, v2
	ds_bpermute_b32 v2, v3, v1
	v_cmp_nlt_f32_e64 s[8:9], |v80|, s10
                                        ; implicit-def: $vgpr82
	s_waitcnt lgkmcnt(0)
	v_max_f32_e32 v2, v2, v2
	v_max_f32_e32 v1, v1, v2
	ds_bpermute_b32 v2, v4, v1
	s_waitcnt lgkmcnt(0)
	v_max_f32_e32 v2, v2, v2
	v_max_f32_e32 v1, v1, v2
	ds_bpermute_b32 v2, v97, v1
	;; [unrolled: 4-line block ×4, first 2 shown]
	s_and_saveexec_b64 s[26:27], s[8:9]
	s_xor_b64 s[8:9], exec, s[26:27]
	s_cbranch_execz .LBB80_46
; %bb.45:                               ;   in Loop: Header=BB80_12 Depth=1
	v_add_f32_e64 v1, |v80|, |v80|
	v_mul_f32_e32 v2, 0x3fb8aa3b, v1
	v_rndne_f32_e32 v6, v2
	v_sub_f32_e32 v82, v2, v6
	v_fma_f32 v2, v1, s11, -v2
	v_fmac_f32_e32 v2, 0x32a5705f, v1
	v_add_f32_e32 v2, v82, v2
	v_cvt_i32_f32_e32 v6, v6
	v_exp_f32_e32 v2, v2
	v_cmp_ngt_f32_e32 vcc, s12, v1
	v_ldexp_f32 v2, v2, v6
	v_cndmask_b32_e32 v2, 0, v2, vcc
	v_cmp_nlt_f32_e32 vcc, s13, v1
	v_cndmask_b32_e32 v1, v28, v2, vcc
	v_add_f32_e32 v1, 1.0, v1
	v_rcp_f32_e32 v1, v1
	v_fma_f32 v82, v1, -2.0, 1.0
.LBB80_46:                              ;   in Loop: Header=BB80_12 Depth=1
	s_andn2_saveexec_b64 s[8:9], s[8:9]
; %bb.47:                               ;   in Loop: Header=BB80_12 Depth=1
	v_mul_f32_e32 v1, v80, v80
	v_mov_b32_e32 v2, 0x3ca908c9
	v_fmac_f32_e32 v2, 0xbbbac73d, v1
	v_fma_f32 v2, v1, v2, v24
	v_fma_f32 v2, v1, v2, v25
	;; [unrolled: 1-line block ×3, first 2 shown]
	v_mul_f32_e64 v2, |v80|, v2
	v_fma_f32 v82, v1, v2, |v80|
; %bb.48:                               ;   in Loop: Header=BB80_12 Depth=1
	s_or_b64 exec, exec, s[8:9]
	v_add_u32_e32 v1, v5, v17
	v_ashrrev_i32_e32 v2, 31, v1
	v_lshlrev_b64 v[1:2], 1, v[1:2]
	v_mov_b32_e32 v6, s35
	v_add_co_u32_e32 v1, vcc, s34, v1
	v_addc_co_u32_e32 v2, vcc, v6, v2, vcc
	global_load_ushort v6, v[1:2], off
	v_cmp_nlt_f32_e64 s[8:9], |v81|, s10
                                        ; implicit-def: $vgpr84
	s_and_saveexec_b64 s[26:27], s[8:9]
	s_xor_b64 s[8:9], exec, s[26:27]
	s_cbranch_execz .LBB80_50
; %bb.49:                               ;   in Loop: Header=BB80_12 Depth=1
	v_add_f32_e64 v84, |v81|, |v81|
	v_mul_f32_e32 v107, 0x3fb8aa3b, v84
	v_rndne_f32_e32 v108, v107
	v_sub_f32_e32 v109, v107, v108
	v_fma_f32 v107, v84, s11, -v107
	v_fmac_f32_e32 v107, 0x32a5705f, v84
	v_add_f32_e32 v107, v109, v107
	v_cvt_i32_f32_e32 v108, v108
	v_exp_f32_e32 v107, v107
	v_cmp_ngt_f32_e32 vcc, s12, v84
	v_ldexp_f32 v107, v107, v108
	v_cndmask_b32_e32 v107, 0, v107, vcc
	v_cmp_nlt_f32_e32 vcc, s13, v84
	v_cndmask_b32_e32 v84, v28, v107, vcc
	v_add_f32_e32 v84, 1.0, v84
	v_rcp_f32_e32 v84, v84
	v_fma_f32 v84, v84, -2.0, 1.0
.LBB80_50:                              ;   in Loop: Header=BB80_12 Depth=1
	s_andn2_saveexec_b64 s[8:9], s[8:9]
; %bb.51:                               ;   in Loop: Header=BB80_12 Depth=1
	v_mul_f32_e32 v84, v81, v81
	v_mov_b32_e32 v107, 0x3ca908c9
	v_fmac_f32_e32 v107, 0xbbbac73d, v84
	v_fma_f32 v107, v84, v107, v24
	v_fma_f32 v107, v84, v107, v25
	v_fma_f32 v107, v84, v107, v26
	v_mul_f32_e64 v107, |v81|, v107
	v_fma_f32 v84, v84, v107, |v81|
; %bb.52:                               ;   in Loop: Header=BB80_12 Depth=1
	s_or_b64 exec, exec, s[8:9]
	global_load_ushort v1, v[1:2], off offset:64
	v_bfi_b32 v2, s24, v82, v80
	v_bfi_b32 v80, s24, v84, v81
	s_waitcnt vmcnt(1)
	v_fma_mix_f32 v82, s15, v2, v6 op_sel_hi:[0,0,1]
	v_add_f32_e32 v2, 0x40051340, v82
	v_cmp_nlt_f32_e64 s[8:9], |v78|, s10
	s_waitcnt vmcnt(0)
	v_fma_mix_f32 v80, s15, v80, v1 op_sel_hi:[0,0,1]
	v_add_f32_e32 v81, 0x40051340, v80
	v_max3_f32 v2, v67, v2, v81
	ds_bpermute_b32 v81, v3, v2
	s_waitcnt lgkmcnt(0)
	v_max_f32_e32 v81, v81, v81
	v_max_f32_e32 v2, v2, v81
	ds_bpermute_b32 v81, v4, v2
	s_waitcnt lgkmcnt(0)
	v_max_f32_e32 v81, v81, v81
	v_max_f32_e32 v2, v2, v81
	ds_bpermute_b32 v81, v97, v2
	s_waitcnt lgkmcnt(0)
	v_max_f32_e32 v81, v81, v81
	v_max_f32_e32 v2, v2, v81
	ds_bpermute_b32 v81, v98, v2
	s_waitcnt lgkmcnt(0)
	v_max_f32_e32 v81, v81, v81
	v_max_f32_e32 v113, v2, v81
	ds_bpermute_b32 v114, v99, v113
                                        ; implicit-def: $vgpr2
	s_and_saveexec_b64 s[26:27], s[8:9]
	s_xor_b64 s[8:9], exec, s[26:27]
	s_cbranch_execz .LBB80_54
; %bb.53:                               ;   in Loop: Header=BB80_12 Depth=1
	v_add_f32_e64 v2, |v78|, |v78|
	v_mul_f32_e32 v81, 0x3fb8aa3b, v2
	v_rndne_f32_e32 v84, v81
	v_sub_f32_e32 v107, v81, v84
	v_fma_f32 v81, v2, s11, -v81
	v_fmac_f32_e32 v81, 0x32a5705f, v2
	v_add_f32_e32 v81, v107, v81
	v_cvt_i32_f32_e32 v84, v84
	v_exp_f32_e32 v81, v81
	v_cmp_ngt_f32_e32 vcc, s12, v2
	v_ldexp_f32 v81, v81, v84
	v_cndmask_b32_e32 v81, 0, v81, vcc
	v_cmp_nlt_f32_e32 vcc, s13, v2
	v_cndmask_b32_e32 v2, v28, v81, vcc
	v_add_f32_e32 v2, 1.0, v2
	v_rcp_f32_e32 v2, v2
	v_fma_f32 v2, v2, -2.0, 1.0
.LBB80_54:                              ;   in Loop: Header=BB80_12 Depth=1
	s_andn2_saveexec_b64 s[8:9], s[8:9]
; %bb.55:                               ;   in Loop: Header=BB80_12 Depth=1
	v_mul_f32_e32 v2, v78, v78
	v_mov_b32_e32 v81, 0x3ca908c9
	v_fmac_f32_e32 v81, 0xbbbac73d, v2
	v_fma_f32 v81, v2, v81, v24
	v_fma_f32 v81, v2, v81, v25
	v_fma_f32 v81, v2, v81, v26
	v_mul_f32_e64 v81, |v78|, v81
	v_fma_f32 v2, v2, v81, |v78|
; %bb.56:                               ;   in Loop: Header=BB80_12 Depth=1
	s_or_b64 exec, exec, s[8:9]
	v_cmp_nlt_f32_e64 s[8:9], |v79|, s10
                                        ; implicit-def: $vgpr107
	s_and_saveexec_b64 s[26:27], s[8:9]
	s_xor_b64 s[8:9], exec, s[26:27]
	s_cbranch_execz .LBB80_58
; %bb.57:                               ;   in Loop: Header=BB80_12 Depth=1
	v_add_f32_e64 v81, |v79|, |v79|
	v_mul_f32_e32 v84, 0x3fb8aa3b, v81
	v_rndne_f32_e32 v107, v84
	v_sub_f32_e32 v108, v84, v107
	v_fma_f32 v84, v81, s11, -v84
	v_fmac_f32_e32 v84, 0x32a5705f, v81
	v_add_f32_e32 v84, v108, v84
	v_cvt_i32_f32_e32 v107, v107
	v_exp_f32_e32 v84, v84
	v_cmp_ngt_f32_e32 vcc, s12, v81
	v_ldexp_f32 v84, v84, v107
	v_cndmask_b32_e32 v84, 0, v84, vcc
	v_cmp_nlt_f32_e32 vcc, s13, v81
	v_cndmask_b32_e32 v81, v28, v84, vcc
	v_add_f32_e32 v81, 1.0, v81
	v_rcp_f32_e32 v81, v81
	v_fma_f32 v107, v81, -2.0, 1.0
.LBB80_58:                              ;   in Loop: Header=BB80_12 Depth=1
	s_andn2_saveexec_b64 s[8:9], s[8:9]
; %bb.59:                               ;   in Loop: Header=BB80_12 Depth=1
	v_mul_f32_e32 v81, v79, v79
	v_mov_b32_e32 v84, 0x3ca908c9
	v_fmac_f32_e32 v84, 0xbbbac73d, v81
	v_fma_f32 v84, v81, v84, v24
	v_fma_f32 v84, v81, v84, v25
	;; [unrolled: 1-line block ×3, first 2 shown]
	v_mul_f32_e64 v84, |v79|, v84
	v_fma_f32 v107, v81, v84, |v79|
; %bb.60:                               ;   in Loop: Header=BB80_12 Depth=1
	s_or_b64 exec, exec, s[8:9]
	v_cvt_f32_f16_e32 v84, v6
	v_cvt_f32_f16_e32 v81, v1
	v_bfi_b32 v1, s24, v2, v78
	v_bfi_b32 v2, s24, v107, v79
	v_fmac_f32_e32 v84, s15, v1
	v_fmac_f32_e32 v81, s15, v2
	v_add_f32_e32 v1, 0x40051340, v84
	v_add_f32_e32 v2, 0x40051340, v81
	v_max3_f32 v1, v65, v1, v2
	ds_bpermute_b32 v2, v3, v1
	v_cmp_nlt_f32_e64 s[8:9], |v76|, s10
                                        ; implicit-def: $vgpr79
	s_waitcnt lgkmcnt(0)
	v_max_f32_e32 v2, v2, v2
	v_max_f32_e32 v1, v1, v2
	ds_bpermute_b32 v2, v4, v1
	s_waitcnt lgkmcnt(0)
	v_max_f32_e32 v2, v2, v2
	v_max_f32_e32 v1, v1, v2
	ds_bpermute_b32 v2, v97, v1
	;; [unrolled: 4-line block ×4, first 2 shown]
	s_and_saveexec_b64 s[26:27], s[8:9]
	s_xor_b64 s[8:9], exec, s[26:27]
	s_cbranch_execz .LBB80_62
; %bb.61:                               ;   in Loop: Header=BB80_12 Depth=1
	v_add_f32_e64 v1, |v76|, |v76|
	v_mul_f32_e32 v2, 0x3fb8aa3b, v1
	v_rndne_f32_e32 v79, v2
	v_sub_f32_e32 v107, v2, v79
	v_fma_f32 v2, v1, s11, -v2
	v_fmac_f32_e32 v2, 0x32a5705f, v1
	v_add_f32_e32 v2, v107, v2
	v_cvt_i32_f32_e32 v79, v79
	v_exp_f32_e32 v2, v2
	v_cmp_ngt_f32_e32 vcc, s12, v1
	v_ldexp_f32 v2, v2, v79
	v_cndmask_b32_e32 v2, 0, v2, vcc
	v_cmp_nlt_f32_e32 vcc, s13, v1
	v_cndmask_b32_e32 v1, v28, v2, vcc
	v_add_f32_e32 v1, 1.0, v1
	v_rcp_f32_e32 v1, v1
	v_fma_f32 v79, v1, -2.0, 1.0
.LBB80_62:                              ;   in Loop: Header=BB80_12 Depth=1
	s_andn2_saveexec_b64 s[8:9], s[8:9]
; %bb.63:                               ;   in Loop: Header=BB80_12 Depth=1
	v_mul_f32_e32 v1, v76, v76
	v_mov_b32_e32 v2, 0x3ca908c9
	v_fmac_f32_e32 v2, 0xbbbac73d, v1
	v_fma_f32 v2, v1, v2, v24
	v_fma_f32 v2, v1, v2, v25
	;; [unrolled: 1-line block ×3, first 2 shown]
	v_mul_f32_e64 v2, |v76|, v2
	v_fma_f32 v79, v1, v2, |v76|
; %bb.64:                               ;   in Loop: Header=BB80_12 Depth=1
	s_or_b64 exec, exec, s[8:9]
	v_add_u32_e32 v1, v5, v18
	v_ashrrev_i32_e32 v2, 31, v1
	v_lshlrev_b64 v[1:2], 1, v[1:2]
	v_mov_b32_e32 v5, s35
	v_add_co_u32_e32 v1, vcc, s34, v1
	v_addc_co_u32_e32 v2, vcc, v5, v2, vcc
	global_load_ushort v5, v[1:2], off
	v_cmp_nlt_f32_e64 s[8:9], |v77|, s10
                                        ; implicit-def: $vgpr107
	s_and_saveexec_b64 s[26:27], s[8:9]
	s_xor_b64 s[8:9], exec, s[26:27]
	s_cbranch_execz .LBB80_66
; %bb.65:                               ;   in Loop: Header=BB80_12 Depth=1
	v_add_f32_e64 v107, |v77|, |v77|
	v_mul_f32_e32 v108, 0x3fb8aa3b, v107
	v_rndne_f32_e32 v109, v108
	v_sub_f32_e32 v110, v108, v109
	v_fma_f32 v108, v107, s11, -v108
	v_fmac_f32_e32 v108, 0x32a5705f, v107
	v_add_f32_e32 v108, v110, v108
	v_cvt_i32_f32_e32 v109, v109
	v_exp_f32_e32 v108, v108
	v_cmp_ngt_f32_e32 vcc, s12, v107
	v_ldexp_f32 v108, v108, v109
	v_cndmask_b32_e32 v108, 0, v108, vcc
	v_cmp_nlt_f32_e32 vcc, s13, v107
	v_cndmask_b32_e32 v107, v28, v108, vcc
	v_add_f32_e32 v107, 1.0, v107
	v_rcp_f32_e32 v107, v107
	v_fma_f32 v107, v107, -2.0, 1.0
.LBB80_66:                              ;   in Loop: Header=BB80_12 Depth=1
	s_andn2_saveexec_b64 s[8:9], s[8:9]
; %bb.67:                               ;   in Loop: Header=BB80_12 Depth=1
	v_mul_f32_e32 v107, v77, v77
	v_mov_b32_e32 v108, 0x3ca908c9
	v_fmac_f32_e32 v108, 0xbbbac73d, v107
	v_fma_f32 v108, v107, v108, v24
	v_fma_f32 v108, v107, v108, v25
	;; [unrolled: 1-line block ×3, first 2 shown]
	v_mul_f32_e64 v108, |v77|, v108
	v_fma_f32 v107, v107, v108, |v77|
; %bb.68:                               ;   in Loop: Header=BB80_12 Depth=1
	s_or_b64 exec, exec, s[8:9]
	global_load_ushort v2, v[1:2], off offset:64
	v_bfi_b32 v1, s24, v79, v76
	v_bfi_b32 v76, s24, v107, v77
	s_waitcnt vmcnt(1)
	v_fma_mix_f32 v110, s15, v1, v5 op_sel_hi:[0,0,1]
	v_add_f32_e32 v1, 0x40051340, v110
	v_cmp_nlt_f32_e64 s[8:9], |v7|, s10
                                        ; implicit-def: $vgpr77
	s_waitcnt vmcnt(0)
	v_fma_mix_f32 v109, s15, v76, v2 op_sel_hi:[0,0,1]
	v_add_f32_e32 v76, 0x40051340, v109
	v_max3_f32 v1, v32, v1, v76
	ds_bpermute_b32 v76, v3, v1
	s_waitcnt lgkmcnt(0)
	v_max_f32_e32 v76, v76, v76
	v_max_f32_e32 v1, v1, v76
	ds_bpermute_b32 v76, v4, v1
	s_waitcnt lgkmcnt(0)
	v_max_f32_e32 v76, v76, v76
	v_max_f32_e32 v1, v1, v76
	;; [unrolled: 4-line block ×4, first 2 shown]
	ds_bpermute_b32 v76, v99, v1
	s_and_saveexec_b64 s[26:27], s[8:9]
	s_xor_b64 s[8:9], exec, s[26:27]
	s_cbranch_execz .LBB80_70
; %bb.69:                               ;   in Loop: Header=BB80_12 Depth=1
	v_add_f32_e64 v77, |v7|, |v7|
	v_mul_f32_e32 v79, 0x3fb8aa3b, v77
	v_rndne_f32_e32 v107, v79
	v_sub_f32_e32 v108, v79, v107
	v_fma_f32 v79, v77, s11, -v79
	v_fmac_f32_e32 v79, 0x32a5705f, v77
	v_add_f32_e32 v79, v108, v79
	v_cvt_i32_f32_e32 v107, v107
	v_exp_f32_e32 v79, v79
	v_cmp_ngt_f32_e32 vcc, s12, v77
	v_ldexp_f32 v79, v79, v107
	v_cndmask_b32_e32 v79, 0, v79, vcc
	v_cmp_nlt_f32_e32 vcc, s13, v77
	v_cndmask_b32_e32 v77, v28, v79, vcc
	v_add_f32_e32 v77, 1.0, v77
	v_rcp_f32_e32 v77, v77
	v_fma_f32 v77, v77, -2.0, 1.0
.LBB80_70:                              ;   in Loop: Header=BB80_12 Depth=1
	s_andn2_saveexec_b64 s[8:9], s[8:9]
; %bb.71:                               ;   in Loop: Header=BB80_12 Depth=1
	v_mul_f32_e32 v77, v7, v7
	v_mov_b32_e32 v79, 0x3ca908c9
	v_fmac_f32_e32 v79, 0xbbbac73d, v77
	v_fma_f32 v79, v77, v79, v24
	v_fma_f32 v79, v77, v79, v25
	;; [unrolled: 1-line block ×3, first 2 shown]
	v_mul_f32_e64 v79, |v7|, v79
	v_fma_f32 v77, v77, v79, |v7|
; %bb.72:                               ;   in Loop: Header=BB80_12 Depth=1
	s_or_b64 exec, exec, s[8:9]
	v_cmp_nlt_f32_e64 s[8:9], |v8|, s10
                                        ; implicit-def: $vgpr79
	s_and_saveexec_b64 s[26:27], s[8:9]
	s_xor_b64 s[8:9], exec, s[26:27]
	s_cbranch_execz .LBB80_74
; %bb.73:                               ;   in Loop: Header=BB80_12 Depth=1
	v_add_f32_e64 v79, |v8|, |v8|
	v_mul_f32_e32 v107, 0x3fb8aa3b, v79
	v_rndne_f32_e32 v108, v107
	v_sub_f32_e32 v115, v107, v108
	v_fma_f32 v107, v79, s11, -v107
	v_fmac_f32_e32 v107, 0x32a5705f, v79
	v_add_f32_e32 v107, v115, v107
	v_cvt_i32_f32_e32 v108, v108
	v_exp_f32_e32 v107, v107
	v_cmp_ngt_f32_e32 vcc, s12, v79
	v_ldexp_f32 v107, v107, v108
	v_cndmask_b32_e32 v107, 0, v107, vcc
	v_cmp_nlt_f32_e32 vcc, s13, v79
	v_cndmask_b32_e32 v79, v28, v107, vcc
	v_add_f32_e32 v79, 1.0, v79
	v_rcp_f32_e32 v79, v79
	v_fma_f32 v79, v79, -2.0, 1.0
.LBB80_74:                              ;   in Loop: Header=BB80_12 Depth=1
	s_andn2_saveexec_b64 s[8:9], s[8:9]
; %bb.75:                               ;   in Loop: Header=BB80_12 Depth=1
	v_mul_f32_e32 v79, v8, v8
	v_mov_b32_e32 v107, 0x3ca908c9
	v_fmac_f32_e32 v107, 0xbbbac73d, v79
	v_fma_f32 v107, v79, v107, v24
	v_fma_f32 v107, v79, v107, v25
	;; [unrolled: 1-line block ×3, first 2 shown]
	v_mul_f32_e64 v107, |v8|, v107
	v_fma_f32 v79, v79, v107, |v8|
; %bb.76:                               ;   in Loop: Header=BB80_12 Depth=1
	s_or_b64 exec, exec, s[8:9]
	v_cvt_f32_f16_e32 v108, v5
	v_cvt_f32_f16_e32 v107, v2
	v_bfi_b32 v2, s24, v77, v7
	v_bfi_b32 v7, s24, v79, v8
	v_fmac_f32_e32 v108, s15, v2
	v_fmac_f32_e32 v107, s15, v7
	v_add_f32_e32 v2, 0x40051340, v108
	v_add_f32_e32 v7, 0x40051340, v107
	v_max3_f32 v2, v30, v2, v7
	ds_bpermute_b32 v3, v3, v2
	s_waitcnt lgkmcnt(1)
	v_max_f32_e32 v5, v76, v76
	v_max_f32_e32 v1, v1, v1
	;; [unrolled: 1-line block ×4, first 2 shown]
	s_waitcnt lgkmcnt(0)
	v_max_f32_e32 v3, v3, v3
	v_max_f32_e32 v2, v2, v3
	ds_bpermute_b32 v3, v4, v2
	v_max_f32_e32 v5, v6, v6
	v_max_f32_e32 v6, v5, v1
	;; [unrolled: 1-line block ×5, first 2 shown]
	s_waitcnt lgkmcnt(0)
	v_max_f32_e32 v1, v3, v3
	v_max_f32_e32 v1, v2, v1
	ds_bpermute_b32 v2, v97, v1
	v_max_f32_e32 v3, v112, v112
	v_max_f32_e32 v4, v111, v111
	v_max_f32_e32 v4, v4, v3
	v_max_f32_e32 v3, v106, v106
	s_waitcnt lgkmcnt(0)
	v_max_f32_e32 v2, v2, v2
	v_max_f32_e32 v1, v1, v2
	ds_bpermute_b32 v2, v98, v1
	v_max_f32_e32 v8, v105, v105
	v_max_f32_e32 v3, v8, v3
	v_max_f32_e32 v8, v103, v103
	v_max_f32_e32 v76, v87, v87
	;; [unrolled: 8-line block ×3, first 2 shown]
	s_waitcnt lgkmcnt(0)
	v_max_f32_e32 v8, v78, v78
	v_sub_f32_e32 v76, v95, v1
	v_max_f32_e32 v8, v77, v8
	v_mul_f32_e32 v77, 0x3fb8aa3b, v76
	v_fma_f32 v78, v76, s11, -v77
	v_rndne_f32_e32 v79, v77
	v_fmac_f32_e32 v78, 0x32a5705f, v76
	v_sub_f32_e32 v77, v77, v79
	v_add_f32_e32 v77, v77, v78
	v_exp_f32_e32 v77, v77
	v_cvt_i32_f32_e32 v78, v79
	v_sub_f32_e32 v79, v75, v1
	v_cmp_ngt_f32_e32 vcc, s12, v76
	v_sub_f32_e32 v74, v74, v2
	v_ldexp_f32 v75, v77, v78
	v_sub_f32_e32 v77, v94, v1
	v_mul_f32_e32 v78, 0x3fb8aa3b, v77
	v_fma_f32 v87, v77, s11, -v78
	v_rndne_f32_e32 v94, v78
	v_fmac_f32_e32 v87, 0x32a5705f, v77
	v_sub_f32_e32 v78, v78, v94
	v_add_f32_e32 v78, v78, v87
	v_exp_f32_e32 v78, v78
	v_cvt_i32_f32_e32 v87, v94
	v_cndmask_b32_e32 v75, 0, v75, vcc
	v_cmp_nlt_f32_e32 vcc, s13, v76
	v_cndmask_b32_e32 v76, v28, v75, vcc
	v_ldexp_f32 v78, v78, v87
	v_mul_f32_e32 v87, 0x3fb8aa3b, v79
	v_fma_f32 v94, v79, s11, -v87
	v_rndne_f32_e32 v95, v87
	v_fmac_f32_e32 v94, 0x32a5705f, v79
	v_sub_f32_e32 v87, v87, v95
	v_add_f32_e32 v87, v87, v94
	v_exp_f32_e32 v87, v87
	v_cvt_i32_f32_e32 v94, v95
	v_cmp_ngt_f32_e32 vcc, s12, v77
	v_cndmask_b32_e32 v78, 0, v78, vcc
	v_cmp_nlt_f32_e32 vcc, s13, v77
	v_cndmask_b32_e32 v77, v28, v78, vcc
	v_ldexp_f32 v78, v87, v94
	v_cmp_ngt_f32_e32 vcc, s12, v79
	v_cndmask_b32_e32 v78, 0, v78, vcc
	v_cmp_nlt_f32_e32 vcc, s13, v79
	v_cndmask_b32_e32 v78, v28, v78, vcc
	v_cvt_f16_f32_e32 v79, v78
	v_cvt_f16_f32_e32 v75, v76
	v_add_f32_e32 v76, v76, v77
	v_fmac_f32_e32 v76, v71, v78
	v_sub_f32_e32 v78, v102, v2
	v_mul_f32_e32 v71, 0x3fb8aa3b, v78
	v_cvt_f16_f32_e32 v87, v77
	v_mul_u32_u24_e32 v77, 0x10001, v79
	v_fma_f32 v79, v78, s11, -v71
	v_rndne_f32_e32 v94, v71
	v_fmac_f32_e32 v79, 0x32a5705f, v78
	v_sub_f32_e32 v71, v71, v94
	v_add_f32_e32 v71, v71, v79
	v_exp_f32_e32 v79, v71
	v_cvt_i32_f32_e32 v94, v94
	v_pk_mul_f16 v71, v62, v77
	v_pk_mul_f16 v62, v63, v77
	v_sub_f32_e32 v77, v101, v2
	v_ldexp_f32 v63, v79, v94
	v_mul_f32_e32 v79, 0x3fb8aa3b, v77
	v_fma_f32 v94, v77, s11, -v79
	v_rndne_f32_e32 v95, v79
	v_fmac_f32_e32 v94, 0x32a5705f, v77
	v_sub_f32_e32 v79, v79, v95
	v_add_f32_e32 v79, v79, v94
	v_exp_f32_e32 v79, v79
	v_cvt_i32_f32_e32 v94, v95
	v_cmp_ngt_f32_e32 vcc, s12, v78
	v_cndmask_b32_e32 v63, 0, v63, vcc
	v_cmp_nlt_f32_e32 vcc, s13, v78
	v_ldexp_f32 v79, v79, v94
	v_mul_f32_e32 v94, 0x3fb8aa3b, v74
	v_fma_f32 v95, v74, s11, -v94
	v_rndne_f32_e32 v96, v94
	v_fmac_f32_e32 v95, 0x32a5705f, v74
	v_sub_f32_e32 v94, v94, v96
	v_add_f32_e32 v94, v94, v95
	v_exp_f32_e32 v94, v94
	v_cvt_i32_f32_e32 v95, v96
	v_cndmask_b32_e32 v78, v28, v63, vcc
	v_cmp_ngt_f32_e32 vcc, s12, v77
	v_cndmask_b32_e32 v79, 0, v79, vcc
	v_cmp_nlt_f32_e32 vcc, s13, v77
	v_cndmask_b32_e32 v79, v28, v79, vcc
	v_ldexp_f32 v77, v94, v95
	v_cmp_ngt_f32_e32 vcc, s12, v74
	v_cndmask_b32_e32 v77, 0, v77, vcc
	v_cmp_nlt_f32_e32 vcc, s13, v74
	v_cndmask_b32_e32 v94, v28, v77, vcc
	v_add_f32_e32 v77, v78, v79
	v_cvt_f16_f32_e32 v74, v79
	v_sub_f32_e32 v79, v86, v3
	v_fmac_f32_e32 v77, v73, v94
	v_mul_f32_e32 v73, 0x3fb8aa3b, v79
	v_cvt_f16_f32_e32 v95, v94
	v_fma_f32 v86, v79, s11, -v73
	v_rndne_f32_e32 v94, v73
	v_fmac_f32_e32 v86, 0x32a5705f, v79
	v_sub_f32_e32 v73, v73, v94
	v_add_f32_e32 v73, v73, v86
	v_exp_f32_e32 v86, v73
	v_cvt_i32_f32_e32 v94, v94
	v_cvt_f16_f32_e32 v63, v78
	v_mul_u32_u24_e32 v78, 0x10001, v95
	v_pk_mul_f16 v73, v60, v78
	v_pk_mul_f16 v60, v61, v78
	v_sub_f32_e32 v78, v83, v3
	v_mul_f32_e32 v83, 0x3fb8aa3b, v78
	v_ldexp_f32 v61, v86, v94
	v_fma_f32 v86, v78, s11, -v83
	v_rndne_f32_e32 v94, v83
	v_fmac_f32_e32 v86, 0x32a5705f, v78
	v_sub_f32_e32 v83, v83, v94
	v_add_f32_e32 v83, v83, v86
	v_exp_f32_e32 v83, v83
	v_cvt_i32_f32_e32 v86, v94
	v_sub_f32_e32 v72, v72, v3
	v_cmp_ngt_f32_e32 vcc, s12, v79
	v_cndmask_b32_e32 v61, 0, v61, vcc
	v_ldexp_f32 v83, v83, v86
	v_mul_f32_e32 v86, 0x3fb8aa3b, v72
	v_fma_f32 v94, v72, s11, -v86
	v_rndne_f32_e32 v95, v86
	v_fmac_f32_e32 v94, 0x32a5705f, v72
	v_sub_f32_e32 v86, v86, v95
	v_add_f32_e32 v86, v86, v94
	v_exp_f32_e32 v86, v86
	v_cvt_i32_f32_e32 v94, v95
	v_cmp_nlt_f32_e32 vcc, s13, v79
	v_cndmask_b32_e32 v79, v28, v61, vcc
	v_cmp_ngt_f32_e32 vcc, s12, v78
	v_cndmask_b32_e32 v83, 0, v83, vcc
	v_cmp_nlt_f32_e32 vcc, s13, v78
	v_cndmask_b32_e32 v83, v28, v83, vcc
	v_ldexp_f32 v78, v86, v94
	v_cmp_ngt_f32_e32 vcc, s12, v72
	v_cndmask_b32_e32 v78, 0, v78, vcc
	v_cmp_nlt_f32_e32 vcc, s13, v72
	v_cndmask_b32_e32 v86, v28, v78, vcc
	v_cvt_f16_f32_e32 v94, v86
	v_add_f32_e32 v78, v79, v83
	v_cvt_f16_f32_e32 v72, v83
	v_sub_f32_e32 v83, v104, v4
	v_fmac_f32_e32 v78, v70, v86
	v_mul_f32_e32 v70, 0x3fb8aa3b, v83
	v_cvt_f16_f32_e32 v61, v79
	v_mul_u32_u24_e32 v79, 0x10001, v94
	v_fma_f32 v86, v83, s11, -v70
	v_rndne_f32_e32 v94, v70
	v_fmac_f32_e32 v86, 0x32a5705f, v83
	v_sub_f32_e32 v70, v70, v94
	v_add_f32_e32 v70, v70, v86
	v_exp_f32_e32 v86, v70
	v_cvt_i32_f32_e32 v94, v94
	v_pk_mul_f16 v70, v58, v79
	v_pk_mul_f16 v58, v59, v79
	v_sub_f32_e32 v79, v85, v4
	v_mul_f32_e32 v85, 0x3fb8aa3b, v79
	v_ldexp_f32 v59, v86, v94
	v_fma_f32 v86, v79, s11, -v85
	v_rndne_f32_e32 v94, v85
	v_fmac_f32_e32 v86, 0x32a5705f, v79
	v_sub_f32_e32 v85, v85, v94
	v_add_f32_e32 v85, v85, v86
	v_exp_f32_e32 v85, v85
	v_cvt_i32_f32_e32 v86, v94
	v_sub_f32_e32 v69, v69, v4
	v_cmp_ngt_f32_e32 vcc, s12, v83
	v_cndmask_b32_e32 v59, 0, v59, vcc
	v_ldexp_f32 v85, v85, v86
	v_mul_f32_e32 v86, 0x3fb8aa3b, v69
	v_fma_f32 v94, v69, s11, -v86
	v_rndne_f32_e32 v95, v86
	v_fmac_f32_e32 v94, 0x32a5705f, v69
	v_sub_f32_e32 v86, v86, v95
	v_add_f32_e32 v86, v86, v94
	v_exp_f32_e32 v86, v86
	v_cvt_i32_f32_e32 v94, v95
	v_cmp_nlt_f32_e32 vcc, s13, v83
	v_cndmask_b32_e32 v83, v28, v59, vcc
	v_cmp_ngt_f32_e32 vcc, s12, v79
	v_cndmask_b32_e32 v85, 0, v85, vcc
	v_cmp_nlt_f32_e32 vcc, s13, v79
	v_cndmask_b32_e32 v85, v28, v85, vcc
	v_ldexp_f32 v79, v86, v94
	v_cmp_ngt_f32_e32 vcc, s12, v69
	v_cndmask_b32_e32 v79, 0, v79, vcc
	v_cmp_nlt_f32_e32 vcc, s13, v69
	v_cndmask_b32_e32 v86, v28, v79, vcc
	v_add_f32_e32 v79, v83, v85
	v_sub_f32_e32 v82, v82, v5
	v_fmac_f32_e32 v79, v68, v86
	v_mul_f32_e32 v68, 0x3fb8aa3b, v82
	v_cvt_f16_f32_e32 v94, v86
	v_cvt_f16_f32_e32 v69, v85
	v_fma_f32 v85, v82, s11, -v68
	v_rndne_f32_e32 v86, v68
	v_fmac_f32_e32 v85, 0x32a5705f, v82
	v_sub_f32_e32 v68, v68, v86
	v_add_f32_e32 v68, v68, v85
	v_exp_f32_e32 v85, v68
	v_cvt_i32_f32_e32 v86, v86
	v_cvt_f16_f32_e32 v59, v83
	v_mul_u32_u24_e32 v83, 0x10001, v94
	v_sub_f32_e32 v80, v80, v5
	v_pk_mul_f16 v68, v56, v83
	v_pk_mul_f16 v56, v57, v83
	v_mul_f32_e32 v83, 0x3fb8aa3b, v80
	v_ldexp_f32 v57, v85, v86
	v_fma_f32 v85, v80, s11, -v83
	v_rndne_f32_e32 v86, v83
	v_fmac_f32_e32 v85, 0x32a5705f, v80
	v_sub_f32_e32 v83, v83, v86
	v_add_f32_e32 v83, v83, v85
	v_exp_f32_e32 v83, v83
	v_cvt_i32_f32_e32 v85, v86
	v_sub_f32_e32 v67, v67, v5
	v_cmp_ngt_f32_e32 vcc, s12, v82
	v_cndmask_b32_e32 v57, 0, v57, vcc
	v_ldexp_f32 v83, v83, v85
	v_mul_f32_e32 v85, 0x3fb8aa3b, v67
	v_fma_f32 v86, v67, s11, -v85
	v_rndne_f32_e32 v94, v85
	v_fmac_f32_e32 v86, 0x32a5705f, v67
	v_sub_f32_e32 v85, v85, v94
	v_add_f32_e32 v85, v85, v86
	v_exp_f32_e32 v85, v85
	v_cvt_i32_f32_e32 v86, v94
	v_cmp_nlt_f32_e32 vcc, s13, v82
	v_cndmask_b32_e32 v82, v28, v57, vcc
	v_cmp_ngt_f32_e32 vcc, s12, v80
	v_cndmask_b32_e32 v83, 0, v83, vcc
	v_cmp_nlt_f32_e32 vcc, s13, v80
	v_cndmask_b32_e32 v83, v28, v83, vcc
	v_ldexp_f32 v80, v85, v86
	v_cmp_ngt_f32_e32 vcc, s12, v67
	v_cndmask_b32_e32 v80, 0, v80, vcc
	v_cmp_nlt_f32_e32 vcc, s13, v67
	v_cndmask_b32_e32 v85, v28, v80, vcc
	v_add_f32_e32 v80, v82, v83
	v_cvt_f16_f32_e32 v67, v83
	v_sub_f32_e32 v83, v84, v6
	v_fmac_f32_e32 v80, v66, v85
	v_mul_f32_e32 v66, 0x3fb8aa3b, v83
	v_cvt_f16_f32_e32 v86, v85
	v_fma_f32 v84, v83, s11, -v66
	v_rndne_f32_e32 v85, v66
	v_fmac_f32_e32 v84, 0x32a5705f, v83
	v_sub_f32_e32 v66, v66, v85
	v_add_f32_e32 v66, v66, v84
	v_exp_f32_e32 v84, v66
	v_cvt_i32_f32_e32 v85, v85
	v_cvt_f16_f32_e32 v57, v82
	v_mul_u32_u24_e32 v82, 0x10001, v86
	v_sub_f32_e32 v81, v81, v6
	v_pk_mul_f16 v66, v54, v82
	v_pk_mul_f16 v54, v55, v82
	v_mul_f32_e32 v82, 0x3fb8aa3b, v81
	v_sub_f32_e32 v55, v65, v6
	v_ldexp_f32 v65, v84, v85
	v_fma_f32 v84, v81, s11, -v82
	v_rndne_f32_e32 v85, v82
	v_fmac_f32_e32 v84, 0x32a5705f, v81
	v_sub_f32_e32 v82, v82, v85
	v_add_f32_e32 v82, v82, v84
	v_exp_f32_e32 v82, v82
	v_cvt_i32_f32_e32 v84, v85
	v_cmp_ngt_f32_e32 vcc, s12, v83
	v_cndmask_b32_e32 v65, 0, v65, vcc
	v_cmp_nlt_f32_e32 vcc, s13, v83
	v_mul_f32_e32 v83, 0x3fb8aa3b, v55
	v_ldexp_f32 v82, v82, v84
	v_fma_f32 v84, v55, s11, -v83
	v_rndne_f32_e32 v86, v83
	v_fmac_f32_e32 v84, 0x32a5705f, v55
	v_sub_f32_e32 v83, v83, v86
	v_add_f32_e32 v83, v83, v84
	v_exp_f32_e32 v83, v83
	v_cvt_i32_f32_e32 v84, v86
	v_cndmask_b32_e32 v65, v28, v65, vcc
	v_cmp_ngt_f32_e32 vcc, s12, v81
	v_cndmask_b32_e32 v82, 0, v82, vcc
	v_cmp_nlt_f32_e32 vcc, s13, v81
	v_cndmask_b32_e32 v82, v28, v82, vcc
	v_ldexp_f32 v81, v83, v84
	v_cmp_ngt_f32_e32 vcc, s12, v55
	v_cndmask_b32_e32 v81, 0, v81, vcc
	v_cmp_nlt_f32_e32 vcc, s13, v55
	v_cndmask_b32_e32 v55, v28, v81, vcc
	v_cvt_f16_f32_e32 v83, v55
	v_add_f32_e32 v81, v65, v82
	v_fmac_f32_e32 v81, v64, v55
	v_sub_f32_e32 v64, v110, v7
	v_cvt_f16_f32_e32 v85, v65
	v_cvt_f16_f32_e32 v65, v82
	v_mul_f32_e32 v82, 0x3fb8aa3b, v64
	v_mul_u32_u24_e32 v55, 0x10001, v83
	v_fma_f32 v83, v64, s11, -v82
	v_rndne_f32_e32 v84, v82
	v_fmac_f32_e32 v83, 0x32a5705f, v64
	v_sub_f32_e32 v82, v82, v84
	v_add_f32_e32 v82, v82, v83
	v_exp_f32_e32 v82, v82
	v_cvt_i32_f32_e32 v83, v84
	v_pk_mul_f16 v102, v52, v55
	v_pk_mul_f16 v55, v53, v55
	v_cmp_ngt_f32_e32 vcc, s12, v64
	v_ldexp_f32 v52, v82, v83
	v_sub_f32_e32 v82, v109, v7
	v_mul_f32_e32 v53, 0x3fb8aa3b, v82
	v_fma_f32 v83, v82, s11, -v53
	v_rndne_f32_e32 v84, v53
	v_fmac_f32_e32 v83, 0x32a5705f, v82
	v_sub_f32_e32 v53, v53, v84
	v_add_f32_e32 v53, v53, v83
	v_exp_f32_e32 v53, v53
	v_cvt_i32_f32_e32 v83, v84
	v_sub_f32_e32 v32, v32, v7
	v_cndmask_b32_e32 v52, 0, v52, vcc
	v_cmp_nlt_f32_e32 vcc, s13, v64
	v_cndmask_b32_e32 v64, v28, v52, vcc
	v_mul_f32_e32 v52, 0x3fb8aa3b, v32
	s_mul_hi_i32 s9, s6, s18
	s_mul_i32 s8, s6, s18
	v_rndne_f32_e32 v98, v52
	s_lshl_b64 s[8:9], s[8:9], 2
	v_ldexp_f32 v83, v53, v83
	v_fma_f32 v86, v32, s11, -v52
	v_sub_f32_e32 v99, v52, v98
	v_mov_b32_e32 v53, s9
	v_add_co_u32_e32 v52, vcc, s8, v21
	v_addc_co_u32_e32 v53, vcc, v22, v53, vcc
	s_barrier
	global_load_dwordx4 v[94:97], v[52:53], off
	v_fmac_f32_e32 v86, 0x32a5705f, v32
	v_add_f32_e32 v52, v99, v86
	v_exp_f32_e32 v52, v52
	v_cvt_i32_f32_e32 v53, v98
	v_cmp_ngt_f32_e32 vcc, s12, v82
	v_cndmask_b32_e32 v83, 0, v83, vcc
	v_cmp_nlt_f32_e32 vcc, s13, v82
	v_cndmask_b32_e32 v83, v28, v83, vcc
	v_ldexp_f32 v52, v52, v53
	v_cmp_ngt_f32_e32 vcc, s12, v32
	v_cndmask_b32_e32 v52, 0, v52, vcc
	v_cmp_nlt_f32_e32 vcc, s13, v32
	v_cndmask_b32_e32 v32, v28, v52, vcc
	v_cvt_f16_f32_e32 v52, v32
	v_add_f32_e32 v82, v64, v83
	v_fmac_f32_e32 v82, v31, v32
	v_sub_f32_e32 v32, v108, v8
	v_mul_u32_u24_e32 v31, 0x10001, v52
	v_mul_f32_e32 v52, 0x3fb8aa3b, v32
	v_cvt_f16_f32_e32 v84, v64
	v_cvt_f16_f32_e32 v53, v83
	v_fma_f32 v64, v32, s11, -v52
	v_rndne_f32_e32 v83, v52
	v_fmac_f32_e32 v64, 0x32a5705f, v32
	v_sub_f32_e32 v52, v52, v83
	v_add_f32_e32 v52, v52, v64
	v_exp_f32_e32 v52, v52
	v_cvt_i32_f32_e32 v64, v83
	v_pk_mul_f16 v103, v50, v31
	v_sub_f32_e32 v50, v107, v8
	v_pk_mul_f16 v104, v51, v31
	v_mul_f32_e32 v51, 0x3fb8aa3b, v50
	v_ldexp_f32 v31, v52, v64
	v_fma_f32 v52, v50, s11, -v51
	v_rndne_f32_e32 v64, v51
	v_fmac_f32_e32 v52, 0x32a5705f, v50
	v_sub_f32_e32 v51, v51, v64
	v_add_f32_e32 v51, v51, v52
	v_exp_f32_e32 v51, v51
	v_cvt_i32_f32_e32 v52, v64
	v_sub_f32_e32 v30, v30, v8
	v_cmp_ngt_f32_e32 vcc, s12, v32
	v_cndmask_b32_e32 v31, 0, v31, vcc
	v_ldexp_f32 v51, v51, v52
	v_mul_f32_e32 v52, 0x3fb8aa3b, v30
	v_fma_f32 v64, v30, s11, -v52
	v_rndne_f32_e32 v83, v52
	v_fmac_f32_e32 v64, 0x32a5705f, v30
	v_sub_f32_e32 v52, v52, v83
	v_add_f32_e32 v52, v52, v64
	v_exp_f32_e32 v52, v52
	v_cvt_i32_f32_e32 v64, v83
	v_cmp_nlt_f32_e32 vcc, s13, v32
	v_cndmask_b32_e32 v31, v28, v31, vcc
	v_cmp_ngt_f32_e32 vcc, s12, v50
	v_cndmask_b32_e32 v51, 0, v51, vcc
	v_cmp_nlt_f32_e32 vcc, s13, v50
	v_cndmask_b32_e32 v50, v28, v51, vcc
	v_ldexp_f32 v51, v52, v64
	v_cmp_ngt_f32_e32 vcc, s12, v30
	v_cndmask_b32_e32 v51, 0, v51, vcc
	v_cmp_nlt_f32_e32 vcc, s13, v30
	v_cndmask_b32_e32 v30, v28, v51, vcc
	v_cvt_f16_f32_e32 v51, v30
	v_cvt_f16_f32_e32 v32, v31
	v_add_f32_e32 v83, v31, v50
	v_cvt_f16_f32_e32 v50, v50
	v_fmac_f32_e32 v83, v29, v30
	v_mul_u32_u24_e32 v29, 0x10001, v51
	v_pk_mul_f16 v52, v49, v29
	v_pk_mul_f16 v64, v48, v29
	v_pack_b32_f16 v32, v84, v32
	v_pack_b32_f16 v31, v57, v85
	;; [unrolled: 1-line block ×4, first 2 shown]
	ds_write_b128 v27, v[29:32]
	v_pack_b32_f16 v32, v53, v50
	v_pack_b32_f16 v31, v67, v65
	;; [unrolled: 1-line block ×4, first 2 shown]
	ds_write_b128 v27, v[29:32] offset:512
	s_waitcnt vmcnt(0)
	ds_write_b128 v20, v[94:97]
	s_waitcnt lgkmcnt(0)
	s_barrier
	ds_read_b128 v[29:32], v19
	ds_read2_b64 v[48:51], v23 offset1:32
	ds_read_b128 v[84:87], v19 offset:16
	ds_read_b128 v[94:97], v19 offset:32
	;; [unrolled: 1-line block ×3, first 2 shown]
	s_waitcnt lgkmcnt(4)
	v_mul_u32_u24_sdwa v53, v29, s25 dst_sel:DWORD dst_unused:UNUSED_PAD src0_sel:WORD_0 src1_sel:DWORD
	v_mul_u32_u24_sdwa v29, v29, s25 dst_sel:DWORD dst_unused:UNUSED_PAD src0_sel:WORD_1 src1_sel:DWORD
	v_mul_u32_u24_sdwa v57, v30, s25 dst_sel:DWORD dst_unused:UNUSED_PAD src0_sel:WORD_0 src1_sel:DWORD
	v_mul_u32_u24_sdwa v30, v30, s25 dst_sel:DWORD dst_unused:UNUSED_PAD src0_sel:WORD_1 src1_sel:DWORD
	;; [unrolled: 2-line block ×4, first 2 shown]
	s_waitcnt lgkmcnt(3)
	v_pk_fma_f16 v63, v48, v53, v71
	v_pk_fma_f16 v65, v48, v29, v73
	;; [unrolled: 1-line block ×16, first 2 shown]
	s_waitcnt lgkmcnt(2)
	v_mul_u32_u24_sdwa v49, v84, s25 dst_sel:DWORD dst_unused:UNUSED_PAD src0_sel:WORD_0 src1_sel:DWORD
	v_mul_u32_u24_sdwa v56, v84, s25 dst_sel:DWORD dst_unused:UNUSED_PAD src0_sel:WORD_1 src1_sel:DWORD
	v_mul_u32_u24_sdwa v57, v85, s25 dst_sel:DWORD dst_unused:UNUSED_PAD src0_sel:WORD_0 src1_sel:DWORD
	v_mul_u32_u24_sdwa v58, v85, s25 dst_sel:DWORD dst_unused:UNUSED_PAD src0_sel:WORD_1 src1_sel:DWORD
	;; [unrolled: 2-line block ×4, first 2 shown]
	v_pk_fma_f16 v63, v50, v49, v63
	v_pk_fma_f16 v64, v50, v56, v65
	;; [unrolled: 1-line block ×16, first 2 shown]
	ds_read2_b64 v[29:32], v23 offset0:64 offset1:96
	s_waitcnt lgkmcnt(2)
	v_mul_u32_u24_sdwa v57, v94, s25 dst_sel:DWORD dst_unused:UNUSED_PAD src0_sel:WORD_0 src1_sel:DWORD
	v_mul_u32_u24_sdwa v58, v94, s25 dst_sel:DWORD dst_unused:UNUSED_PAD src0_sel:WORD_1 src1_sel:DWORD
	v_mul_u32_u24_sdwa v59, v95, s25 dst_sel:DWORD dst_unused:UNUSED_PAD src0_sel:WORD_0 src1_sel:DWORD
	v_mul_u32_u24_sdwa v60, v95, s25 dst_sel:DWORD dst_unused:UNUSED_PAD src0_sel:WORD_1 src1_sel:DWORD
	;; [unrolled: 2-line block ×4, first 2 shown]
	s_waitcnt lgkmcnt(0)
	v_pk_fma_f16 v63, v29, v57, v63
	v_pk_fma_f16 v64, v29, v58, v64
	;; [unrolled: 1-line block ×16, first 2 shown]
	v_mul_u32_u24_sdwa v51, v98, s25 dst_sel:DWORD dst_unused:UNUSED_PAD src0_sel:WORD_0 src1_sel:DWORD
	v_mul_u32_u24_sdwa v56, v98, s25 dst_sel:DWORD dst_unused:UNUSED_PAD src0_sel:WORD_1 src1_sel:DWORD
	v_mul_u32_u24_sdwa v57, v99, s25 dst_sel:DWORD dst_unused:UNUSED_PAD src0_sel:WORD_0 src1_sel:DWORD
	v_mul_u32_u24_sdwa v58, v99, s25 dst_sel:DWORD dst_unused:UNUSED_PAD src0_sel:WORD_1 src1_sel:DWORD
	v_mul_u32_u24_sdwa v59, v100, s25 dst_sel:DWORD dst_unused:UNUSED_PAD src0_sel:WORD_0 src1_sel:DWORD
	v_mul_u32_u24_sdwa v60, v100, s25 dst_sel:DWORD dst_unused:UNUSED_PAD src0_sel:WORD_1 src1_sel:DWORD
	v_mul_u32_u24_sdwa v61, v101, s25 dst_sel:DWORD dst_unused:UNUSED_PAD src0_sel:WORD_0 src1_sel:DWORD
	v_mul_u32_u24_sdwa v62, v101, s25 dst_sel:DWORD dst_unused:UNUSED_PAD src0_sel:WORD_1 src1_sel:DWORD
	v_pk_fma_f16 v63, v31, v51, v63
	v_pk_fma_f16 v64, v31, v56, v64
	;; [unrolled: 1-line block ×6, first 2 shown]
	ds_read_b128 v[48:51], v19 offset:64
	v_pk_fma_f16 v67, v31, v58, v67
	v_pk_fma_f16 v66, v31, v59, v66
	;; [unrolled: 1-line block ×10, first 2 shown]
	ds_read2_b64 v[29:32], v23 offset0:128 offset1:160
	ds_read_b128 v[52:55], v19 offset:80
	s_waitcnt lgkmcnt(2)
	v_mul_u32_u24_sdwa v72, v48, s25 dst_sel:DWORD dst_unused:UNUSED_PAD src0_sel:WORD_0 src1_sel:DWORD
	v_mul_u32_u24_sdwa v48, v48, s25 dst_sel:DWORD dst_unused:UNUSED_PAD src0_sel:WORD_1 src1_sel:DWORD
	v_mul_u32_u24_sdwa v73, v49, s25 dst_sel:DWORD dst_unused:UNUSED_PAD src0_sel:WORD_0 src1_sel:DWORD
	v_mul_u32_u24_sdwa v49, v49, s25 dst_sel:DWORD dst_unused:UNUSED_PAD src0_sel:WORD_1 src1_sel:DWORD
	;; [unrolled: 2-line block ×4, first 2 shown]
	s_waitcnt lgkmcnt(1)
	v_pk_fma_f16 v63, v29, v72, v63
	v_pk_fma_f16 v64, v29, v48, v64
	;; [unrolled: 1-line block ×16, first 2 shown]
	s_waitcnt lgkmcnt(0)
	v_mul_u32_u24_sdwa v51, v52, s25 dst_sel:DWORD dst_unused:UNUSED_PAD src0_sel:WORD_0 src1_sel:DWORD
	v_mul_u32_u24_sdwa v52, v52, s25 dst_sel:DWORD dst_unused:UNUSED_PAD src0_sel:WORD_1 src1_sel:DWORD
	v_mul_u32_u24_sdwa v59, v53, s25 dst_sel:DWORD dst_unused:UNUSED_PAD src0_sel:WORD_0 src1_sel:DWORD
	v_mul_u32_u24_sdwa v53, v53, s25 dst_sel:DWORD dst_unused:UNUSED_PAD src0_sel:WORD_1 src1_sel:DWORD
	;; [unrolled: 2-line block ×4, first 2 shown]
	v_pk_fma_f16 v62, v31, v51, v63
	v_pk_fma_f16 v63, v31, v52, v64
	;; [unrolled: 1-line block ×10, first 2 shown]
	ds_read_b128 v[48:51], v19 offset:96
	v_pk_fma_f16 v65, v31, v53, v67
	v_pk_fma_f16 v67, v31, v54, v68
	;; [unrolled: 1-line block ×6, first 2 shown]
	ds_read2_b64 v[29:32], v23 offset0:192 offset1:224
	ds_read_b128 v[52:55], v19 offset:112
	s_waitcnt lgkmcnt(2)
	v_mul_u32_u24_sdwa v72, v48, s25 dst_sel:DWORD dst_unused:UNUSED_PAD src0_sel:WORD_0 src1_sel:DWORD
	v_mul_u32_u24_sdwa v48, v48, s25 dst_sel:DWORD dst_unused:UNUSED_PAD src0_sel:WORD_1 src1_sel:DWORD
	v_mul_u32_u24_sdwa v73, v49, s25 dst_sel:DWORD dst_unused:UNUSED_PAD src0_sel:WORD_0 src1_sel:DWORD
	v_mul_u32_u24_sdwa v49, v49, s25 dst_sel:DWORD dst_unused:UNUSED_PAD src0_sel:WORD_1 src1_sel:DWORD
	;; [unrolled: 2-line block ×4, first 2 shown]
	s_waitcnt lgkmcnt(1)
	v_pk_fma_f16 v62, v29, v72, v62
	v_pk_fma_f16 v63, v29, v48, v63
	;; [unrolled: 1-line block ×16, first 2 shown]
	s_waitcnt lgkmcnt(0)
	v_mul_u32_u24_sdwa v51, v52, s25 dst_sel:DWORD dst_unused:UNUSED_PAD src0_sel:WORD_0 src1_sel:DWORD
	v_mul_u32_u24_sdwa v52, v52, s25 dst_sel:DWORD dst_unused:UNUSED_PAD src0_sel:WORD_1 src1_sel:DWORD
	v_mul_u32_u24_sdwa v59, v53, s25 dst_sel:DWORD dst_unused:UNUSED_PAD src0_sel:WORD_0 src1_sel:DWORD
	v_mul_u32_u24_sdwa v53, v53, s25 dst_sel:DWORD dst_unused:UNUSED_PAD src0_sel:WORD_1 src1_sel:DWORD
	;; [unrolled: 2-line block ×4, first 2 shown]
	v_pk_fma_f16 v62, v31, v51, v62
	v_pk_fma_f16 v63, v31, v52, v63
	;; [unrolled: 1-line block ×12, first 2 shown]
	ds_read_b128 v[48:51], v19 offset:128
	v_add_u32_e32 v29, 0x800, v23
	v_pk_fma_f16 v71, v32, v59, v56
	v_pk_fma_f16 v60, v32, v60, v57
	;; [unrolled: 1-line block ×4, first 2 shown]
	ds_read2_b64 v[52:55], v29 offset1:32
	ds_read_b128 v[56:59], v19 offset:144
	s_waitcnt lgkmcnt(2)
	v_mul_u32_u24_sdwa v32, v48, s25 dst_sel:DWORD dst_unused:UNUSED_PAD src0_sel:WORD_0 src1_sel:DWORD
	v_mul_u32_u24_sdwa v48, v48, s25 dst_sel:DWORD dst_unused:UNUSED_PAD src0_sel:WORD_1 src1_sel:DWORD
	v_mul_u32_u24_sdwa v74, v49, s25 dst_sel:DWORD dst_unused:UNUSED_PAD src0_sel:WORD_0 src1_sel:DWORD
	v_mul_u32_u24_sdwa v49, v49, s25 dst_sel:DWORD dst_unused:UNUSED_PAD src0_sel:WORD_1 src1_sel:DWORD
	;; [unrolled: 2-line block ×4, first 2 shown]
	s_waitcnt lgkmcnt(1)
	v_pk_fma_f16 v62, v52, v32, v62
	v_pk_fma_f16 v63, v52, v48, v63
	;; [unrolled: 1-line block ×16, first 2 shown]
	s_waitcnt lgkmcnt(0)
	v_mul_u32_u24_sdwa v51, v56, s25 dst_sel:DWORD dst_unused:UNUSED_PAD src0_sel:WORD_0 src1_sel:DWORD
	v_mul_u32_u24_sdwa v53, v56, s25 dst_sel:DWORD dst_unused:UNUSED_PAD src0_sel:WORD_1 src1_sel:DWORD
	v_mul_u32_u24_sdwa v56, v57, s25 dst_sel:DWORD dst_unused:UNUSED_PAD src0_sel:WORD_0 src1_sel:DWORD
	v_mul_u32_u24_sdwa v57, v57, s25 dst_sel:DWORD dst_unused:UNUSED_PAD src0_sel:WORD_1 src1_sel:DWORD
	;; [unrolled: 2-line block ×4, first 2 shown]
	v_pk_fma_f16 v62, v54, v51, v62
	v_pk_fma_f16 v66, v54, v69, v66
	v_pk_fma_f16 v32, v55, v51, v32
	v_pk_fma_f16 v71, v55, v53, v48
	v_pk_fma_f16 v73, v55, v57, v49
	v_pk_fma_f16 v60, v55, v69, v60
	v_pk_fma_f16 v69, v55, v58, v50
	ds_read_b128 v[48:51], v19 offset:160
	v_pk_fma_f16 v63, v54, v53, v63
	v_pk_fma_f16 v64, v54, v56, v64
	;; [unrolled: 1-line block ×9, first 2 shown]
	ds_read2_b64 v[52:55], v29 offset0:64 offset1:96
	ds_read_b128 v[56:59], v19 offset:176
	s_waitcnt lgkmcnt(2)
	v_mul_u32_u24_sdwa v70, v48, s25 dst_sel:DWORD dst_unused:UNUSED_PAD src0_sel:WORD_0 src1_sel:DWORD
	v_mul_u32_u24_sdwa v48, v48, s25 dst_sel:DWORD dst_unused:UNUSED_PAD src0_sel:WORD_1 src1_sel:DWORD
	v_mul_u32_u24_sdwa v74, v49, s25 dst_sel:DWORD dst_unused:UNUSED_PAD src0_sel:WORD_0 src1_sel:DWORD
	v_mul_u32_u24_sdwa v49, v49, s25 dst_sel:DWORD dst_unused:UNUSED_PAD src0_sel:WORD_1 src1_sel:DWORD
	;; [unrolled: 2-line block ×4, first 2 shown]
	s_waitcnt lgkmcnt(1)
	v_pk_fma_f16 v62, v52, v70, v62
	v_pk_fma_f16 v63, v52, v48, v63
	;; [unrolled: 1-line block ×16, first 2 shown]
	s_waitcnt lgkmcnt(0)
	v_mul_u32_u24_sdwa v51, v56, s25 dst_sel:DWORD dst_unused:UNUSED_PAD src0_sel:WORD_0 src1_sel:DWORD
	v_mul_u32_u24_sdwa v53, v56, s25 dst_sel:DWORD dst_unused:UNUSED_PAD src0_sel:WORD_1 src1_sel:DWORD
	v_mul_u32_u24_sdwa v56, v57, s25 dst_sel:DWORD dst_unused:UNUSED_PAD src0_sel:WORD_0 src1_sel:DWORD
	v_mul_u32_u24_sdwa v57, v57, s25 dst_sel:DWORD dst_unused:UNUSED_PAD src0_sel:WORD_1 src1_sel:DWORD
	;; [unrolled: 2-line block ×3, first 2 shown]
	v_pk_fma_f16 v62, v54, v51, v62
	v_pk_fma_f16 v32, v55, v51, v32
	;; [unrolled: 1-line block ×5, first 2 shown]
	ds_read_b128 v[48:51], v19 offset:192
	v_mul_u32_u24_sdwa v70, v59, s25 dst_sel:DWORD dst_unused:UNUSED_PAD src0_sel:WORD_0 src1_sel:DWORD
	v_mul_u32_u24_sdwa v59, v59, s25 dst_sel:DWORD dst_unused:UNUSED_PAD src0_sel:WORD_1 src1_sel:DWORD
	v_pk_fma_f16 v63, v54, v53, v63
	v_pk_fma_f16 v64, v54, v56, v64
	v_pk_fma_f16 v65, v54, v57, v65
	v_pk_fma_f16 v66, v54, v69, v66
	v_pk_fma_f16 v67, v54, v58, v67
	v_pk_fma_f16 v68, v54, v70, v68
	v_pk_fma_f16 v31, v54, v59, v31
	v_pk_fma_f16 v73, v55, v56, v52
	v_pk_fma_f16 v75, v55, v69, v60
	v_pk_fma_f16 v85, v55, v70, v61
	v_pk_fma_f16 v86, v55, v59, v30
	ds_read2_b64 v[52:55], v29 offset0:128 offset1:160
	ds_read_b128 v[56:59], v19 offset:208
	s_or_b32 s8, s6, 16
	s_mul_hi_i32 s9, s8, s18
	s_mul_i32 s8, s8, s18
	s_waitcnt lgkmcnt(2)
	v_mul_u32_u24_sdwa v30, v48, s25 dst_sel:DWORD dst_unused:UNUSED_PAD src0_sel:WORD_0 src1_sel:DWORD
	v_mul_u32_u24_sdwa v87, v48, s25 dst_sel:DWORD dst_unused:UNUSED_PAD src0_sel:WORD_1 src1_sel:DWORD
	v_mul_u32_u24_sdwa v94, v49, s25 dst_sel:DWORD dst_unused:UNUSED_PAD src0_sel:WORD_0 src1_sel:DWORD
	v_mul_u32_u24_sdwa v95, v49, s25 dst_sel:DWORD dst_unused:UNUSED_PAD src0_sel:WORD_1 src1_sel:DWORD
	;; [unrolled: 2-line block ×4, first 2 shown]
	s_lshl_b64 s[8:9], s[8:9], 2
	s_waitcnt lgkmcnt(1)
	v_pk_fma_f16 v100, v52, v30, v62
	v_pk_fma_f16 v101, v52, v87, v63
	v_pk_fma_f16 v102, v52, v94, v64
	v_pk_fma_f16 v103, v52, v95, v65
	v_pk_fma_f16 v104, v52, v96, v66
	v_pk_fma_f16 v105, v52, v97, v67
	v_pk_fma_f16 v106, v52, v98, v68
	v_pk_fma_f16 v52, v52, v99, v31
	v_pk_fma_f16 v32, v53, v30, v32
	v_mov_b32_e32 v31, s9
	v_add_co_u32_e32 v30, vcc, s8, v21
	v_addc_co_u32_e32 v31, vcc, v22, v31, vcc
	ds_read2_b64 v[48:51], v29 offset0:192 offset1:224
	ds_read_b128 v[60:63], v19 offset:224
	ds_read_b128 v[64:67], v19 offset:240
	s_waitcnt lgkmcnt(0)
	s_barrier
	global_load_dwordx4 v[68:71], v[30:31], off
	v_pk_fma_f16 v30, v53, v87, v72
	v_pk_fma_f16 v31, v53, v94, v73
	v_pk_fma_f16 v72, v53, v95, v74
	v_pk_fma_f16 v73, v53, v96, v75
	v_pk_fma_f16 v74, v53, v97, v84
	v_pk_fma_f16 v75, v53, v98, v85
	v_pk_fma_f16 v53, v53, v99, v86
	v_mul_u32_u24_sdwa v84, v56, s25 dst_sel:DWORD dst_unused:UNUSED_PAD src0_sel:WORD_0 src1_sel:DWORD
	v_mul_u32_u24_sdwa v56, v56, s25 dst_sel:DWORD dst_unused:UNUSED_PAD src0_sel:WORD_1 src1_sel:DWORD
	v_mul_u32_u24_sdwa v85, v57, s25 dst_sel:DWORD dst_unused:UNUSED_PAD src0_sel:WORD_0 src1_sel:DWORD
	v_mul_u32_u24_sdwa v57, v57, s25 dst_sel:DWORD dst_unused:UNUSED_PAD src0_sel:WORD_1 src1_sel:DWORD
	v_mul_u32_u24_sdwa v86, v58, s25 dst_sel:DWORD dst_unused:UNUSED_PAD src0_sel:WORD_0 src1_sel:DWORD
	v_mul_u32_u24_sdwa v58, v58, s25 dst_sel:DWORD dst_unused:UNUSED_PAD src0_sel:WORD_1 src1_sel:DWORD
	v_mul_u32_u24_sdwa v87, v59, s25 dst_sel:DWORD dst_unused:UNUSED_PAD src0_sel:WORD_0 src1_sel:DWORD
	v_mul_u32_u24_sdwa v59, v59, s25 dst_sel:DWORD dst_unused:UNUSED_PAD src0_sel:WORD_1 src1_sel:DWORD
	v_pk_fma_f16 v94, v54, v84, v100
	v_pk_fma_f16 v95, v54, v56, v101
	v_pk_fma_f16 v96, v54, v85, v102
	v_pk_fma_f16 v97, v54, v57, v103
	v_pk_fma_f16 v98, v54, v86, v104
	v_pk_fma_f16 v99, v54, v58, v105
	v_pk_fma_f16 v100, v54, v87, v106
	v_pk_fma_f16 v52, v54, v59, v52
	v_pk_fma_f16 v32, v55, v84, v32
	v_pk_fma_f16 v30, v55, v56, v30
	v_pk_fma_f16 v31, v55, v85, v31
	v_pk_fma_f16 v54, v55, v57, v72
	v_pk_fma_f16 v56, v55, v86, v73
	v_pk_fma_f16 v57, v55, v58, v74
	v_pk_fma_f16 v58, v55, v87, v75
	v_pk_fma_f16 v53, v55, v59, v53
	v_mul_u32_u24_sdwa v55, v60, s25 dst_sel:DWORD dst_unused:UNUSED_PAD src0_sel:WORD_0 src1_sel:DWORD
	v_mul_u32_u24_sdwa v59, v60, s25 dst_sel:DWORD dst_unused:UNUSED_PAD src0_sel:WORD_1 src1_sel:DWORD
	v_mul_u32_u24_sdwa v60, v61, s25 dst_sel:DWORD dst_unused:UNUSED_PAD src0_sel:WORD_0 src1_sel:DWORD
	v_mul_u32_u24_sdwa v61, v61, s25 dst_sel:DWORD dst_unused:UNUSED_PAD src0_sel:WORD_1 src1_sel:DWORD
	v_mul_u32_u24_sdwa v72, v62, s25 dst_sel:DWORD dst_unused:UNUSED_PAD src0_sel:WORD_0 src1_sel:DWORD
	v_mul_u32_u24_sdwa v62, v62, s25 dst_sel:DWORD dst_unused:UNUSED_PAD src0_sel:WORD_1 src1_sel:DWORD
	v_mul_u32_u24_sdwa v73, v63, s25 dst_sel:DWORD dst_unused:UNUSED_PAD src0_sel:WORD_0 src1_sel:DWORD
	v_mul_u32_u24_sdwa v63, v63, s25 dst_sel:DWORD dst_unused:UNUSED_PAD src0_sel:WORD_1 src1_sel:DWORD
	v_pk_fma_f16 v74, v48, v55, v94
	v_pk_fma_f16 v75, v48, v59, v95
	v_pk_fma_f16 v84, v48, v60, v96
	v_pk_fma_f16 v85, v48, v61, v97
	v_pk_fma_f16 v86, v48, v72, v98
	v_pk_fma_f16 v87, v48, v62, v99
	v_pk_fma_f16 v94, v48, v73, v100
	v_pk_fma_f16 v48, v48, v63, v52
	v_pk_fma_f16 v32, v49, v55, v32
	;; [unrolled: 24-line block ×3, first 2 shown]
	v_pk_fma_f16 v30, v51, v57, v30
	v_pk_fma_f16 v31, v51, v58, v31
	v_pk_fma_f16 v94, v51, v59, v52
	v_pk_fma_f16 v95, v51, v60, v54
	v_pk_fma_f16 v96, v51, v61, v55
	v_pk_fma_f16 v97, v51, v62, v56
	v_pk_fma_f16 v98, v51, v63, v49
	s_waitcnt vmcnt(0)
	ds_write_b128 v20, v[68:71]
	s_waitcnt lgkmcnt(0)
	s_barrier
	ds_read_b128 v[48:51], v19 offset:256
	ds_read2_b64 v[52:55], v23 offset1:32
	ds_read_b128 v[56:59], v19 offset:272
	ds_read_b128 v[60:63], v19 offset:288
	;; [unrolled: 1-line block ×3, first 2 shown]
	s_waitcnt lgkmcnt(4)
	v_mul_u32_u24_sdwa v68, v48, s25 dst_sel:DWORD dst_unused:UNUSED_PAD src0_sel:WORD_0 src1_sel:DWORD
	v_mul_u32_u24_sdwa v48, v48, s25 dst_sel:DWORD dst_unused:UNUSED_PAD src0_sel:WORD_1 src1_sel:DWORD
	v_mul_u32_u24_sdwa v69, v49, s25 dst_sel:DWORD dst_unused:UNUSED_PAD src0_sel:WORD_0 src1_sel:DWORD
	v_mul_u32_u24_sdwa v49, v49, s25 dst_sel:DWORD dst_unused:UNUSED_PAD src0_sel:WORD_1 src1_sel:DWORD
	;; [unrolled: 2-line block ×4, first 2 shown]
	s_waitcnt lgkmcnt(3)
	v_pk_fma_f16 v72, v52, v68, v72
	v_pk_fma_f16 v73, v52, v48, v73
	;; [unrolled: 1-line block ×16, first 2 shown]
	s_waitcnt lgkmcnt(2)
	v_mul_u32_u24_sdwa v53, v56, s25 dst_sel:DWORD dst_unused:UNUSED_PAD src0_sel:WORD_0 src1_sel:DWORD
	v_mul_u32_u24_sdwa v56, v56, s25 dst_sel:DWORD dst_unused:UNUSED_PAD src0_sel:WORD_1 src1_sel:DWORD
	v_mul_u32_u24_sdwa v69, v57, s25 dst_sel:DWORD dst_unused:UNUSED_PAD src0_sel:WORD_0 src1_sel:DWORD
	v_mul_u32_u24_sdwa v57, v57, s25 dst_sel:DWORD dst_unused:UNUSED_PAD src0_sel:WORD_1 src1_sel:DWORD
	;; [unrolled: 2-line block ×4, first 2 shown]
	v_pk_fma_f16 v72, v54, v53, v72
	v_pk_fma_f16 v73, v54, v56, v73
	;; [unrolled: 1-line block ×16, first 2 shown]
	ds_read2_b64 v[48:51], v23 offset0:64 offset1:96
	s_waitcnt lgkmcnt(2)
	v_mul_u32_u24_sdwa v58, v60, s25 dst_sel:DWORD dst_unused:UNUSED_PAD src0_sel:WORD_0 src1_sel:DWORD
	v_mul_u32_u24_sdwa v59, v60, s25 dst_sel:DWORD dst_unused:UNUSED_PAD src0_sel:WORD_1 src1_sel:DWORD
	v_mul_u32_u24_sdwa v60, v61, s25 dst_sel:DWORD dst_unused:UNUSED_PAD src0_sel:WORD_0 src1_sel:DWORD
	v_mul_u32_u24_sdwa v61, v61, s25 dst_sel:DWORD dst_unused:UNUSED_PAD src0_sel:WORD_1 src1_sel:DWORD
	v_mul_u32_u24_sdwa v68, v62, s25 dst_sel:DWORD dst_unused:UNUSED_PAD src0_sel:WORD_0 src1_sel:DWORD
	v_mul_u32_u24_sdwa v62, v62, s25 dst_sel:DWORD dst_unused:UNUSED_PAD src0_sel:WORD_1 src1_sel:DWORD
	v_mul_u32_u24_sdwa v69, v63, s25 dst_sel:DWORD dst_unused:UNUSED_PAD src0_sel:WORD_0 src1_sel:DWORD
	v_mul_u32_u24_sdwa v63, v63, s25 dst_sel:DWORD dst_unused:UNUSED_PAD src0_sel:WORD_1 src1_sel:DWORD
	s_waitcnt lgkmcnt(0)
	v_pk_fma_f16 v70, v48, v58, v72
	v_pk_fma_f16 v71, v48, v59, v73
	;; [unrolled: 1-line block ×16, first 2 shown]
	v_mul_u32_u24_sdwa v55, v64, s25 dst_sel:DWORD dst_unused:UNUSED_PAD src0_sel:WORD_0 src1_sel:DWORD
	v_mul_u32_u24_sdwa v58, v65, s25 dst_sel:DWORD dst_unused:UNUSED_PAD src0_sel:WORD_0 src1_sel:DWORD
	v_mul_u32_u24_sdwa v59, v65, s25 dst_sel:DWORD dst_unused:UNUSED_PAD src0_sel:WORD_1 src1_sel:DWORD
	v_mul_u32_u24_sdwa v60, v66, s25 dst_sel:DWORD dst_unused:UNUSED_PAD src0_sel:WORD_0 src1_sel:DWORD
	v_mul_u32_u24_sdwa v61, v66, s25 dst_sel:DWORD dst_unused:UNUSED_PAD src0_sel:WORD_1 src1_sel:DWORD
	v_mul_u32_u24_sdwa v57, v64, s25 dst_sel:DWORD dst_unused:UNUSED_PAD src0_sel:WORD_1 src1_sel:DWORD
	v_mul_u32_u24_sdwa v62, v67, s25 dst_sel:DWORD dst_unused:UNUSED_PAD src0_sel:WORD_0 src1_sel:DWORD
	v_mul_u32_u24_sdwa v63, v67, s25 dst_sel:DWORD dst_unused:UNUSED_PAD src0_sel:WORD_1 src1_sel:DWORD
	v_pk_fma_f16 v64, v50, v55, v70
	v_pk_fma_f16 v66, v50, v58, v72
	;; [unrolled: 1-line block ×8, first 2 shown]
	ds_read_b128 v[52:55], v19 offset:320
	v_pk_fma_f16 v65, v50, v57, v71
	v_pk_fma_f16 v67, v50, v59, v73
	v_pk_fma_f16 v70, v50, v62, v84
	v_pk_fma_f16 v71, v50, v63, v48
	v_pk_fma_f16 v30, v51, v57, v30
	v_pk_fma_f16 v31, v51, v58, v31
	v_pk_fma_f16 v62, v51, v62, v56
	v_pk_fma_f16 v63, v51, v63, v49
	ds_read2_b64 v[48:51], v23 offset0:128 offset1:160
	ds_read_b128 v[56:59], v19 offset:336
	s_waitcnt lgkmcnt(2)
	v_mul_u32_u24_sdwa v73, v52, s25 dst_sel:DWORD dst_unused:UNUSED_PAD src0_sel:WORD_0 src1_sel:DWORD
	v_mul_u32_u24_sdwa v52, v52, s25 dst_sel:DWORD dst_unused:UNUSED_PAD src0_sel:WORD_1 src1_sel:DWORD
	v_mul_u32_u24_sdwa v74, v53, s25 dst_sel:DWORD dst_unused:UNUSED_PAD src0_sel:WORD_0 src1_sel:DWORD
	v_mul_u32_u24_sdwa v53, v53, s25 dst_sel:DWORD dst_unused:UNUSED_PAD src0_sel:WORD_1 src1_sel:DWORD
	;; [unrolled: 2-line block ×4, first 2 shown]
	s_waitcnt lgkmcnt(1)
	v_pk_fma_f16 v64, v48, v73, v64
	v_pk_fma_f16 v65, v48, v52, v65
	;; [unrolled: 1-line block ×16, first 2 shown]
	s_waitcnt lgkmcnt(0)
	v_mul_u32_u24_sdwa v55, v56, s25 dst_sel:DWORD dst_unused:UNUSED_PAD src0_sel:WORD_0 src1_sel:DWORD
	v_mul_u32_u24_sdwa v61, v57, s25 dst_sel:DWORD dst_unused:UNUSED_PAD src0_sel:WORD_0 src1_sel:DWORD
	v_mul_u32_u24_sdwa v57, v57, s25 dst_sel:DWORD dst_unused:UNUSED_PAD src0_sel:WORD_1 src1_sel:DWORD
	v_mul_u32_u24_sdwa v62, v58, s25 dst_sel:DWORD dst_unused:UNUSED_PAD src0_sel:WORD_0 src1_sel:DWORD
	v_mul_u32_u24_sdwa v58, v58, s25 dst_sel:DWORD dst_unused:UNUSED_PAD src0_sel:WORD_1 src1_sel:DWORD
	v_mul_u32_u24_sdwa v56, v56, s25 dst_sel:DWORD dst_unused:UNUSED_PAD src0_sel:WORD_1 src1_sel:DWORD
	v_mul_u32_u24_sdwa v63, v59, s25 dst_sel:DWORD dst_unused:UNUSED_PAD src0_sel:WORD_0 src1_sel:DWORD
	v_mul_u32_u24_sdwa v59, v59, s25 dst_sel:DWORD dst_unused:UNUSED_PAD src0_sel:WORD_1 src1_sel:DWORD
	v_pk_fma_f16 v64, v50, v55, v64
	v_pk_fma_f16 v66, v50, v61, v66
	;; [unrolled: 1-line block ×8, first 2 shown]
	ds_read_b128 v[52:55], v19 offset:352
	v_pk_fma_f16 v65, v50, v56, v65
	v_pk_fma_f16 v67, v50, v57, v67
	;; [unrolled: 1-line block ×8, first 2 shown]
	ds_read2_b64 v[48:51], v23 offset0:192 offset1:224
	ds_read_b128 v[56:59], v19 offset:368
	s_waitcnt lgkmcnt(2)
	v_mul_u32_u24_sdwa v73, v52, s25 dst_sel:DWORD dst_unused:UNUSED_PAD src0_sel:WORD_0 src1_sel:DWORD
	v_mul_u32_u24_sdwa v52, v52, s25 dst_sel:DWORD dst_unused:UNUSED_PAD src0_sel:WORD_1 src1_sel:DWORD
	v_mul_u32_u24_sdwa v74, v53, s25 dst_sel:DWORD dst_unused:UNUSED_PAD src0_sel:WORD_0 src1_sel:DWORD
	v_mul_u32_u24_sdwa v53, v53, s25 dst_sel:DWORD dst_unused:UNUSED_PAD src0_sel:WORD_1 src1_sel:DWORD
	;; [unrolled: 2-line block ×4, first 2 shown]
	s_waitcnt lgkmcnt(1)
	v_pk_fma_f16 v64, v48, v73, v64
	v_pk_fma_f16 v65, v48, v52, v65
	;; [unrolled: 1-line block ×16, first 2 shown]
	s_waitcnt lgkmcnt(0)
	v_mul_u32_u24_sdwa v55, v56, s25 dst_sel:DWORD dst_unused:UNUSED_PAD src0_sel:WORD_0 src1_sel:DWORD
	v_mul_u32_u24_sdwa v61, v57, s25 dst_sel:DWORD dst_unused:UNUSED_PAD src0_sel:WORD_0 src1_sel:DWORD
	v_mul_u32_u24_sdwa v57, v57, s25 dst_sel:DWORD dst_unused:UNUSED_PAD src0_sel:WORD_1 src1_sel:DWORD
	v_mul_u32_u24_sdwa v62, v58, s25 dst_sel:DWORD dst_unused:UNUSED_PAD src0_sel:WORD_0 src1_sel:DWORD
	v_mul_u32_u24_sdwa v58, v58, s25 dst_sel:DWORD dst_unused:UNUSED_PAD src0_sel:WORD_1 src1_sel:DWORD
	v_mul_u32_u24_sdwa v56, v56, s25 dst_sel:DWORD dst_unused:UNUSED_PAD src0_sel:WORD_1 src1_sel:DWORD
	v_mul_u32_u24_sdwa v63, v59, s25 dst_sel:DWORD dst_unused:UNUSED_PAD src0_sel:WORD_0 src1_sel:DWORD
	v_mul_u32_u24_sdwa v59, v59, s25 dst_sel:DWORD dst_unused:UNUSED_PAD src0_sel:WORD_1 src1_sel:DWORD
	v_pk_fma_f16 v64, v50, v55, v64
	v_pk_fma_f16 v66, v50, v61, v66
	;; [unrolled: 1-line block ×8, first 2 shown]
	ds_read_b128 v[52:55], v19 offset:384
	v_pk_fma_f16 v65, v50, v56, v65
	v_pk_fma_f16 v67, v50, v57, v67
	;; [unrolled: 1-line block ×8, first 2 shown]
	ds_read2_b64 v[48:51], v29 offset1:32
	ds_read_b128 v[56:59], v19 offset:400
	s_waitcnt lgkmcnt(2)
	v_mul_u32_u24_sdwa v73, v52, s25 dst_sel:DWORD dst_unused:UNUSED_PAD src0_sel:WORD_0 src1_sel:DWORD
	v_mul_u32_u24_sdwa v52, v52, s25 dst_sel:DWORD dst_unused:UNUSED_PAD src0_sel:WORD_1 src1_sel:DWORD
	v_mul_u32_u24_sdwa v74, v53, s25 dst_sel:DWORD dst_unused:UNUSED_PAD src0_sel:WORD_0 src1_sel:DWORD
	v_mul_u32_u24_sdwa v53, v53, s25 dst_sel:DWORD dst_unused:UNUSED_PAD src0_sel:WORD_1 src1_sel:DWORD
	;; [unrolled: 2-line block ×4, first 2 shown]
	s_waitcnt lgkmcnt(1)
	v_pk_fma_f16 v64, v48, v73, v64
	v_pk_fma_f16 v65, v48, v52, v65
	;; [unrolled: 1-line block ×16, first 2 shown]
	s_waitcnt lgkmcnt(0)
	v_mul_u32_u24_sdwa v55, v56, s25 dst_sel:DWORD dst_unused:UNUSED_PAD src0_sel:WORD_0 src1_sel:DWORD
	v_mul_u32_u24_sdwa v61, v57, s25 dst_sel:DWORD dst_unused:UNUSED_PAD src0_sel:WORD_0 src1_sel:DWORD
	v_mul_u32_u24_sdwa v57, v57, s25 dst_sel:DWORD dst_unused:UNUSED_PAD src0_sel:WORD_1 src1_sel:DWORD
	v_mul_u32_u24_sdwa v62, v58, s25 dst_sel:DWORD dst_unused:UNUSED_PAD src0_sel:WORD_0 src1_sel:DWORD
	v_mul_u32_u24_sdwa v58, v58, s25 dst_sel:DWORD dst_unused:UNUSED_PAD src0_sel:WORD_1 src1_sel:DWORD
	v_mul_u32_u24_sdwa v56, v56, s25 dst_sel:DWORD dst_unused:UNUSED_PAD src0_sel:WORD_1 src1_sel:DWORD
	v_mul_u32_u24_sdwa v63, v59, s25 dst_sel:DWORD dst_unused:UNUSED_PAD src0_sel:WORD_0 src1_sel:DWORD
	v_mul_u32_u24_sdwa v59, v59, s25 dst_sel:DWORD dst_unused:UNUSED_PAD src0_sel:WORD_1 src1_sel:DWORD
	v_pk_fma_f16 v64, v50, v55, v64
	v_pk_fma_f16 v66, v50, v61, v66
	;; [unrolled: 1-line block ×8, first 2 shown]
	ds_read_b128 v[52:55], v19 offset:416
	v_pk_fma_f16 v65, v50, v56, v65
	v_pk_fma_f16 v67, v50, v57, v67
	;; [unrolled: 1-line block ×8, first 2 shown]
	ds_read2_b64 v[48:51], v29 offset0:64 offset1:96
	ds_read_b128 v[56:59], v19 offset:432
	s_waitcnt lgkmcnt(2)
	v_mul_u32_u24_sdwa v73, v52, s25 dst_sel:DWORD dst_unused:UNUSED_PAD src0_sel:WORD_0 src1_sel:DWORD
	v_mul_u32_u24_sdwa v52, v52, s25 dst_sel:DWORD dst_unused:UNUSED_PAD src0_sel:WORD_1 src1_sel:DWORD
	v_mul_u32_u24_sdwa v74, v53, s25 dst_sel:DWORD dst_unused:UNUSED_PAD src0_sel:WORD_0 src1_sel:DWORD
	v_mul_u32_u24_sdwa v53, v53, s25 dst_sel:DWORD dst_unused:UNUSED_PAD src0_sel:WORD_1 src1_sel:DWORD
	;; [unrolled: 2-line block ×4, first 2 shown]
	s_waitcnt lgkmcnt(1)
	v_pk_fma_f16 v64, v48, v73, v64
	v_pk_fma_f16 v65, v48, v52, v65
	;; [unrolled: 1-line block ×16, first 2 shown]
	s_waitcnt lgkmcnt(0)
	v_mul_u32_u24_sdwa v55, v56, s25 dst_sel:DWORD dst_unused:UNUSED_PAD src0_sel:WORD_0 src1_sel:DWORD
	v_mul_u32_u24_sdwa v61, v57, s25 dst_sel:DWORD dst_unused:UNUSED_PAD src0_sel:WORD_0 src1_sel:DWORD
	v_mul_u32_u24_sdwa v57, v57, s25 dst_sel:DWORD dst_unused:UNUSED_PAD src0_sel:WORD_1 src1_sel:DWORD
	v_mul_u32_u24_sdwa v62, v58, s25 dst_sel:DWORD dst_unused:UNUSED_PAD src0_sel:WORD_0 src1_sel:DWORD
	v_mul_u32_u24_sdwa v58, v58, s25 dst_sel:DWORD dst_unused:UNUSED_PAD src0_sel:WORD_1 src1_sel:DWORD
	v_pk_fma_f16 v64, v50, v55, v64
	v_pk_fma_f16 v32, v51, v55, v32
	;; [unrolled: 1-line block ×5, first 2 shown]
	ds_read_b128 v[52:55], v19 offset:448
	v_mul_u32_u24_sdwa v56, v56, s25 dst_sel:DWORD dst_unused:UNUSED_PAD src0_sel:WORD_1 src1_sel:DWORD
	v_mul_u32_u24_sdwa v63, v59, s25 dst_sel:DWORD dst_unused:UNUSED_PAD src0_sel:WORD_0 src1_sel:DWORD
	v_mul_u32_u24_sdwa v59, v59, s25 dst_sel:DWORD dst_unused:UNUSED_PAD src0_sel:WORD_1 src1_sel:DWORD
	v_pk_fma_f16 v65, v50, v56, v65
	v_pk_fma_f16 v66, v50, v61, v66
	;; [unrolled: 1-line block ×11, first 2 shown]
	ds_read2_b64 v[48:51], v29 offset0:128 offset1:160
	ds_read_b128 v[56:59], v19 offset:464
	s_or_b32 s8, s6, 32
	s_mul_hi_i32 s9, s8, s18
	s_mul_i32 s8, s8, s18
	s_waitcnt lgkmcnt(2)
	v_mul_u32_u24_sdwa v30, v52, s25 dst_sel:DWORD dst_unused:UNUSED_PAD src0_sel:WORD_0 src1_sel:DWORD
	s_lshl_b64 s[8:9], s[8:9], 2
	s_waitcnt lgkmcnt(1)
	v_pk_fma_f16 v100, v48, v30, v64
	v_pk_fma_f16 v32, v49, v30, v32
	v_mov_b32_e32 v31, s9
	v_add_co_u32_e32 v30, vcc, s8, v21
	v_mul_u32_u24_sdwa v87, v52, s25 dst_sel:DWORD dst_unused:UNUSED_PAD src0_sel:WORD_1 src1_sel:DWORD
	v_mul_u32_u24_sdwa v94, v53, s25 dst_sel:DWORD dst_unused:UNUSED_PAD src0_sel:WORD_0 src1_sel:DWORD
	v_mul_u32_u24_sdwa v95, v53, s25 dst_sel:DWORD dst_unused:UNUSED_PAD src0_sel:WORD_1 src1_sel:DWORD
	v_mul_u32_u24_sdwa v96, v54, s25 dst_sel:DWORD dst_unused:UNUSED_PAD src0_sel:WORD_0 src1_sel:DWORD
	;; [unrolled: 2-line block ×3, first 2 shown]
	v_mul_u32_u24_sdwa v99, v55, s25 dst_sel:DWORD dst_unused:UNUSED_PAD src0_sel:WORD_1 src1_sel:DWORD
	v_addc_co_u32_e32 v31, vcc, v22, v31, vcc
	v_pk_fma_f16 v101, v48, v87, v65
	v_pk_fma_f16 v102, v48, v94, v66
	v_pk_fma_f16 v103, v48, v95, v67
	v_pk_fma_f16 v104, v48, v96, v68
	v_pk_fma_f16 v105, v48, v97, v69
	v_pk_fma_f16 v106, v48, v98, v70
	v_pk_fma_f16 v48, v48, v99, v71
	ds_read2_b64 v[52:55], v29 offset0:192 offset1:224
	ds_read_b128 v[60:63], v19 offset:480
	ds_read_b128 v[64:67], v19 offset:496
	s_waitcnt lgkmcnt(0)
	s_barrier
	global_load_dwordx4 v[68:71], v[30:31], off
	v_pk_fma_f16 v30, v49, v87, v72
	v_pk_fma_f16 v31, v49, v94, v73
	v_pk_fma_f16 v72, v49, v95, v74
	v_pk_fma_f16 v73, v49, v96, v75
	v_pk_fma_f16 v74, v49, v97, v84
	v_pk_fma_f16 v75, v49, v98, v85
	v_pk_fma_f16 v49, v49, v99, v86
	v_mul_u32_u24_sdwa v84, v56, s25 dst_sel:DWORD dst_unused:UNUSED_PAD src0_sel:WORD_0 src1_sel:DWORD
	v_mul_u32_u24_sdwa v56, v56, s25 dst_sel:DWORD dst_unused:UNUSED_PAD src0_sel:WORD_1 src1_sel:DWORD
	v_mul_u32_u24_sdwa v85, v57, s25 dst_sel:DWORD dst_unused:UNUSED_PAD src0_sel:WORD_0 src1_sel:DWORD
	v_mul_u32_u24_sdwa v57, v57, s25 dst_sel:DWORD dst_unused:UNUSED_PAD src0_sel:WORD_1 src1_sel:DWORD
	v_mul_u32_u24_sdwa v86, v58, s25 dst_sel:DWORD dst_unused:UNUSED_PAD src0_sel:WORD_0 src1_sel:DWORD
	v_mul_u32_u24_sdwa v58, v58, s25 dst_sel:DWORD dst_unused:UNUSED_PAD src0_sel:WORD_1 src1_sel:DWORD
	v_mul_u32_u24_sdwa v87, v59, s25 dst_sel:DWORD dst_unused:UNUSED_PAD src0_sel:WORD_0 src1_sel:DWORD
	v_mul_u32_u24_sdwa v59, v59, s25 dst_sel:DWORD dst_unused:UNUSED_PAD src0_sel:WORD_1 src1_sel:DWORD
	v_pk_fma_f16 v94, v50, v84, v100
	v_pk_fma_f16 v95, v50, v56, v101
	v_pk_fma_f16 v96, v50, v85, v102
	v_pk_fma_f16 v97, v50, v57, v103
	v_pk_fma_f16 v98, v50, v86, v104
	v_pk_fma_f16 v99, v50, v58, v105
	v_pk_fma_f16 v100, v50, v87, v106
	v_pk_fma_f16 v48, v50, v59, v48
	v_pk_fma_f16 v32, v51, v84, v32
	v_pk_fma_f16 v30, v51, v56, v30
	v_pk_fma_f16 v31, v51, v85, v31
	v_pk_fma_f16 v50, v51, v57, v72
	v_pk_fma_f16 v56, v51, v86, v73
	v_pk_fma_f16 v57, v51, v58, v74
	v_pk_fma_f16 v58, v51, v87, v75
	v_pk_fma_f16 v49, v51, v59, v49
	v_mul_u32_u24_sdwa v51, v60, s25 dst_sel:DWORD dst_unused:UNUSED_PAD src0_sel:WORD_0 src1_sel:DWORD
	v_mul_u32_u24_sdwa v59, v60, s25 dst_sel:DWORD dst_unused:UNUSED_PAD src0_sel:WORD_1 src1_sel:DWORD
	v_mul_u32_u24_sdwa v60, v61, s25 dst_sel:DWORD dst_unused:UNUSED_PAD src0_sel:WORD_0 src1_sel:DWORD
	v_mul_u32_u24_sdwa v61, v61, s25 dst_sel:DWORD dst_unused:UNUSED_PAD src0_sel:WORD_1 src1_sel:DWORD
	v_mul_u32_u24_sdwa v72, v62, s25 dst_sel:DWORD dst_unused:UNUSED_PAD src0_sel:WORD_0 src1_sel:DWORD
	v_mul_u32_u24_sdwa v62, v62, s25 dst_sel:DWORD dst_unused:UNUSED_PAD src0_sel:WORD_1 src1_sel:DWORD
	v_mul_u32_u24_sdwa v73, v63, s25 dst_sel:DWORD dst_unused:UNUSED_PAD src0_sel:WORD_0 src1_sel:DWORD
	v_mul_u32_u24_sdwa v63, v63, s25 dst_sel:DWORD dst_unused:UNUSED_PAD src0_sel:WORD_1 src1_sel:DWORD
	v_pk_fma_f16 v74, v52, v51, v94
	v_pk_fma_f16 v75, v52, v59, v95
	v_pk_fma_f16 v84, v52, v60, v96
	v_pk_fma_f16 v85, v52, v61, v97
	v_pk_fma_f16 v86, v52, v72, v98
	v_pk_fma_f16 v87, v52, v62, v99
	v_pk_fma_f16 v94, v52, v73, v100
	v_pk_fma_f16 v48, v52, v63, v48
	v_pk_fma_f16 v32, v53, v51, v32
	;; [unrolled: 24-line block ×3, first 2 shown]
	v_pk_fma_f16 v30, v55, v57, v30
	v_pk_fma_f16 v31, v55, v58, v31
	;; [unrolled: 1-line block ×7, first 2 shown]
	s_waitcnt vmcnt(0)
	ds_write_b128 v20, v[68:71]
	s_waitcnt lgkmcnt(0)
	s_barrier
	ds_read_b128 v[48:51], v19 offset:512
	ds_read2_b64 v[52:55], v23 offset1:32
	ds_read_b128 v[56:59], v19 offset:528
	ds_read_b128 v[60:63], v19 offset:544
	;; [unrolled: 1-line block ×3, first 2 shown]
	s_waitcnt lgkmcnt(4)
	v_mul_u32_u24_sdwa v68, v48, s25 dst_sel:DWORD dst_unused:UNUSED_PAD src0_sel:WORD_0 src1_sel:DWORD
	v_mul_u32_u24_sdwa v48, v48, s25 dst_sel:DWORD dst_unused:UNUSED_PAD src0_sel:WORD_1 src1_sel:DWORD
	v_mul_u32_u24_sdwa v69, v49, s25 dst_sel:DWORD dst_unused:UNUSED_PAD src0_sel:WORD_0 src1_sel:DWORD
	v_mul_u32_u24_sdwa v49, v49, s25 dst_sel:DWORD dst_unused:UNUSED_PAD src0_sel:WORD_1 src1_sel:DWORD
	v_mul_u32_u24_sdwa v70, v50, s25 dst_sel:DWORD dst_unused:UNUSED_PAD src0_sel:WORD_0 src1_sel:DWORD
	v_mul_u32_u24_sdwa v50, v50, s25 dst_sel:DWORD dst_unused:UNUSED_PAD src0_sel:WORD_1 src1_sel:DWORD
	v_mul_u32_u24_sdwa v71, v51, s25 dst_sel:DWORD dst_unused:UNUSED_PAD src0_sel:WORD_0 src1_sel:DWORD
	v_mul_u32_u24_sdwa v51, v51, s25 dst_sel:DWORD dst_unused:UNUSED_PAD src0_sel:WORD_1 src1_sel:DWORD
	s_waitcnt lgkmcnt(3)
	v_pk_fma_f16 v72, v52, v68, v72
	v_pk_fma_f16 v73, v52, v48, v73
	;; [unrolled: 1-line block ×16, first 2 shown]
	s_waitcnt lgkmcnt(2)
	v_mul_u32_u24_sdwa v53, v56, s25 dst_sel:DWORD dst_unused:UNUSED_PAD src0_sel:WORD_0 src1_sel:DWORD
	v_mul_u32_u24_sdwa v56, v56, s25 dst_sel:DWORD dst_unused:UNUSED_PAD src0_sel:WORD_1 src1_sel:DWORD
	v_mul_u32_u24_sdwa v69, v57, s25 dst_sel:DWORD dst_unused:UNUSED_PAD src0_sel:WORD_0 src1_sel:DWORD
	v_mul_u32_u24_sdwa v57, v57, s25 dst_sel:DWORD dst_unused:UNUSED_PAD src0_sel:WORD_1 src1_sel:DWORD
	;; [unrolled: 2-line block ×4, first 2 shown]
	v_pk_fma_f16 v72, v54, v53, v72
	v_pk_fma_f16 v73, v54, v56, v73
	;; [unrolled: 1-line block ×16, first 2 shown]
	ds_read2_b64 v[48:51], v23 offset0:64 offset1:96
	s_waitcnt lgkmcnt(2)
	v_mul_u32_u24_sdwa v58, v60, s25 dst_sel:DWORD dst_unused:UNUSED_PAD src0_sel:WORD_0 src1_sel:DWORD
	v_mul_u32_u24_sdwa v59, v60, s25 dst_sel:DWORD dst_unused:UNUSED_PAD src0_sel:WORD_1 src1_sel:DWORD
	v_mul_u32_u24_sdwa v60, v61, s25 dst_sel:DWORD dst_unused:UNUSED_PAD src0_sel:WORD_0 src1_sel:DWORD
	v_mul_u32_u24_sdwa v61, v61, s25 dst_sel:DWORD dst_unused:UNUSED_PAD src0_sel:WORD_1 src1_sel:DWORD
	;; [unrolled: 2-line block ×4, first 2 shown]
	s_waitcnt lgkmcnt(0)
	v_pk_fma_f16 v70, v48, v58, v72
	v_pk_fma_f16 v71, v48, v59, v73
	;; [unrolled: 1-line block ×16, first 2 shown]
	v_mul_u32_u24_sdwa v55, v64, s25 dst_sel:DWORD dst_unused:UNUSED_PAD src0_sel:WORD_0 src1_sel:DWORD
	v_mul_u32_u24_sdwa v58, v65, s25 dst_sel:DWORD dst_unused:UNUSED_PAD src0_sel:WORD_0 src1_sel:DWORD
	v_mul_u32_u24_sdwa v59, v65, s25 dst_sel:DWORD dst_unused:UNUSED_PAD src0_sel:WORD_1 src1_sel:DWORD
	v_mul_u32_u24_sdwa v60, v66, s25 dst_sel:DWORD dst_unused:UNUSED_PAD src0_sel:WORD_0 src1_sel:DWORD
	v_mul_u32_u24_sdwa v61, v66, s25 dst_sel:DWORD dst_unused:UNUSED_PAD src0_sel:WORD_1 src1_sel:DWORD
	v_mul_u32_u24_sdwa v57, v64, s25 dst_sel:DWORD dst_unused:UNUSED_PAD src0_sel:WORD_1 src1_sel:DWORD
	v_mul_u32_u24_sdwa v62, v67, s25 dst_sel:DWORD dst_unused:UNUSED_PAD src0_sel:WORD_0 src1_sel:DWORD
	v_mul_u32_u24_sdwa v63, v67, s25 dst_sel:DWORD dst_unused:UNUSED_PAD src0_sel:WORD_1 src1_sel:DWORD
	v_pk_fma_f16 v64, v50, v55, v70
	v_pk_fma_f16 v66, v50, v58, v72
	;; [unrolled: 1-line block ×8, first 2 shown]
	ds_read_b128 v[52:55], v19 offset:576
	v_pk_fma_f16 v65, v50, v57, v71
	v_pk_fma_f16 v67, v50, v59, v73
	;; [unrolled: 1-line block ×8, first 2 shown]
	ds_read2_b64 v[48:51], v23 offset0:128 offset1:160
	ds_read_b128 v[56:59], v19 offset:592
	s_waitcnt lgkmcnt(2)
	v_mul_u32_u24_sdwa v73, v52, s25 dst_sel:DWORD dst_unused:UNUSED_PAD src0_sel:WORD_0 src1_sel:DWORD
	v_mul_u32_u24_sdwa v52, v52, s25 dst_sel:DWORD dst_unused:UNUSED_PAD src0_sel:WORD_1 src1_sel:DWORD
	v_mul_u32_u24_sdwa v74, v53, s25 dst_sel:DWORD dst_unused:UNUSED_PAD src0_sel:WORD_0 src1_sel:DWORD
	v_mul_u32_u24_sdwa v53, v53, s25 dst_sel:DWORD dst_unused:UNUSED_PAD src0_sel:WORD_1 src1_sel:DWORD
	;; [unrolled: 2-line block ×4, first 2 shown]
	s_waitcnt lgkmcnt(1)
	v_pk_fma_f16 v64, v48, v73, v64
	v_pk_fma_f16 v65, v48, v52, v65
	;; [unrolled: 1-line block ×16, first 2 shown]
	s_waitcnt lgkmcnt(0)
	v_mul_u32_u24_sdwa v55, v56, s25 dst_sel:DWORD dst_unused:UNUSED_PAD src0_sel:WORD_0 src1_sel:DWORD
	v_mul_u32_u24_sdwa v61, v57, s25 dst_sel:DWORD dst_unused:UNUSED_PAD src0_sel:WORD_0 src1_sel:DWORD
	v_mul_u32_u24_sdwa v57, v57, s25 dst_sel:DWORD dst_unused:UNUSED_PAD src0_sel:WORD_1 src1_sel:DWORD
	v_mul_u32_u24_sdwa v62, v58, s25 dst_sel:DWORD dst_unused:UNUSED_PAD src0_sel:WORD_0 src1_sel:DWORD
	v_mul_u32_u24_sdwa v58, v58, s25 dst_sel:DWORD dst_unused:UNUSED_PAD src0_sel:WORD_1 src1_sel:DWORD
	v_mul_u32_u24_sdwa v56, v56, s25 dst_sel:DWORD dst_unused:UNUSED_PAD src0_sel:WORD_1 src1_sel:DWORD
	v_mul_u32_u24_sdwa v63, v59, s25 dst_sel:DWORD dst_unused:UNUSED_PAD src0_sel:WORD_0 src1_sel:DWORD
	v_mul_u32_u24_sdwa v59, v59, s25 dst_sel:DWORD dst_unused:UNUSED_PAD src0_sel:WORD_1 src1_sel:DWORD
	v_pk_fma_f16 v64, v50, v55, v64
	v_pk_fma_f16 v66, v50, v61, v66
	;; [unrolled: 1-line block ×8, first 2 shown]
	ds_read_b128 v[52:55], v19 offset:608
	v_pk_fma_f16 v65, v50, v56, v65
	v_pk_fma_f16 v67, v50, v57, v67
	;; [unrolled: 1-line block ×8, first 2 shown]
	ds_read2_b64 v[48:51], v23 offset0:192 offset1:224
	ds_read_b128 v[56:59], v19 offset:624
	s_waitcnt lgkmcnt(2)
	v_mul_u32_u24_sdwa v73, v52, s25 dst_sel:DWORD dst_unused:UNUSED_PAD src0_sel:WORD_0 src1_sel:DWORD
	v_mul_u32_u24_sdwa v52, v52, s25 dst_sel:DWORD dst_unused:UNUSED_PAD src0_sel:WORD_1 src1_sel:DWORD
	v_mul_u32_u24_sdwa v74, v53, s25 dst_sel:DWORD dst_unused:UNUSED_PAD src0_sel:WORD_0 src1_sel:DWORD
	v_mul_u32_u24_sdwa v53, v53, s25 dst_sel:DWORD dst_unused:UNUSED_PAD src0_sel:WORD_1 src1_sel:DWORD
	;; [unrolled: 2-line block ×4, first 2 shown]
	s_waitcnt lgkmcnt(1)
	v_pk_fma_f16 v64, v48, v73, v64
	v_pk_fma_f16 v65, v48, v52, v65
	;; [unrolled: 1-line block ×16, first 2 shown]
	s_waitcnt lgkmcnt(0)
	v_mul_u32_u24_sdwa v55, v56, s25 dst_sel:DWORD dst_unused:UNUSED_PAD src0_sel:WORD_0 src1_sel:DWORD
	v_mul_u32_u24_sdwa v61, v57, s25 dst_sel:DWORD dst_unused:UNUSED_PAD src0_sel:WORD_0 src1_sel:DWORD
	v_mul_u32_u24_sdwa v57, v57, s25 dst_sel:DWORD dst_unused:UNUSED_PAD src0_sel:WORD_1 src1_sel:DWORD
	v_mul_u32_u24_sdwa v62, v58, s25 dst_sel:DWORD dst_unused:UNUSED_PAD src0_sel:WORD_0 src1_sel:DWORD
	v_mul_u32_u24_sdwa v58, v58, s25 dst_sel:DWORD dst_unused:UNUSED_PAD src0_sel:WORD_1 src1_sel:DWORD
	v_mul_u32_u24_sdwa v56, v56, s25 dst_sel:DWORD dst_unused:UNUSED_PAD src0_sel:WORD_1 src1_sel:DWORD
	v_mul_u32_u24_sdwa v63, v59, s25 dst_sel:DWORD dst_unused:UNUSED_PAD src0_sel:WORD_0 src1_sel:DWORD
	v_mul_u32_u24_sdwa v59, v59, s25 dst_sel:DWORD dst_unused:UNUSED_PAD src0_sel:WORD_1 src1_sel:DWORD
	v_pk_fma_f16 v64, v50, v55, v64
	v_pk_fma_f16 v66, v50, v61, v66
	;; [unrolled: 1-line block ×8, first 2 shown]
	ds_read_b128 v[52:55], v19 offset:640
	v_pk_fma_f16 v65, v50, v56, v65
	v_pk_fma_f16 v67, v50, v57, v67
	;; [unrolled: 1-line block ×8, first 2 shown]
	ds_read2_b64 v[48:51], v29 offset1:32
	ds_read_b128 v[56:59], v19 offset:656
	s_waitcnt lgkmcnt(2)
	v_mul_u32_u24_sdwa v73, v52, s25 dst_sel:DWORD dst_unused:UNUSED_PAD src0_sel:WORD_0 src1_sel:DWORD
	v_mul_u32_u24_sdwa v52, v52, s25 dst_sel:DWORD dst_unused:UNUSED_PAD src0_sel:WORD_1 src1_sel:DWORD
	v_mul_u32_u24_sdwa v74, v53, s25 dst_sel:DWORD dst_unused:UNUSED_PAD src0_sel:WORD_0 src1_sel:DWORD
	v_mul_u32_u24_sdwa v53, v53, s25 dst_sel:DWORD dst_unused:UNUSED_PAD src0_sel:WORD_1 src1_sel:DWORD
	;; [unrolled: 2-line block ×4, first 2 shown]
	s_waitcnt lgkmcnt(1)
	v_pk_fma_f16 v64, v48, v73, v64
	v_pk_fma_f16 v65, v48, v52, v65
	;; [unrolled: 1-line block ×16, first 2 shown]
	s_waitcnt lgkmcnt(0)
	v_mul_u32_u24_sdwa v55, v56, s25 dst_sel:DWORD dst_unused:UNUSED_PAD src0_sel:WORD_0 src1_sel:DWORD
	v_mul_u32_u24_sdwa v61, v57, s25 dst_sel:DWORD dst_unused:UNUSED_PAD src0_sel:WORD_0 src1_sel:DWORD
	v_mul_u32_u24_sdwa v57, v57, s25 dst_sel:DWORD dst_unused:UNUSED_PAD src0_sel:WORD_1 src1_sel:DWORD
	v_mul_u32_u24_sdwa v62, v58, s25 dst_sel:DWORD dst_unused:UNUSED_PAD src0_sel:WORD_0 src1_sel:DWORD
	v_mul_u32_u24_sdwa v58, v58, s25 dst_sel:DWORD dst_unused:UNUSED_PAD src0_sel:WORD_1 src1_sel:DWORD
	v_mul_u32_u24_sdwa v56, v56, s25 dst_sel:DWORD dst_unused:UNUSED_PAD src0_sel:WORD_1 src1_sel:DWORD
	v_mul_u32_u24_sdwa v63, v59, s25 dst_sel:DWORD dst_unused:UNUSED_PAD src0_sel:WORD_0 src1_sel:DWORD
	v_mul_u32_u24_sdwa v59, v59, s25 dst_sel:DWORD dst_unused:UNUSED_PAD src0_sel:WORD_1 src1_sel:DWORD
	v_pk_fma_f16 v64, v50, v55, v64
	v_pk_fma_f16 v66, v50, v61, v66
	;; [unrolled: 1-line block ×8, first 2 shown]
	ds_read_b128 v[52:55], v19 offset:672
	v_pk_fma_f16 v65, v50, v56, v65
	v_pk_fma_f16 v67, v50, v57, v67
	;; [unrolled: 1-line block ×8, first 2 shown]
	ds_read2_b64 v[48:51], v29 offset0:64 offset1:96
	ds_read_b128 v[56:59], v19 offset:688
	s_waitcnt lgkmcnt(2)
	v_mul_u32_u24_sdwa v73, v52, s25 dst_sel:DWORD dst_unused:UNUSED_PAD src0_sel:WORD_0 src1_sel:DWORD
	v_mul_u32_u24_sdwa v52, v52, s25 dst_sel:DWORD dst_unused:UNUSED_PAD src0_sel:WORD_1 src1_sel:DWORD
	v_mul_u32_u24_sdwa v74, v53, s25 dst_sel:DWORD dst_unused:UNUSED_PAD src0_sel:WORD_0 src1_sel:DWORD
	v_mul_u32_u24_sdwa v53, v53, s25 dst_sel:DWORD dst_unused:UNUSED_PAD src0_sel:WORD_1 src1_sel:DWORD
	;; [unrolled: 2-line block ×4, first 2 shown]
	s_waitcnt lgkmcnt(1)
	v_pk_fma_f16 v64, v48, v73, v64
	v_pk_fma_f16 v65, v48, v52, v65
	;; [unrolled: 1-line block ×16, first 2 shown]
	s_waitcnt lgkmcnt(0)
	v_mul_u32_u24_sdwa v55, v56, s25 dst_sel:DWORD dst_unused:UNUSED_PAD src0_sel:WORD_0 src1_sel:DWORD
	v_mul_u32_u24_sdwa v61, v57, s25 dst_sel:DWORD dst_unused:UNUSED_PAD src0_sel:WORD_0 src1_sel:DWORD
	v_mul_u32_u24_sdwa v57, v57, s25 dst_sel:DWORD dst_unused:UNUSED_PAD src0_sel:WORD_1 src1_sel:DWORD
	v_mul_u32_u24_sdwa v62, v58, s25 dst_sel:DWORD dst_unused:UNUSED_PAD src0_sel:WORD_0 src1_sel:DWORD
	v_mul_u32_u24_sdwa v58, v58, s25 dst_sel:DWORD dst_unused:UNUSED_PAD src0_sel:WORD_1 src1_sel:DWORD
	v_pk_fma_f16 v64, v50, v55, v64
	v_pk_fma_f16 v32, v51, v55, v32
	;; [unrolled: 1-line block ×5, first 2 shown]
	ds_read_b128 v[52:55], v19 offset:704
	v_mul_u32_u24_sdwa v56, v56, s25 dst_sel:DWORD dst_unused:UNUSED_PAD src0_sel:WORD_1 src1_sel:DWORD
	v_mul_u32_u24_sdwa v63, v59, s25 dst_sel:DWORD dst_unused:UNUSED_PAD src0_sel:WORD_0 src1_sel:DWORD
	v_mul_u32_u24_sdwa v59, v59, s25 dst_sel:DWORD dst_unused:UNUSED_PAD src0_sel:WORD_1 src1_sel:DWORD
	v_pk_fma_f16 v65, v50, v56, v65
	v_pk_fma_f16 v66, v50, v61, v66
	v_pk_fma_f16 v67, v50, v57, v67
	v_pk_fma_f16 v68, v50, v62, v68
	v_pk_fma_f16 v69, v50, v58, v69
	v_pk_fma_f16 v70, v50, v63, v70
	v_pk_fma_f16 v71, v50, v59, v48
	v_pk_fma_f16 v72, v51, v56, v30
	v_pk_fma_f16 v73, v51, v61, v31
	v_pk_fma_f16 v85, v51, v63, v60
	v_pk_fma_f16 v86, v51, v59, v49
	ds_read2_b64 v[48:51], v29 offset0:128 offset1:160
	ds_read_b128 v[56:59], v19 offset:720
	s_or_b32 s8, s6, 48
	s_mul_hi_i32 s9, s8, s18
	s_mul_i32 s8, s8, s18
	s_waitcnt lgkmcnt(2)
	v_mul_u32_u24_sdwa v30, v52, s25 dst_sel:DWORD dst_unused:UNUSED_PAD src0_sel:WORD_0 src1_sel:DWORD
	s_lshl_b64 s[8:9], s[8:9], 2
	s_waitcnt lgkmcnt(1)
	v_pk_fma_f16 v100, v48, v30, v64
	v_pk_fma_f16 v32, v49, v30, v32
	v_mov_b32_e32 v31, s9
	v_add_co_u32_e32 v30, vcc, s8, v21
	v_mul_u32_u24_sdwa v87, v52, s25 dst_sel:DWORD dst_unused:UNUSED_PAD src0_sel:WORD_1 src1_sel:DWORD
	v_mul_u32_u24_sdwa v94, v53, s25 dst_sel:DWORD dst_unused:UNUSED_PAD src0_sel:WORD_0 src1_sel:DWORD
	v_mul_u32_u24_sdwa v95, v53, s25 dst_sel:DWORD dst_unused:UNUSED_PAD src0_sel:WORD_1 src1_sel:DWORD
	v_mul_u32_u24_sdwa v96, v54, s25 dst_sel:DWORD dst_unused:UNUSED_PAD src0_sel:WORD_0 src1_sel:DWORD
	;; [unrolled: 2-line block ×3, first 2 shown]
	v_mul_u32_u24_sdwa v99, v55, s25 dst_sel:DWORD dst_unused:UNUSED_PAD src0_sel:WORD_1 src1_sel:DWORD
	v_addc_co_u32_e32 v31, vcc, v22, v31, vcc
	v_pk_fma_f16 v101, v48, v87, v65
	v_pk_fma_f16 v102, v48, v94, v66
	;; [unrolled: 1-line block ×7, first 2 shown]
	ds_read2_b64 v[52:55], v29 offset0:192 offset1:224
	ds_read_b128 v[60:63], v19 offset:736
	ds_read_b128 v[64:67], v19 offset:752
	s_waitcnt lgkmcnt(0)
	s_barrier
	global_load_dwordx4 v[68:71], v[30:31], off
	v_pk_fma_f16 v30, v49, v87, v72
	v_pk_fma_f16 v31, v49, v94, v73
	v_pk_fma_f16 v72, v49, v95, v74
	v_pk_fma_f16 v73, v49, v96, v75
	v_pk_fma_f16 v74, v49, v97, v84
	v_pk_fma_f16 v75, v49, v98, v85
	v_pk_fma_f16 v49, v49, v99, v86
	v_mul_u32_u24_sdwa v84, v56, s25 dst_sel:DWORD dst_unused:UNUSED_PAD src0_sel:WORD_0 src1_sel:DWORD
	v_mul_u32_u24_sdwa v56, v56, s25 dst_sel:DWORD dst_unused:UNUSED_PAD src0_sel:WORD_1 src1_sel:DWORD
	v_mul_u32_u24_sdwa v85, v57, s25 dst_sel:DWORD dst_unused:UNUSED_PAD src0_sel:WORD_0 src1_sel:DWORD
	v_mul_u32_u24_sdwa v57, v57, s25 dst_sel:DWORD dst_unused:UNUSED_PAD src0_sel:WORD_1 src1_sel:DWORD
	v_mul_u32_u24_sdwa v86, v58, s25 dst_sel:DWORD dst_unused:UNUSED_PAD src0_sel:WORD_0 src1_sel:DWORD
	v_mul_u32_u24_sdwa v58, v58, s25 dst_sel:DWORD dst_unused:UNUSED_PAD src0_sel:WORD_1 src1_sel:DWORD
	v_mul_u32_u24_sdwa v87, v59, s25 dst_sel:DWORD dst_unused:UNUSED_PAD src0_sel:WORD_0 src1_sel:DWORD
	v_mul_u32_u24_sdwa v59, v59, s25 dst_sel:DWORD dst_unused:UNUSED_PAD src0_sel:WORD_1 src1_sel:DWORD
	v_pk_fma_f16 v94, v50, v84, v100
	v_pk_fma_f16 v95, v50, v56, v101
	v_pk_fma_f16 v96, v50, v85, v102
	v_pk_fma_f16 v97, v50, v57, v103
	v_pk_fma_f16 v98, v50, v86, v104
	v_pk_fma_f16 v99, v50, v58, v105
	v_pk_fma_f16 v100, v50, v87, v106
	v_pk_fma_f16 v48, v50, v59, v48
	v_pk_fma_f16 v32, v51, v84, v32
	v_pk_fma_f16 v30, v51, v56, v30
	v_pk_fma_f16 v31, v51, v85, v31
	v_pk_fma_f16 v50, v51, v57, v72
	v_pk_fma_f16 v56, v51, v86, v73
	v_pk_fma_f16 v57, v51, v58, v74
	v_pk_fma_f16 v58, v51, v87, v75
	v_pk_fma_f16 v49, v51, v59, v49
	v_mul_u32_u24_sdwa v51, v60, s25 dst_sel:DWORD dst_unused:UNUSED_PAD src0_sel:WORD_0 src1_sel:DWORD
	v_mul_u32_u24_sdwa v59, v60, s25 dst_sel:DWORD dst_unused:UNUSED_PAD src0_sel:WORD_1 src1_sel:DWORD
	v_mul_u32_u24_sdwa v60, v61, s25 dst_sel:DWORD dst_unused:UNUSED_PAD src0_sel:WORD_0 src1_sel:DWORD
	v_mul_u32_u24_sdwa v61, v61, s25 dst_sel:DWORD dst_unused:UNUSED_PAD src0_sel:WORD_1 src1_sel:DWORD
	v_mul_u32_u24_sdwa v72, v62, s25 dst_sel:DWORD dst_unused:UNUSED_PAD src0_sel:WORD_0 src1_sel:DWORD
	v_mul_u32_u24_sdwa v62, v62, s25 dst_sel:DWORD dst_unused:UNUSED_PAD src0_sel:WORD_1 src1_sel:DWORD
	v_mul_u32_u24_sdwa v73, v63, s25 dst_sel:DWORD dst_unused:UNUSED_PAD src0_sel:WORD_0 src1_sel:DWORD
	v_mul_u32_u24_sdwa v63, v63, s25 dst_sel:DWORD dst_unused:UNUSED_PAD src0_sel:WORD_1 src1_sel:DWORD
	v_pk_fma_f16 v74, v52, v51, v94
	v_pk_fma_f16 v75, v52, v59, v95
	v_pk_fma_f16 v84, v52, v60, v96
	v_pk_fma_f16 v85, v52, v61, v97
	v_pk_fma_f16 v86, v52, v72, v98
	v_pk_fma_f16 v87, v52, v62, v99
	v_pk_fma_f16 v94, v52, v73, v100
	v_pk_fma_f16 v48, v52, v63, v48
	v_pk_fma_f16 v32, v53, v51, v32
	;; [unrolled: 24-line block ×3, first 2 shown]
	v_pk_fma_f16 v30, v55, v57, v30
	v_pk_fma_f16 v31, v55, v58, v31
	;; [unrolled: 1-line block ×7, first 2 shown]
	s_waitcnt vmcnt(0)
	ds_write_b128 v20, v[68:71]
	s_waitcnt lgkmcnt(0)
	s_barrier
	ds_read_b128 v[48:51], v19 offset:768
	ds_read2_b64 v[52:55], v23 offset1:32
	ds_read_b128 v[56:59], v19 offset:784
	ds_read_b128 v[60:63], v19 offset:800
	;; [unrolled: 1-line block ×3, first 2 shown]
	s_waitcnt lgkmcnt(4)
	v_mul_u32_u24_sdwa v68, v48, s25 dst_sel:DWORD dst_unused:UNUSED_PAD src0_sel:WORD_0 src1_sel:DWORD
	v_mul_u32_u24_sdwa v48, v48, s25 dst_sel:DWORD dst_unused:UNUSED_PAD src0_sel:WORD_1 src1_sel:DWORD
	v_mul_u32_u24_sdwa v69, v49, s25 dst_sel:DWORD dst_unused:UNUSED_PAD src0_sel:WORD_0 src1_sel:DWORD
	v_mul_u32_u24_sdwa v49, v49, s25 dst_sel:DWORD dst_unused:UNUSED_PAD src0_sel:WORD_1 src1_sel:DWORD
	;; [unrolled: 2-line block ×4, first 2 shown]
	s_waitcnt lgkmcnt(3)
	v_pk_fma_f16 v72, v52, v68, v72
	v_pk_fma_f16 v73, v52, v48, v73
	;; [unrolled: 1-line block ×16, first 2 shown]
	s_waitcnt lgkmcnt(2)
	v_mul_u32_u24_sdwa v53, v56, s25 dst_sel:DWORD dst_unused:UNUSED_PAD src0_sel:WORD_0 src1_sel:DWORD
	v_mul_u32_u24_sdwa v56, v56, s25 dst_sel:DWORD dst_unused:UNUSED_PAD src0_sel:WORD_1 src1_sel:DWORD
	v_mul_u32_u24_sdwa v69, v57, s25 dst_sel:DWORD dst_unused:UNUSED_PAD src0_sel:WORD_0 src1_sel:DWORD
	v_mul_u32_u24_sdwa v57, v57, s25 dst_sel:DWORD dst_unused:UNUSED_PAD src0_sel:WORD_1 src1_sel:DWORD
	;; [unrolled: 2-line block ×4, first 2 shown]
	v_pk_fma_f16 v72, v54, v53, v72
	v_pk_fma_f16 v73, v54, v56, v73
	;; [unrolled: 1-line block ×16, first 2 shown]
	ds_read2_b64 v[48:51], v23 offset0:64 offset1:96
	s_waitcnt lgkmcnt(2)
	v_mul_u32_u24_sdwa v58, v60, s25 dst_sel:DWORD dst_unused:UNUSED_PAD src0_sel:WORD_0 src1_sel:DWORD
	v_mul_u32_u24_sdwa v59, v60, s25 dst_sel:DWORD dst_unused:UNUSED_PAD src0_sel:WORD_1 src1_sel:DWORD
	v_mul_u32_u24_sdwa v60, v61, s25 dst_sel:DWORD dst_unused:UNUSED_PAD src0_sel:WORD_0 src1_sel:DWORD
	v_mul_u32_u24_sdwa v61, v61, s25 dst_sel:DWORD dst_unused:UNUSED_PAD src0_sel:WORD_1 src1_sel:DWORD
	;; [unrolled: 2-line block ×4, first 2 shown]
	s_waitcnt lgkmcnt(0)
	v_pk_fma_f16 v70, v48, v58, v72
	v_pk_fma_f16 v71, v48, v59, v73
	v_pk_fma_f16 v72, v48, v60, v74
	v_pk_fma_f16 v73, v48, v61, v75
	v_pk_fma_f16 v74, v48, v68, v84
	v_pk_fma_f16 v75, v48, v62, v85
	v_pk_fma_f16 v84, v48, v69, v86
	v_pk_fma_f16 v48, v48, v63, v52
	v_pk_fma_f16 v32, v49, v58, v32
	v_pk_fma_f16 v30, v49, v59, v30
	v_pk_fma_f16 v31, v49, v60, v31
	v_pk_fma_f16 v52, v49, v61, v53
	v_pk_fma_f16 v53, v49, v68, v54
	v_pk_fma_f16 v54, v49, v62, v56
	v_pk_fma_f16 v56, v49, v69, v57
	v_pk_fma_f16 v49, v49, v63, v55
	v_mul_u32_u24_sdwa v55, v64, s25 dst_sel:DWORD dst_unused:UNUSED_PAD src0_sel:WORD_0 src1_sel:DWORD
	v_mul_u32_u24_sdwa v58, v65, s25 dst_sel:DWORD dst_unused:UNUSED_PAD src0_sel:WORD_0 src1_sel:DWORD
	v_mul_u32_u24_sdwa v59, v65, s25 dst_sel:DWORD dst_unused:UNUSED_PAD src0_sel:WORD_1 src1_sel:DWORD
	v_mul_u32_u24_sdwa v60, v66, s25 dst_sel:DWORD dst_unused:UNUSED_PAD src0_sel:WORD_0 src1_sel:DWORD
	v_mul_u32_u24_sdwa v61, v66, s25 dst_sel:DWORD dst_unused:UNUSED_PAD src0_sel:WORD_1 src1_sel:DWORD
	v_mul_u32_u24_sdwa v57, v64, s25 dst_sel:DWORD dst_unused:UNUSED_PAD src0_sel:WORD_1 src1_sel:DWORD
	v_mul_u32_u24_sdwa v62, v67, s25 dst_sel:DWORD dst_unused:UNUSED_PAD src0_sel:WORD_0 src1_sel:DWORD
	v_mul_u32_u24_sdwa v63, v67, s25 dst_sel:DWORD dst_unused:UNUSED_PAD src0_sel:WORD_1 src1_sel:DWORD
	v_pk_fma_f16 v64, v50, v55, v70
	v_pk_fma_f16 v66, v50, v58, v72
	;; [unrolled: 1-line block ×8, first 2 shown]
	ds_read_b128 v[52:55], v19 offset:832
	v_pk_fma_f16 v65, v50, v57, v71
	v_pk_fma_f16 v67, v50, v59, v73
	;; [unrolled: 1-line block ×8, first 2 shown]
	ds_read2_b64 v[48:51], v23 offset0:128 offset1:160
	ds_read_b128 v[56:59], v19 offset:848
	s_waitcnt lgkmcnt(2)
	v_mul_u32_u24_sdwa v73, v52, s25 dst_sel:DWORD dst_unused:UNUSED_PAD src0_sel:WORD_0 src1_sel:DWORD
	v_mul_u32_u24_sdwa v52, v52, s25 dst_sel:DWORD dst_unused:UNUSED_PAD src0_sel:WORD_1 src1_sel:DWORD
	v_mul_u32_u24_sdwa v74, v53, s25 dst_sel:DWORD dst_unused:UNUSED_PAD src0_sel:WORD_0 src1_sel:DWORD
	v_mul_u32_u24_sdwa v53, v53, s25 dst_sel:DWORD dst_unused:UNUSED_PAD src0_sel:WORD_1 src1_sel:DWORD
	;; [unrolled: 2-line block ×4, first 2 shown]
	s_waitcnt lgkmcnt(1)
	v_pk_fma_f16 v64, v48, v73, v64
	v_pk_fma_f16 v65, v48, v52, v65
	;; [unrolled: 1-line block ×16, first 2 shown]
	s_waitcnt lgkmcnt(0)
	v_mul_u32_u24_sdwa v55, v56, s25 dst_sel:DWORD dst_unused:UNUSED_PAD src0_sel:WORD_0 src1_sel:DWORD
	v_mul_u32_u24_sdwa v61, v57, s25 dst_sel:DWORD dst_unused:UNUSED_PAD src0_sel:WORD_0 src1_sel:DWORD
	v_mul_u32_u24_sdwa v57, v57, s25 dst_sel:DWORD dst_unused:UNUSED_PAD src0_sel:WORD_1 src1_sel:DWORD
	v_mul_u32_u24_sdwa v62, v58, s25 dst_sel:DWORD dst_unused:UNUSED_PAD src0_sel:WORD_0 src1_sel:DWORD
	v_mul_u32_u24_sdwa v58, v58, s25 dst_sel:DWORD dst_unused:UNUSED_PAD src0_sel:WORD_1 src1_sel:DWORD
	v_mul_u32_u24_sdwa v56, v56, s25 dst_sel:DWORD dst_unused:UNUSED_PAD src0_sel:WORD_1 src1_sel:DWORD
	v_mul_u32_u24_sdwa v63, v59, s25 dst_sel:DWORD dst_unused:UNUSED_PAD src0_sel:WORD_0 src1_sel:DWORD
	v_mul_u32_u24_sdwa v59, v59, s25 dst_sel:DWORD dst_unused:UNUSED_PAD src0_sel:WORD_1 src1_sel:DWORD
	v_pk_fma_f16 v64, v50, v55, v64
	v_pk_fma_f16 v66, v50, v61, v66
	;; [unrolled: 1-line block ×8, first 2 shown]
	ds_read_b128 v[52:55], v19 offset:864
	v_pk_fma_f16 v65, v50, v56, v65
	v_pk_fma_f16 v67, v50, v57, v67
	;; [unrolled: 1-line block ×8, first 2 shown]
	ds_read2_b64 v[48:51], v23 offset0:192 offset1:224
	ds_read_b128 v[56:59], v19 offset:880
	s_waitcnt lgkmcnt(2)
	v_mul_u32_u24_sdwa v73, v52, s25 dst_sel:DWORD dst_unused:UNUSED_PAD src0_sel:WORD_0 src1_sel:DWORD
	v_mul_u32_u24_sdwa v52, v52, s25 dst_sel:DWORD dst_unused:UNUSED_PAD src0_sel:WORD_1 src1_sel:DWORD
	v_mul_u32_u24_sdwa v74, v53, s25 dst_sel:DWORD dst_unused:UNUSED_PAD src0_sel:WORD_0 src1_sel:DWORD
	v_mul_u32_u24_sdwa v53, v53, s25 dst_sel:DWORD dst_unused:UNUSED_PAD src0_sel:WORD_1 src1_sel:DWORD
	v_mul_u32_u24_sdwa v75, v54, s25 dst_sel:DWORD dst_unused:UNUSED_PAD src0_sel:WORD_0 src1_sel:DWORD
	v_mul_u32_u24_sdwa v54, v54, s25 dst_sel:DWORD dst_unused:UNUSED_PAD src0_sel:WORD_1 src1_sel:DWORD
	v_mul_u32_u24_sdwa v84, v55, s25 dst_sel:DWORD dst_unused:UNUSED_PAD src0_sel:WORD_0 src1_sel:DWORD
	v_mul_u32_u24_sdwa v55, v55, s25 dst_sel:DWORD dst_unused:UNUSED_PAD src0_sel:WORD_1 src1_sel:DWORD
	s_waitcnt lgkmcnt(1)
	v_pk_fma_f16 v64, v48, v73, v64
	v_pk_fma_f16 v65, v48, v52, v65
	;; [unrolled: 1-line block ×16, first 2 shown]
	s_waitcnt lgkmcnt(0)
	v_mul_u32_u24_sdwa v55, v56, s25 dst_sel:DWORD dst_unused:UNUSED_PAD src0_sel:WORD_0 src1_sel:DWORD
	v_mul_u32_u24_sdwa v61, v57, s25 dst_sel:DWORD dst_unused:UNUSED_PAD src0_sel:WORD_0 src1_sel:DWORD
	v_mul_u32_u24_sdwa v57, v57, s25 dst_sel:DWORD dst_unused:UNUSED_PAD src0_sel:WORD_1 src1_sel:DWORD
	v_mul_u32_u24_sdwa v62, v58, s25 dst_sel:DWORD dst_unused:UNUSED_PAD src0_sel:WORD_0 src1_sel:DWORD
	v_mul_u32_u24_sdwa v58, v58, s25 dst_sel:DWORD dst_unused:UNUSED_PAD src0_sel:WORD_1 src1_sel:DWORD
	v_mul_u32_u24_sdwa v56, v56, s25 dst_sel:DWORD dst_unused:UNUSED_PAD src0_sel:WORD_1 src1_sel:DWORD
	v_mul_u32_u24_sdwa v63, v59, s25 dst_sel:DWORD dst_unused:UNUSED_PAD src0_sel:WORD_0 src1_sel:DWORD
	v_mul_u32_u24_sdwa v59, v59, s25 dst_sel:DWORD dst_unused:UNUSED_PAD src0_sel:WORD_1 src1_sel:DWORD
	v_pk_fma_f16 v64, v50, v55, v64
	v_pk_fma_f16 v66, v50, v61, v66
	;; [unrolled: 1-line block ×8, first 2 shown]
	ds_read_b128 v[52:55], v19 offset:896
	v_pk_fma_f16 v65, v50, v56, v65
	v_pk_fma_f16 v67, v50, v57, v67
	;; [unrolled: 1-line block ×8, first 2 shown]
	ds_read2_b64 v[48:51], v29 offset1:32
	ds_read_b128 v[56:59], v19 offset:912
	s_waitcnt lgkmcnt(2)
	v_mul_u32_u24_sdwa v73, v52, s25 dst_sel:DWORD dst_unused:UNUSED_PAD src0_sel:WORD_0 src1_sel:DWORD
	v_mul_u32_u24_sdwa v52, v52, s25 dst_sel:DWORD dst_unused:UNUSED_PAD src0_sel:WORD_1 src1_sel:DWORD
	v_mul_u32_u24_sdwa v74, v53, s25 dst_sel:DWORD dst_unused:UNUSED_PAD src0_sel:WORD_0 src1_sel:DWORD
	v_mul_u32_u24_sdwa v53, v53, s25 dst_sel:DWORD dst_unused:UNUSED_PAD src0_sel:WORD_1 src1_sel:DWORD
	;; [unrolled: 2-line block ×4, first 2 shown]
	s_waitcnt lgkmcnt(1)
	v_pk_fma_f16 v64, v48, v73, v64
	v_pk_fma_f16 v65, v48, v52, v65
	v_pk_fma_f16 v66, v48, v74, v66
	v_pk_fma_f16 v67, v48, v53, v67
	v_pk_fma_f16 v68, v48, v75, v68
	v_pk_fma_f16 v69, v48, v54, v69
	v_pk_fma_f16 v70, v48, v84, v70
	v_pk_fma_f16 v48, v48, v55, v71
	v_pk_fma_f16 v32, v49, v73, v32
	v_pk_fma_f16 v30, v49, v52, v30
	v_pk_fma_f16 v31, v49, v74, v31
	v_pk_fma_f16 v52, v49, v53, v61
	v_pk_fma_f16 v53, v49, v75, v62
	v_pk_fma_f16 v54, v49, v54, v72
	v_pk_fma_f16 v60, v49, v84, v60
	v_pk_fma_f16 v49, v49, v55, v63
	s_waitcnt lgkmcnt(0)
	v_mul_u32_u24_sdwa v55, v56, s25 dst_sel:DWORD dst_unused:UNUSED_PAD src0_sel:WORD_0 src1_sel:DWORD
	v_mul_u32_u24_sdwa v61, v57, s25 dst_sel:DWORD dst_unused:UNUSED_PAD src0_sel:WORD_0 src1_sel:DWORD
	v_mul_u32_u24_sdwa v57, v57, s25 dst_sel:DWORD dst_unused:UNUSED_PAD src0_sel:WORD_1 src1_sel:DWORD
	v_mul_u32_u24_sdwa v62, v58, s25 dst_sel:DWORD dst_unused:UNUSED_PAD src0_sel:WORD_0 src1_sel:DWORD
	v_mul_u32_u24_sdwa v58, v58, s25 dst_sel:DWORD dst_unused:UNUSED_PAD src0_sel:WORD_1 src1_sel:DWORD
	v_mul_u32_u24_sdwa v56, v56, s25 dst_sel:DWORD dst_unused:UNUSED_PAD src0_sel:WORD_1 src1_sel:DWORD
	v_mul_u32_u24_sdwa v63, v59, s25 dst_sel:DWORD dst_unused:UNUSED_PAD src0_sel:WORD_0 src1_sel:DWORD
	v_mul_u32_u24_sdwa v59, v59, s25 dst_sel:DWORD dst_unused:UNUSED_PAD src0_sel:WORD_1 src1_sel:DWORD
	v_pk_fma_f16 v64, v50, v55, v64
	v_pk_fma_f16 v66, v50, v61, v66
	;; [unrolled: 1-line block ×8, first 2 shown]
	ds_read_b128 v[52:55], v19 offset:928
	v_pk_fma_f16 v65, v50, v56, v65
	v_pk_fma_f16 v67, v50, v57, v67
	;; [unrolled: 1-line block ×8, first 2 shown]
	ds_read2_b64 v[48:51], v29 offset0:64 offset1:96
	ds_read_b128 v[56:59], v19 offset:944
	s_waitcnt lgkmcnt(2)
	v_mul_u32_u24_sdwa v73, v52, s25 dst_sel:DWORD dst_unused:UNUSED_PAD src0_sel:WORD_0 src1_sel:DWORD
	v_mul_u32_u24_sdwa v52, v52, s25 dst_sel:DWORD dst_unused:UNUSED_PAD src0_sel:WORD_1 src1_sel:DWORD
	v_mul_u32_u24_sdwa v74, v53, s25 dst_sel:DWORD dst_unused:UNUSED_PAD src0_sel:WORD_0 src1_sel:DWORD
	v_mul_u32_u24_sdwa v53, v53, s25 dst_sel:DWORD dst_unused:UNUSED_PAD src0_sel:WORD_1 src1_sel:DWORD
	;; [unrolled: 2-line block ×4, first 2 shown]
	s_waitcnt lgkmcnt(1)
	v_pk_fma_f16 v64, v48, v73, v64
	v_pk_fma_f16 v65, v48, v52, v65
	;; [unrolled: 1-line block ×16, first 2 shown]
	s_waitcnt lgkmcnt(0)
	v_mul_u32_u24_sdwa v55, v56, s25 dst_sel:DWORD dst_unused:UNUSED_PAD src0_sel:WORD_0 src1_sel:DWORD
	v_mul_u32_u24_sdwa v61, v57, s25 dst_sel:DWORD dst_unused:UNUSED_PAD src0_sel:WORD_0 src1_sel:DWORD
	v_mul_u32_u24_sdwa v57, v57, s25 dst_sel:DWORD dst_unused:UNUSED_PAD src0_sel:WORD_1 src1_sel:DWORD
	v_mul_u32_u24_sdwa v62, v58, s25 dst_sel:DWORD dst_unused:UNUSED_PAD src0_sel:WORD_0 src1_sel:DWORD
	v_mul_u32_u24_sdwa v58, v58, s25 dst_sel:DWORD dst_unused:UNUSED_PAD src0_sel:WORD_1 src1_sel:DWORD
	v_mul_u32_u24_sdwa v56, v56, s25 dst_sel:DWORD dst_unused:UNUSED_PAD src0_sel:WORD_1 src1_sel:DWORD
	v_mul_u32_u24_sdwa v63, v59, s25 dst_sel:DWORD dst_unused:UNUSED_PAD src0_sel:WORD_0 src1_sel:DWORD
	v_mul_u32_u24_sdwa v59, v59, s25 dst_sel:DWORD dst_unused:UNUSED_PAD src0_sel:WORD_1 src1_sel:DWORD
	v_pk_fma_f16 v64, v50, v55, v64
	v_pk_fma_f16 v66, v50, v61, v66
	;; [unrolled: 1-line block ×8, first 2 shown]
	ds_read_b128 v[52:55], v19 offset:960
	v_pk_fma_f16 v65, v50, v56, v65
	v_pk_fma_f16 v67, v50, v57, v67
	;; [unrolled: 1-line block ×8, first 2 shown]
	ds_read2_b64 v[48:51], v29 offset0:128 offset1:160
	ds_read_b128 v[56:59], v19 offset:976
	s_waitcnt lgkmcnt(2)
	v_mul_u32_u24_sdwa v73, v52, s25 dst_sel:DWORD dst_unused:UNUSED_PAD src0_sel:WORD_0 src1_sel:DWORD
	v_mul_u32_u24_sdwa v52, v52, s25 dst_sel:DWORD dst_unused:UNUSED_PAD src0_sel:WORD_1 src1_sel:DWORD
	v_mul_u32_u24_sdwa v74, v53, s25 dst_sel:DWORD dst_unused:UNUSED_PAD src0_sel:WORD_0 src1_sel:DWORD
	v_mul_u32_u24_sdwa v53, v53, s25 dst_sel:DWORD dst_unused:UNUSED_PAD src0_sel:WORD_1 src1_sel:DWORD
	;; [unrolled: 2-line block ×4, first 2 shown]
	s_waitcnt lgkmcnt(1)
	v_pk_fma_f16 v64, v48, v73, v64
	v_pk_fma_f16 v65, v48, v52, v65
	;; [unrolled: 1-line block ×16, first 2 shown]
	s_waitcnt lgkmcnt(0)
	v_mul_u32_u24_sdwa v55, v56, s25 dst_sel:DWORD dst_unused:UNUSED_PAD src0_sel:WORD_0 src1_sel:DWORD
	v_mul_u32_u24_sdwa v56, v56, s25 dst_sel:DWORD dst_unused:UNUSED_PAD src0_sel:WORD_1 src1_sel:DWORD
	v_mul_u32_u24_sdwa v61, v57, s25 dst_sel:DWORD dst_unused:UNUSED_PAD src0_sel:WORD_0 src1_sel:DWORD
	v_mul_u32_u24_sdwa v57, v57, s25 dst_sel:DWORD dst_unused:UNUSED_PAD src0_sel:WORD_1 src1_sel:DWORD
	;; [unrolled: 2-line block ×4, first 2 shown]
	v_pk_fma_f16 v64, v50, v55, v64
	v_pk_fma_f16 v65, v50, v56, v65
	;; [unrolled: 1-line block ×14, first 2 shown]
	ds_read_b128 v[52:55], v19 offset:992
	v_pk_fma_f16 v60, v51, v63, v60
	v_pk_fma_f16 v59, v51, v59, v49
	ds_read2_b64 v[29:32], v29 offset0:192 offset1:224
	ds_read_b128 v[48:51], v19 offset:1008
	s_waitcnt lgkmcnt(0)
	s_barrier
	s_load_dword s8, s[0:1], 0x4
	v_mul_u32_u24_sdwa v63, v52, s25 dst_sel:DWORD dst_unused:UNUSED_PAD src0_sel:WORD_0 src1_sel:DWORD
	v_mul_u32_u24_sdwa v52, v52, s25 dst_sel:DWORD dst_unused:UNUSED_PAD src0_sel:WORD_1 src1_sel:DWORD
	v_mul_u32_u24_sdwa v73, v53, s25 dst_sel:DWORD dst_unused:UNUSED_PAD src0_sel:WORD_0 src1_sel:DWORD
	v_mul_u32_u24_sdwa v53, v53, s25 dst_sel:DWORD dst_unused:UNUSED_PAD src0_sel:WORD_1 src1_sel:DWORD
	v_mul_u32_u24_sdwa v74, v54, s25 dst_sel:DWORD dst_unused:UNUSED_PAD src0_sel:WORD_0 src1_sel:DWORD
	v_mul_u32_u24_sdwa v54, v54, s25 dst_sel:DWORD dst_unused:UNUSED_PAD src0_sel:WORD_1 src1_sel:DWORD
	v_mul_u32_u24_sdwa v75, v55, s25 dst_sel:DWORD dst_unused:UNUSED_PAD src0_sel:WORD_0 src1_sel:DWORD
	v_mul_u32_u24_sdwa v55, v55, s25 dst_sel:DWORD dst_unused:UNUSED_PAD src0_sel:WORD_1 src1_sel:DWORD
	s_waitcnt lgkmcnt(0)
	s_lshl_b32 s8, s8, 6
	v_pk_fma_f16 v64, v29, v63, v64
	v_pk_fma_f16 v65, v29, v52, v65
	;; [unrolled: 1-line block ×16, first 2 shown]
	v_mul_u32_u24_sdwa v55, v48, s25 dst_sel:DWORD dst_unused:UNUSED_PAD src0_sel:WORD_0 src1_sel:DWORD
	v_mul_u32_u24_sdwa v48, v48, s25 dst_sel:DWORD dst_unused:UNUSED_PAD src0_sel:WORD_1 src1_sel:DWORD
	v_mul_u32_u24_sdwa v57, v49, s25 dst_sel:DWORD dst_unused:UNUSED_PAD src0_sel:WORD_0 src1_sel:DWORD
	v_mul_u32_u24_sdwa v84, v49, s25 dst_sel:DWORD dst_unused:UNUSED_PAD src0_sel:WORD_1 src1_sel:DWORD
	;; [unrolled: 2-line block ×4, first 2 shown]
	s_add_i32 s6, s8, s6
	v_pk_fma_f16 v62, v31, v55, v64
	v_pk_fma_f16 v60, v31, v48, v65
	;; [unrolled: 1-line block ×15, first 2 shown]
	s_cmp_ge_i32 s6, s30
	v_pk_fma_f16 v48, v32, v94, v30
	s_cbranch_scc1 .LBB80_7
; %bb.77:                               ;   in Loop: Header=BB80_12 Depth=1
	v_mov_b32_e32 v75, v1
	v_mov_b32_e32 v74, v2
	v_mov_b32_e32 v72, v3
	v_mov_b32_e32 v69, v4
	v_mov_b32_e32 v67, v5
	v_mov_b32_e32 v65, v6
	v_mov_b32_e32 v32, v7
	v_mov_b32_e32 v30, v8
	v_mov_b32_e32 v71, v76
	v_mov_b32_e32 v73, v77
	v_mov_b32_e32 v70, v78
	v_mov_b32_e32 v68, v79
	v_mov_b32_e32 v66, v80
	v_mov_b32_e32 v64, v81
	v_mov_b32_e32 v31, v82
	v_mov_b32_e32 v29, v83
	s_branch .LBB80_12
.LBB80_78:
	v_mov_b32_e32 v24, v16
	v_mov_b32_e32 v23, v15
	;; [unrolled: 1-line block ×8, first 2 shown]
	v_cmp_gt_i32_e32 vcc, s2, v47
	s_and_saveexec_b64 s[0:1], vcc
	s_cbranch_execz .LBB80_9
.LBB80_79:
	s_load_dword s6, s[4:5], 0xd4
	v_mov_b32_e32 v26, 1.0
	s_waitcnt lgkmcnt(0)
	s_cmp_lg_u32 s6, 1
	s_cselect_b64 s[4:5], -1, 0
	s_cmp_eq_u32 s6, 1
	s_cselect_b64 s[8:9], -1, 0
	s_and_b64 vcc, exec, s[4:5]
	s_cbranch_vccnz .LBB80_81
; %bb.80:
	v_div_scale_f32 v25, s[0:1], v9, v9, 1.0
	v_div_scale_f32 v26, vcc, 1.0, v9, 1.0
	v_rcp_f32_e32 v27, v25
	v_fma_f32 v28, -v25, v27, 1.0
	v_fmac_f32_e32 v27, v28, v27
	v_mul_f32_e32 v28, v26, v27
	v_fma_f32 v29, -v25, v28, v26
	v_fmac_f32_e32 v28, v29, v27
	v_fma_f32 v25, -v25, v28, v26
	v_div_fmas_f32 v25, v25, v27, v28
	v_div_fixup_f32 v26, v25, v9, 1.0
.LBB80_81:
	s_mul_i32 s10, s33, s2
	s_add_i32 s10, s10, s14
	v_add_u32_e32 v9, s10, v45
	v_mul_lo_u32 v9, v9, s3
	v_cmp_eq_u32_e32 vcc, 0, v0
	v_cvt_f32_f16_e32 v0, v62
	v_mov_b32_e32 v32, 0
	v_add_u32_e32 v25, s28, v9
	v_mul_lo_u32 v25, s6, v25
	v_cvt_f32_f16_sdwa v28, v62 dst_sel:DWORD dst_unused:UNUSED_PAD src0_sel:WORD_1
	v_cvt_f32_f16_e32 v29, v63
	v_cvt_f32_f16_sdwa v30, v63 dst_sel:DWORD dst_unused:UNUSED_PAD src0_sel:WORD_1
	v_add_u32_e32 v25, s7, v25
	v_lshl_add_u32 v31, v25, 7, v41
	v_lshlrev_b64 v[31:32], 2, v[31:32]
	v_mul_f32_e32 v27, v26, v0
	v_mov_b32_e32 v0, s21
	v_add_co_u32_e64 v31, s[0:1], s20, v31
	v_mul_f32_e32 v28, v26, v28
	v_mul_f32_e32 v29, v26, v29
	;; [unrolled: 1-line block ×3, first 2 shown]
	v_addc_co_u32_e64 v32, s[0:1], v0, v32, s[0:1]
	s_and_b64 s[4:5], vcc, s[4:5]
	global_store_dwordx4 v[31:32], v[27:30], off
	s_and_saveexec_b64 s[0:1], s[4:5]
	s_cbranch_execz .LBB80_83
; %bb.82:
	v_ashrrev_i32_e32 v26, 31, v25
	v_lshlrev_b64 v[25:26], 3, v[25:26]
	v_mov_b32_e32 v0, s23
	v_add_co_u32_e32 v25, vcc, s22, v25
	v_addc_co_u32_e32 v26, vcc, v0, v26, vcc
	v_mov_b32_e32 v0, v1
	v_mov_b32_e32 v1, v17
	global_store_dwordx2 v[25:26], v[0:1], off
.LBB80_83:
	s_or_b64 exec, exec, s[0:1]
	v_cndmask_b32_e64 v0, 0, 1, s[8:9]
	v_cmp_ne_u32_e64 s[0:1], 1, v0
	s_andn2_b64 vcc, exec, s[8:9]
	v_mov_b32_e32 v1, 1.0
	s_cbranch_vccnz .LBB80_85
; %bb.84:
	v_div_scale_f32 v0, s[8:9], v10, v10, 1.0
	v_div_scale_f32 v1, vcc, 1.0, v10, 1.0
	v_rcp_f32_e32 v17, v0
	v_fma_f32 v25, -v0, v17, 1.0
	v_fmac_f32_e32 v17, v25, v17
	v_mul_f32_e32 v25, v1, v17
	v_fma_f32 v26, -v0, v25, v1
	v_fmac_f32_e32 v25, v26, v17
	v_fma_f32 v0, -v0, v25, v1
	v_div_fmas_f32 v0, v0, v17, v25
	v_div_fixup_f32 v1, v0, v10, 1.0
.LBB80_85:
	s_add_i32 s11, s28, 1
	v_add_u32_e32 v0, s11, v9
	v_mul_lo_u32 v0, s6, v0
	v_cvt_f32_f16_e32 v17, v60
	v_cvt_f32_f16_sdwa v26, v60 dst_sel:DWORD dst_unused:UNUSED_PAD src0_sel:WORD_1
	v_cvt_f32_f16_e32 v27, v61
	v_add_u32_e32 v0, s7, v0
	v_cvt_f32_f16_sdwa v28, v61 dst_sel:DWORD dst_unused:UNUSED_PAD src0_sel:WORD_1
	v_mov_b32_e32 v10, 0
	v_lshl_add_u32 v9, v0, 7, v41
	v_lshlrev_b64 v[9:10], 2, v[9:10]
	v_mul_f32_e32 v25, v1, v17
	v_mul_f32_e32 v26, v1, v26
	;; [unrolled: 1-line block ×4, first 2 shown]
	v_mov_b32_e32 v1, s21
	v_add_co_u32_e32 v9, vcc, s20, v9
	v_addc_co_u32_e32 v10, vcc, v1, v10, vcc
	global_store_dwordx4 v[9:10], v[25:28], off
	s_and_saveexec_b64 s[8:9], s[4:5]
	s_cbranch_execz .LBB80_87
; %bb.86:
	v_ashrrev_i32_e32 v1, 31, v0
	v_lshlrev_b64 v[0:1], 3, v[0:1]
	v_mov_b32_e32 v9, s23
	v_add_co_u32_e32 v0, vcc, s22, v0
	v_addc_co_u32_e32 v1, vcc, v9, v1, vcc
	v_mov_b32_e32 v17, v2
	global_store_dwordx2 v[0:1], v[17:18], off
.LBB80_87:
	s_or_b64 exec, exec, s[8:9]
	v_cmp_gt_i32_e32 vcc, s2, v46
	s_and_b64 exec, exec, vcc
	s_cbranch_execz .LBB80_9
; %bb.88:
	s_and_b64 vcc, exec, s[0:1]
	v_mov_b32_e32 v1, 1.0
	s_cbranch_vccnz .LBB80_90
; %bb.89:
	v_div_scale_f32 v0, s[8:9], v11, v11, 1.0
	v_div_scale_f32 v1, vcc, 1.0, v11, 1.0
	v_rcp_f32_e32 v2, v0
	v_fma_f32 v9, -v0, v2, 1.0
	v_fmac_f32_e32 v2, v9, v2
	v_mul_f32_e32 v9, v1, v2
	v_fma_f32 v10, -v0, v9, v1
	v_fmac_f32_e32 v9, v10, v2
	v_fma_f32 v0, -v0, v9, v1
	v_div_fmas_f32 v0, v0, v2, v9
	v_div_fixup_f32 v1, v0, v11, 1.0
.LBB80_90:
	v_add_u32_e32 v0, s10, v44
	v_mul_lo_u32 v0, v0, s3
	v_cvt_f32_f16_e32 v2, v58
	v_cvt_f32_f16_sdwa v11, v58 dst_sel:DWORD dst_unused:UNUSED_PAD src0_sel:WORD_1
	v_cvt_f32_f16_e32 v17, v59
	v_add_u32_e32 v0, s28, v0
	v_mul_lo_u32 v0, s6, v0
	v_cvt_f32_f16_sdwa v18, v59 dst_sel:DWORD dst_unused:UNUSED_PAD src0_sel:WORD_1
	v_mov_b32_e32 v10, 0
	v_mul_f32_e32 v25, v1, v2
	v_add_u32_e32 v0, s7, v0
	v_lshl_add_u32 v9, v0, 7, v41
	v_mul_f32_e32 v26, v1, v11
	v_mul_f32_e32 v27, v1, v17
	v_mul_f32_e32 v28, v1, v18
	v_lshlrev_b64 v[1:2], 2, v[9:10]
	v_mov_b32_e32 v9, s21
	v_add_co_u32_e32 v1, vcc, s20, v1
	v_addc_co_u32_e32 v2, vcc, v9, v2, vcc
	global_store_dwordx4 v[1:2], v[25:28], off
	s_and_saveexec_b64 s[8:9], s[4:5]
	s_cbranch_execz .LBB80_92
; %bb.91:
	v_ashrrev_i32_e32 v1, 31, v0
	v_lshlrev_b64 v[0:1], 3, v[0:1]
	v_mov_b32_e32 v2, s23
	v_add_co_u32_e32 v0, vcc, s22, v0
	v_addc_co_u32_e32 v1, vcc, v2, v1, vcc
	v_mov_b32_e32 v18, v3
	global_store_dwordx2 v[0:1], v[18:19], off
.LBB80_92:
	s_or_b64 exec, exec, s[8:9]
	v_cmp_gt_i32_e32 vcc, s2, v43
	s_and_b64 exec, exec, vcc
	s_cbranch_execz .LBB80_9
; %bb.93:
	s_and_b64 vcc, exec, s[0:1]
	v_mov_b32_e32 v1, 1.0
	s_cbranch_vccnz .LBB80_95
; %bb.94:
	v_div_scale_f32 v0, s[8:9], v12, v12, 1.0
	v_div_scale_f32 v1, vcc, 1.0, v12, 1.0
	v_rcp_f32_e32 v2, v0
	v_fma_f32 v3, -v0, v2, 1.0
	v_fmac_f32_e32 v2, v3, v2
	v_mul_f32_e32 v3, v1, v2
	v_fma_f32 v9, -v0, v3, v1
	v_fmac_f32_e32 v3, v9, v2
	v_fma_f32 v0, -v0, v3, v1
	v_div_fmas_f32 v0, v0, v2, v3
	v_div_fixup_f32 v1, v0, v12, 1.0
.LBB80_95:
	v_add_u32_e32 v0, s10, v42
	v_mul_lo_u32 v0, v0, s3
	v_cvt_f32_f16_e32 v2, v56
	v_cvt_f32_f16_sdwa v10, v56 dst_sel:DWORD dst_unused:UNUSED_PAD src0_sel:WORD_1
	v_cvt_f32_f16_e32 v11, v57
	v_add_u32_e32 v0, s11, v0
	v_mul_lo_u32 v0, s6, v0
	v_cvt_f32_f16_sdwa v12, v57 dst_sel:DWORD dst_unused:UNUSED_PAD src0_sel:WORD_1
	v_mov_b32_e32 v3, 0
	v_mul_f32_e32 v9, v1, v2
	v_add_u32_e32 v0, s7, v0
	v_lshl_add_u32 v2, v0, 7, v41
	v_mul_f32_e32 v10, v1, v10
	v_mul_f32_e32 v11, v1, v11
	v_mul_f32_e32 v12, v1, v12
	v_lshlrev_b64 v[1:2], 2, v[2:3]
	;; [unrolled: 52-line block ×3, first 2 shown]
	v_mov_b32_e32 v3, s21
	v_add_co_u32_e32 v1, vcc, s20, v1
	v_addc_co_u32_e32 v2, vcc, v3, v2, vcc
	global_store_dwordx4 v[1:2], v[9:12], off
	s_and_saveexec_b64 s[8:9], s[4:5]
	s_cbranch_execz .LBB80_102
; %bb.101:
	v_ashrrev_i32_e32 v1, 31, v0
	v_lshlrev_b64 v[0:1], 3, v[0:1]
	v_mov_b32_e32 v2, s23
	v_add_co_u32_e32 v0, vcc, s22, v0
	v_addc_co_u32_e32 v1, vcc, v2, v1, vcc
	v_mov_b32_e32 v20, v5
	global_store_dwordx2 v[0:1], v[20:21], off
.LBB80_102:
	s_or_b64 exec, exec, s[8:9]
	v_cmp_gt_i32_e32 vcc, s2, v39
	s_and_b64 exec, exec, vcc
	s_cbranch_execz .LBB80_9
; %bb.103:
	s_and_b64 vcc, exec, s[0:1]
	v_mov_b32_e32 v1, 1.0
	s_cbranch_vccnz .LBB80_105
; %bb.104:
	v_div_scale_f32 v0, s[8:9], v14, v14, 1.0
	v_div_scale_f32 v1, vcc, 1.0, v14, 1.0
	v_rcp_f32_e32 v2, v0
	v_fma_f32 v3, -v0, v2, 1.0
	v_fmac_f32_e32 v2, v3, v2
	v_mul_f32_e32 v3, v1, v2
	v_fma_f32 v4, -v0, v3, v1
	v_fmac_f32_e32 v3, v4, v2
	v_fma_f32 v0, -v0, v3, v1
	v_div_fmas_f32 v0, v0, v2, v3
	v_div_fixup_f32 v1, v0, v14, 1.0
.LBB80_105:
	v_add_u32_e32 v0, s10, v38
	v_mul_lo_u32 v0, v0, s3
	v_cvt_f32_f16_e32 v2, v52
	v_cvt_f32_f16_sdwa v3, v52 dst_sel:DWORD dst_unused:UNUSED_PAD src0_sel:WORD_1
	v_cvt_f32_f16_e32 v4, v53
	v_add_u32_e32 v0, s11, v0
	v_mul_lo_u32 v0, s6, v0
	v_cvt_f32_f16_sdwa v5, v53 dst_sel:DWORD dst_unused:UNUSED_PAD src0_sel:WORD_1
	v_mov_b32_e32 v10, 0
	v_mul_f32_e32 v2, v1, v2
	v_add_u32_e32 v0, s7, v0
	v_lshl_add_u32 v9, v0, 7, v41
	v_lshlrev_b64 v[9:10], 2, v[9:10]
	v_mul_f32_e32 v3, v1, v3
	v_mul_f32_e32 v4, v1, v4
	v_mul_f32_e32 v5, v1, v5
	v_mov_b32_e32 v1, s21
	v_add_co_u32_e32 v9, vcc, s20, v9
	v_addc_co_u32_e32 v10, vcc, v1, v10, vcc
	global_store_dwordx4 v[9:10], v[2:5], off
	s_and_saveexec_b64 s[8:9], s[4:5]
	s_cbranch_execz .LBB80_107
; %bb.106:
	v_ashrrev_i32_e32 v1, 31, v0
	v_lshlrev_b64 v[0:1], 3, v[0:1]
	v_mov_b32_e32 v2, s23
	v_add_co_u32_e32 v0, vcc, s22, v0
	v_addc_co_u32_e32 v1, vcc, v2, v1, vcc
	v_mov_b32_e32 v21, v6
	global_store_dwordx2 v[0:1], v[21:22], off
.LBB80_107:
	s_or_b64 exec, exec, s[8:9]
	v_cmp_gt_i32_e32 vcc, s2, v36
	s_and_b64 exec, exec, vcc
	s_cbranch_execz .LBB80_9
; %bb.108:
	s_and_b64 vcc, exec, s[0:1]
	v_mov_b32_e32 v1, 1.0
	s_cbranch_vccnz .LBB80_110
; %bb.109:
	v_div_scale_f32 v0, s[8:9], v15, v15, 1.0
	v_div_scale_f32 v1, vcc, 1.0, v15, 1.0
	v_rcp_f32_e32 v2, v0
	v_fma_f32 v3, -v0, v2, 1.0
	v_fmac_f32_e32 v2, v3, v2
	v_mul_f32_e32 v3, v1, v2
	v_fma_f32 v4, -v0, v3, v1
	v_fmac_f32_e32 v3, v4, v2
	v_fma_f32 v0, -v0, v3, v1
	v_div_fmas_f32 v0, v0, v2, v3
	v_div_fixup_f32 v1, v0, v15, 1.0
.LBB80_110:
	v_add_u32_e32 v0, s10, v35
	v_mul_lo_u32 v0, v0, s3
	v_cvt_f32_f16_e32 v2, v50
	v_cvt_f32_f16_sdwa v3, v50 dst_sel:DWORD dst_unused:UNUSED_PAD src0_sel:WORD_1
	v_cvt_f32_f16_e32 v4, v51
	v_add_u32_e32 v0, s28, v0
	v_mul_lo_u32 v0, s6, v0
	v_cvt_f32_f16_sdwa v5, v51 dst_sel:DWORD dst_unused:UNUSED_PAD src0_sel:WORD_1
	v_mov_b32_e32 v10, 0
	v_mul_f32_e32 v2, v1, v2
	v_add_u32_e32 v0, s7, v0
	v_lshl_add_u32 v9, v0, 7, v41
	v_lshlrev_b64 v[9:10], 2, v[9:10]
	v_mul_f32_e32 v3, v1, v3
	v_mul_f32_e32 v4, v1, v4
	v_mul_f32_e32 v5, v1, v5
	v_mov_b32_e32 v1, s21
	v_add_co_u32_e32 v9, vcc, s20, v9
	v_addc_co_u32_e32 v10, vcc, v1, v10, vcc
	global_store_dwordx4 v[9:10], v[2:5], off
	s_and_saveexec_b64 s[8:9], s[4:5]
	s_cbranch_execz .LBB80_112
; %bb.111:
	v_ashrrev_i32_e32 v1, 31, v0
	v_lshlrev_b64 v[0:1], 3, v[0:1]
	v_mov_b32_e32 v2, s23
	v_add_co_u32_e32 v0, vcc, s22, v0
	v_addc_co_u32_e32 v1, vcc, v2, v1, vcc
	v_mov_b32_e32 v22, v7
	global_store_dwordx2 v[0:1], v[22:23], off
.LBB80_112:
	s_or_b64 exec, exec, s[8:9]
	v_cmp_gt_i32_e32 vcc, s2, v34
	s_and_b64 exec, exec, vcc
	s_cbranch_execz .LBB80_9
; %bb.113:
	s_and_b64 vcc, exec, s[0:1]
	v_mov_b32_e32 v1, 1.0
	s_cbranch_vccnz .LBB80_115
; %bb.114:
	v_div_scale_f32 v0, s[0:1], v16, v16, 1.0
	v_div_scale_f32 v1, vcc, 1.0, v16, 1.0
	v_rcp_f32_e32 v2, v0
	v_fma_f32 v3, -v0, v2, 1.0
	v_fmac_f32_e32 v2, v3, v2
	v_mul_f32_e32 v3, v1, v2
	v_fma_f32 v4, -v0, v3, v1
	v_fmac_f32_e32 v3, v4, v2
	v_fma_f32 v0, -v0, v3, v1
	v_div_fmas_f32 v0, v0, v2, v3
	v_div_fixup_f32 v1, v0, v16, 1.0
.LBB80_115:
	v_add_u32_e32 v0, s10, v33
	v_mul_lo_u32 v0, v0, s3
	v_cvt_f32_f16_e32 v2, v49
	v_cvt_f32_f16_sdwa v3, v49 dst_sel:DWORD dst_unused:UNUSED_PAD src0_sel:WORD_1
	v_cvt_f32_f16_e32 v4, v48
	v_add_u32_e32 v0, s11, v0
	v_mul_lo_u32 v0, s6, v0
	v_cvt_f32_f16_sdwa v5, v48 dst_sel:DWORD dst_unused:UNUSED_PAD src0_sel:WORD_1
	v_mov_b32_e32 v7, 0
	v_mul_f32_e32 v2, v1, v2
	v_add_u32_e32 v0, s7, v0
	v_lshl_add_u32 v6, v0, 7, v41
	v_lshlrev_b64 v[6:7], 2, v[6:7]
	v_mul_f32_e32 v3, v1, v3
	v_mul_f32_e32 v4, v1, v4
	v_mul_f32_e32 v5, v1, v5
	v_mov_b32_e32 v1, s21
	v_add_co_u32_e32 v6, vcc, s20, v6
	v_addc_co_u32_e32 v7, vcc, v1, v7, vcc
	global_store_dwordx4 v[6:7], v[2:5], off
	s_and_b64 exec, exec, s[4:5]
	s_cbranch_execz .LBB80_9
; %bb.116:
	v_ashrrev_i32_e32 v1, 31, v0
	v_lshlrev_b64 v[0:1], 3, v[0:1]
	v_mov_b32_e32 v2, s23
	v_add_co_u32_e32 v0, vcc, s22, v0
	v_addc_co_u32_e32 v1, vcc, v2, v1, vcc
	v_mov_b32_e32 v23, v8
	global_store_dwordx2 v[0:1], v[23:24], off
	s_endpgm
	.section	.rodata,"a",@progbits
	.p2align	6, 0x0
	.amdhsa_kernel _ZL15flash_attn_tileILi128ELi128ELi32ELi2ELb1EEvPKcS1_S1_S1_S1_PKiPfP15HIP_vector_typeIfLj2EEffffjfiS5_IjLj3EEiiiiiiiiiiiliiliiiiil
		.amdhsa_group_segment_fixed_size 29696
		.amdhsa_private_segment_fixed_size 0
		.amdhsa_kernarg_size 464
		.amdhsa_user_sgpr_count 6
		.amdhsa_user_sgpr_private_segment_buffer 1
		.amdhsa_user_sgpr_dispatch_ptr 0
		.amdhsa_user_sgpr_queue_ptr 0
		.amdhsa_user_sgpr_kernarg_segment_ptr 1
		.amdhsa_user_sgpr_dispatch_id 0
		.amdhsa_user_sgpr_flat_scratch_init 0
		.amdhsa_user_sgpr_private_segment_size 0
		.amdhsa_uses_dynamic_stack 0
		.amdhsa_system_sgpr_private_segment_wavefront_offset 0
		.amdhsa_system_sgpr_workgroup_id_x 1
		.amdhsa_system_sgpr_workgroup_id_y 1
		.amdhsa_system_sgpr_workgroup_id_z 1
		.amdhsa_system_sgpr_workgroup_info 0
		.amdhsa_system_vgpr_workitem_id 1
		.amdhsa_next_free_vgpr 127
		.amdhsa_next_free_sgpr 98
		.amdhsa_reserve_vcc 1
		.amdhsa_reserve_flat_scratch 0
		.amdhsa_float_round_mode_32 0
		.amdhsa_float_round_mode_16_64 0
		.amdhsa_float_denorm_mode_32 3
		.amdhsa_float_denorm_mode_16_64 3
		.amdhsa_dx10_clamp 1
		.amdhsa_ieee_mode 1
		.amdhsa_fp16_overflow 0
		.amdhsa_exception_fp_ieee_invalid_op 0
		.amdhsa_exception_fp_denorm_src 0
		.amdhsa_exception_fp_ieee_div_zero 0
		.amdhsa_exception_fp_ieee_overflow 0
		.amdhsa_exception_fp_ieee_underflow 0
		.amdhsa_exception_fp_ieee_inexact 0
		.amdhsa_exception_int_div_zero 0
	.end_amdhsa_kernel
	.section	.text._ZL15flash_attn_tileILi128ELi128ELi32ELi2ELb1EEvPKcS1_S1_S1_S1_PKiPfP15HIP_vector_typeIfLj2EEffffjfiS5_IjLj3EEiiiiiiiiiiiliiliiiiil,"axG",@progbits,_ZL15flash_attn_tileILi128ELi128ELi32ELi2ELb1EEvPKcS1_S1_S1_S1_PKiPfP15HIP_vector_typeIfLj2EEffffjfiS5_IjLj3EEiiiiiiiiiiiliiliiiiil,comdat
.Lfunc_end80:
	.size	_ZL15flash_attn_tileILi128ELi128ELi32ELi2ELb1EEvPKcS1_S1_S1_S1_PKiPfP15HIP_vector_typeIfLj2EEffffjfiS5_IjLj3EEiiiiiiiiiiiliiliiiiil, .Lfunc_end80-_ZL15flash_attn_tileILi128ELi128ELi32ELi2ELb1EEvPKcS1_S1_S1_S1_PKiPfP15HIP_vector_typeIfLj2EEffffjfiS5_IjLj3EEiiiiiiiiiiiliiliiiiil
                                        ; -- End function
	.set _ZL15flash_attn_tileILi128ELi128ELi32ELi2ELb1EEvPKcS1_S1_S1_S1_PKiPfP15HIP_vector_typeIfLj2EEffffjfiS5_IjLj3EEiiiiiiiiiiiliiliiiiil.num_vgpr, 127
	.set _ZL15flash_attn_tileILi128ELi128ELi32ELi2ELb1EEvPKcS1_S1_S1_S1_PKiPfP15HIP_vector_typeIfLj2EEffffjfiS5_IjLj3EEiiiiiiiiiiiliiliiiiil.num_agpr, 0
	.set _ZL15flash_attn_tileILi128ELi128ELi32ELi2ELb1EEvPKcS1_S1_S1_S1_PKiPfP15HIP_vector_typeIfLj2EEffffjfiS5_IjLj3EEiiiiiiiiiiiliiliiiiil.numbered_sgpr, 44
	.set _ZL15flash_attn_tileILi128ELi128ELi32ELi2ELb1EEvPKcS1_S1_S1_S1_PKiPfP15HIP_vector_typeIfLj2EEffffjfiS5_IjLj3EEiiiiiiiiiiiliiliiiiil.num_named_barrier, 0
	.set _ZL15flash_attn_tileILi128ELi128ELi32ELi2ELb1EEvPKcS1_S1_S1_S1_PKiPfP15HIP_vector_typeIfLj2EEffffjfiS5_IjLj3EEiiiiiiiiiiiliiliiiiil.private_seg_size, 0
	.set _ZL15flash_attn_tileILi128ELi128ELi32ELi2ELb1EEvPKcS1_S1_S1_S1_PKiPfP15HIP_vector_typeIfLj2EEffffjfiS5_IjLj3EEiiiiiiiiiiiliiliiiiil.uses_vcc, 1
	.set _ZL15flash_attn_tileILi128ELi128ELi32ELi2ELb1EEvPKcS1_S1_S1_S1_PKiPfP15HIP_vector_typeIfLj2EEffffjfiS5_IjLj3EEiiiiiiiiiiiliiliiiiil.uses_flat_scratch, 0
	.set _ZL15flash_attn_tileILi128ELi128ELi32ELi2ELb1EEvPKcS1_S1_S1_S1_PKiPfP15HIP_vector_typeIfLj2EEffffjfiS5_IjLj3EEiiiiiiiiiiiliiliiiiil.has_dyn_sized_stack, 0
	.set _ZL15flash_attn_tileILi128ELi128ELi32ELi2ELb1EEvPKcS1_S1_S1_S1_PKiPfP15HIP_vector_typeIfLj2EEffffjfiS5_IjLj3EEiiiiiiiiiiiliiliiiiil.has_recursion, 0
	.set _ZL15flash_attn_tileILi128ELi128ELi32ELi2ELb1EEvPKcS1_S1_S1_S1_PKiPfP15HIP_vector_typeIfLj2EEffffjfiS5_IjLj3EEiiiiiiiiiiiliiliiiiil.has_indirect_call, 0
	.section	.AMDGPU.csdata,"",@progbits
; Kernel info:
; codeLenInByte = 38072
; TotalNumSgprs: 48
; NumVgprs: 127
; ScratchSize: 0
; MemoryBound: 0
; FloatMode: 240
; IeeeMode: 1
; LDSByteSize: 29696 bytes/workgroup (compile time only)
; SGPRBlocks: 12
; VGPRBlocks: 31
; NumSGPRsForWavesPerEU: 102
; NumVGPRsForWavesPerEU: 127
; Occupancy: 2
; WaveLimiterHint : 1
; COMPUTE_PGM_RSRC2:SCRATCH_EN: 0
; COMPUTE_PGM_RSRC2:USER_SGPR: 6
; COMPUTE_PGM_RSRC2:TRAP_HANDLER: 0
; COMPUTE_PGM_RSRC2:TGID_X_EN: 1
; COMPUTE_PGM_RSRC2:TGID_Y_EN: 1
; COMPUTE_PGM_RSRC2:TGID_Z_EN: 1
; COMPUTE_PGM_RSRC2:TIDIG_COMP_CNT: 1
	.section	.text._ZL15flash_attn_tileILi128ELi128ELi16ELi2ELb1EEvPKcS1_S1_S1_S1_PKiPfP15HIP_vector_typeIfLj2EEffffjfiS5_IjLj3EEiiiiiiiiiiiliiliiiiil,"axG",@progbits,_ZL15flash_attn_tileILi128ELi128ELi16ELi2ELb1EEvPKcS1_S1_S1_S1_PKiPfP15HIP_vector_typeIfLj2EEffffjfiS5_IjLj3EEiiiiiiiiiiiliiliiiiil,comdat
	.globl	_ZL15flash_attn_tileILi128ELi128ELi16ELi2ELb1EEvPKcS1_S1_S1_S1_PKiPfP15HIP_vector_typeIfLj2EEffffjfiS5_IjLj3EEiiiiiiiiiiiliiliiiiil ; -- Begin function _ZL15flash_attn_tileILi128ELi128ELi16ELi2ELb1EEvPKcS1_S1_S1_S1_PKiPfP15HIP_vector_typeIfLj2EEffffjfiS5_IjLj3EEiiiiiiiiiiiliiliiiiil
	.p2align	8
	.type	_ZL15flash_attn_tileILi128ELi128ELi16ELi2ELb1EEvPKcS1_S1_S1_S1_PKiPfP15HIP_vector_typeIfLj2EEffffjfiS5_IjLj3EEiiiiiiiiiiiliiliiiiil,@function
_ZL15flash_attn_tileILi128ELi128ELi16ELi2ELb1EEvPKcS1_S1_S1_S1_PKiPfP15HIP_vector_typeIfLj2EEffffjfiS5_IjLj3EEiiiiiiiiiiiliiliiiiil: ; @_ZL15flash_attn_tileILi128ELi128ELi16ELi2ELb1EEvPKcS1_S1_S1_S1_PKiPfP15HIP_vector_typeIfLj2EEffffjfiS5_IjLj3EEiiiiiiiiiiiliiliiiiil
; %bb.0:
	s_load_dwordx4 s[0:3], s[4:5], 0x5c
	s_load_dwordx2 s[30:31], s[4:5], 0x80
	s_load_dwordx2 s[36:37], s[4:5], 0xb8
	s_mov_b64 s[34:35], 0
	s_waitcnt lgkmcnt(0)
	s_lshr_b32 s9, s3, 31
	s_add_i32 s9, s3, s9
	s_ashr_i32 s9, s9, 1
	v_cvt_f32_u32_e32 v2, s9
	s_sub_i32 s10, 0, s9
	v_rcp_iflag_f32_e32 v2, v2
	v_mul_f32_e32 v2, 0x4f7ffffe, v2
	v_cvt_u32_f32_e32 v2, v2
	v_readfirstlane_b32 s11, v2
	s_mul_i32 s10, s10, s11
	s_mul_hi_u32 s10, s11, s10
	s_add_i32 s11, s11, s10
	s_mul_hi_u32 s10, s8, s11
	s_mul_i32 s11, s10, s9
	s_sub_i32 s11, s8, s11
	s_add_i32 s12, s10, 1
	s_sub_i32 s13, s11, s9
	s_cmp_ge_u32 s11, s9
	s_cselect_b32 s10, s12, s10
	s_cselect_b32 s11, s13, s11
	s_add_i32 s12, s10, 1
	s_cmp_ge_u32 s11, s9
	s_cselect_b32 s33, s12, s10
	s_abs_i32 s9, s31
	v_cvt_f32_u32_e32 v2, s9
	s_lshl_b32 s8, s8, 1
	s_mul_i32 s12, s33, s3
	s_sub_i32 s13, 0, s9
	v_rcp_iflag_f32_e32 v2, v2
	s_sub_i32 s28, s8, s12
	s_abs_i32 s11, s3
	s_xor_b32 s10, s3, s31
	v_mul_f32_e32 v2, 0x4f7ffffe, v2
	v_cvt_u32_f32_e32 v2, v2
	s_ashr_i32 s10, s10, 31
	v_readfirstlane_b32 s8, v2
	s_mul_i32 s13, s13, s8
	s_mul_hi_u32 s12, s8, s13
	s_add_i32 s8, s8, s12
	s_mul_hi_u32 s8, s11, s8
	s_mul_i32 s12, s8, s9
	s_sub_i32 s11, s11, s12
	s_add_i32 s13, s8, 1
	s_sub_i32 s12, s11, s9
	s_cmp_ge_u32 s11, s9
	s_cselect_b32 s8, s13, s8
	s_cselect_b32 s11, s12, s11
	s_add_i32 s12, s8, 1
	s_cmp_ge_u32 s11, s9
	s_cselect_b32 s8, s12, s8
	s_xor_b32 s8, s8, s10
	s_sub_i32 s31, s8, s10
	s_abs_i32 s29, s31
	v_cvt_f32_u32_e32 v2, s29
	s_load_dwordx16 s[8:23], s[4:5], 0x0
	v_rcp_iflag_f32_e32 v2, v2
	s_waitcnt lgkmcnt(0)
	s_cmp_eq_u64 s[14:15], 0
	v_mul_f32_e32 v2, 0x4f7ffffe, v2
	v_cvt_u32_f32_e32 v2, v2
	v_readfirstlane_b32 s38, v2
	s_cbranch_scc1 .LBB81_2
; %bb.1:
	s_abs_i32 s26, s36
	v_cvt_f32_u32_e32 v2, s26
	s_sub_i32 s35, 0, s26
	s_abs_i32 s34, s33
	s_ashr_i32 s27, s33, 31
	v_rcp_iflag_f32_e32 v2, v2
	s_load_dwordx2 s[24:25], s[4:5], 0xc8
	v_mul_f32_e32 v2, 0x4f7ffffe, v2
	v_cvt_u32_f32_e32 v2, v2
	v_readfirstlane_b32 s36, v2
	s_mul_i32 s35, s35, s36
	s_mul_hi_u32 s35, s36, s35
	s_add_i32 s36, s36, s35
	s_mul_hi_u32 s35, s34, s36
	s_mul_i32 s35, s35, s26
	s_sub_i32 s34, s34, s35
	s_sub_i32 s35, s34, s26
	s_cmp_ge_u32 s34, s26
	s_cselect_b32 s34, s35, s34
	s_sub_i32 s35, s34, s26
	s_cmp_ge_u32 s34, s26
	s_cselect_b32 s26, s35, s34
	s_xor_b32 s26, s26, s27
	s_sub_i32 s26, s26, s27
	s_ashr_i32 s27, s26, 31
	s_waitcnt lgkmcnt(0)
	s_mul_hi_u32 s34, s24, s26
	s_mul_i32 s27, s24, s27
	s_mul_i32 s25, s25, s26
	s_add_i32 s27, s34, s27
	s_add_i32 s27, s27, s25
	s_mul_i32 s24, s24, s26
	s_add_u32 s34, s14, s24
	s_addc_u32 s35, s15, s27
.LBB81_2:
	s_lshl_b32 s14, s6, 4
	v_lshlrev_b32_e32 v13, 1, v1
	s_load_dwordx4 s[24:27], s[4:5], 0x70
	v_add_u32_e32 v14, s14, v13
	v_mul_hi_u32 v2, v14, s0
	v_lshlrev_b32_e32 v27, 4, v0
	s_waitcnt lgkmcnt(0)
	s_mul_i32 s15, s33, s26
	v_add_u32_e32 v2, v14, v2
	s_ashr_i32 s27, s15, 31
	v_lshrrev_b32_e32 v2, s1, v2
	s_mul_i32 s26, s28, s25
	s_add_u32 s8, s8, s15
	v_mul_lo_u32 v2, v2, s2
	s_addc_u32 s9, s9, s27
	s_ashr_i32 s15, s26, 31
	s_add_u32 s36, s8, s26
	s_addc_u32 s15, s9, s15
	s_ashr_i32 s27, s24, 31
	s_mov_b32 s26, s24
	s_lshr_b64 s[8:9], s[26:27], 2
	v_sub_u32_e32 v2, v14, v2
	v_mad_u64_u32 v[4:5], s[40:41], s8, v2, 0
	s_lshr_b32 s39, s27, 2
	s_ashr_i32 s9, s25, 31
	v_mov_b32_e32 v3, v5
	v_mad_u64_u32 v[5:6], s[26:27], s39, v2, v[3:4]
	v_lshlrev_b32_e32 v3, 2, v1
	v_or_b32_e32 v29, 2, v3
	v_lshlrev_b64 v[4:5], 2, v[4:5]
	v_mov_b32_e32 v6, s15
	v_add_co_u32_e32 v7, vcc, s36, v4
	v_lshrrev_b32_e32 v17, 1, v29
	v_addc_co_u32_e32 v6, vcc, v6, v5, vcc
	v_add_u32_e32 v18, s14, v17
	v_add_co_u32_e32 v15, vcc, v7, v27
	s_and_b32 s24, s25, -4
	v_mul_hi_u32 v7, v18, s0
	s_add_u32 s26, s36, s24
	v_addc_co_u32_e32 v16, vcc, 0, v6, vcc
	s_addc_u32 s27, s15, s9
	v_mov_b32_e32 v6, s27
	v_add_co_u32_e32 v4, vcc, s26, v4
	v_addc_co_u32_e32 v5, vcc, v6, v5, vcc
	v_add_u32_e32 v6, v18, v7
	v_lshrrev_b32_e32 v6, s1, v6
	v_add_co_u32_e32 v19, vcc, v4, v27
	v_mul_lo_u32 v21, v6, s2
	v_addc_co_u32_e32 v20, vcc, 0, v5, vcc
	global_load_dwordx4 v[5:8], v[15:16], off
	global_load_dwordx4 v[9:12], v[19:20], off
	v_or_b32_e32 v30, 3, v3
	v_sub_u32_e32 v21, v18, v21
	v_lshrrev_b32_e32 v15, 1, v30
	v_mad_u64_u32 v[19:20], s[24:25], s8, v21, 0
	v_add_u32_e32 v16, s14, v15
	v_mul_hi_u32 v22, v16, s0
	v_mov_b32_e32 v4, v20
	s_cmp_eq_u64 s[18:19], 0
	s_waitcnt vmcnt(1)
	v_mad_u64_u32 v[20:21], s[24:25], s39, v21, v[4:5]
	v_add_u32_e32 v4, v16, v22
	v_lshrrev_b32_e32 v4, s1, v4
	v_mul_lo_u32 v4, v4, s2
	v_lshlrev_b64 v[19:20], 2, v[19:20]
	v_mov_b32_e32 v21, s15
	v_add_co_u32_e32 v23, vcc, s36, v19
	v_sub_u32_e32 v22, v16, v4
	v_mad_u64_u32 v[25:26], s[8:9], s8, v22, 0
	v_addc_co_u32_e32 v21, vcc, v21, v20, vcc
	v_mov_b32_e32 v4, v26
	v_mad_u64_u32 v[19:20], s[8:9], s39, v22, v[4:5]
	v_add_co_u32_e32 v20, vcc, v23, v27
	v_addc_co_u32_e32 v21, vcc, 0, v21, vcc
	v_mov_b32_e32 v26, v19
	global_load_dwordx4 v[21:24], v[20:21], off
	v_lshlrev_b64 v[19:20], 2, v[25:26]
	v_mov_b32_e32 v4, s27
	v_add_co_u32_e32 v19, vcc, s26, v19
	v_addc_co_u32_e32 v4, vcc, v4, v20, vcc
	v_add_co_u32_e32 v19, vcc, v19, v27
	v_addc_co_u32_e32 v20, vcc, 0, v4, vcc
	global_load_dwordx4 v[25:28], v[19:20], off
	s_load_dword s8, s[4:5], 0x40
	v_lshlrev_b32_e32 v20, 3, v0
	v_add_u32_e32 v19, 0x2400, v20
	v_lshlrev_b32_e32 v4, 10, v1
	v_add_u32_e32 v31, v19, v4
	s_waitcnt lgkmcnt(0)
	v_fma_mixlo_f16 v5, s8, v5, 0
	v_fma_mixlo_f16 v6, s8, v6, 0
	v_lshlrev_b32_e32 v6, 16, v6
	v_and_b32_e32 v5, 0xffff, v5
	v_or_b32_e32 v5, v6, v5
	v_fma_mixlo_f16 v6, s8, v7, 0
	v_fma_mixlo_f16 v7, s8, v8, 0
	v_lshlrev_b32_e32 v7, 16, v7
	v_and_b32_e32 v6, 0xffff, v6
	v_or3_b32 v6, v7, v6, 0
	s_waitcnt vmcnt(2)
	v_fma_mixlo_f16 v7, s8, v9, 0
	v_fma_mixlo_f16 v8, s8, v10, 0
	v_lshlrev_b32_e32 v8, 16, v8
	v_and_b32_e32 v7, 0xffff, v7
	v_or_b32_e32 v7, v8, v7
	v_fma_mixlo_f16 v8, s8, v11, 0
	v_fma_mixlo_f16 v9, s8, v12, 0
	v_lshlrev_b32_e32 v9, 16, v9
	v_and_b32_e32 v8, 0xffff, v8
	v_or3_b32 v5, 0, 0, v5
	v_or3_b32 v8, v9, v8, 0
	;; [unrolled: 1-line block ×3, first 2 shown]
	ds_write2_b64 v31, v[5:6], v[7:8] offset1:32
	v_lshl_add_u32 v8, v29, 8, v19
	s_waitcnt vmcnt(1)
	v_fma_mixlo_f16 v5, s8, v21, 0
	v_fma_mixlo_f16 v6, s8, v22, 0
	v_lshlrev_b32_e32 v6, 16, v6
	v_and_b32_e32 v5, 0xffff, v5
	v_or_b32_e32 v5, v6, v5
	v_fma_mixlo_f16 v6, s8, v23, 0
	v_fma_mixlo_f16 v7, s8, v24, 0
	v_lshlrev_b32_e32 v7, 16, v7
	v_and_b32_e32 v6, 0xffff, v6
	v_or3_b32 v6, v7, v6, 0
	v_or3_b32 v5, 0, 0, v5
	ds_write_b64 v8, v[5:6]
	s_waitcnt vmcnt(0)
	v_fma_mixlo_f16 v5, s8, v25, 0
	v_fma_mixlo_f16 v6, s8, v26, 0
	v_lshlrev_b32_e32 v6, 16, v6
	v_and_b32_e32 v5, 0xffff, v5
	v_or_b32_e32 v5, v6, v5
	v_fma_mixlo_f16 v6, s8, v27, 0
	v_fma_mixlo_f16 v7, s8, v28, 0
	v_lshlrev_b32_e32 v7, 16, v7
	v_and_b32_e32 v6, 0xffff, v6
	v_lshl_add_u32 v8, v30, 8, v19
	v_or3_b32 v6, v7, v6, 0
	v_or3_b32 v5, 0, 0, v5
	ds_write_b64 v8, v[5:6]
	s_waitcnt lgkmcnt(0)
	s_barrier
	s_cbranch_scc1 .LBB81_4
; %bb.3:
	s_load_dword s8, s[4:5], 0xd0
	s_mov_b32 s9, 0
	s_waitcnt lgkmcnt(0)
	s_mul_i32 s8, s8, s33
	s_add_i32 s8, s8, s6
	s_lshl_b64 s[8:9], s[8:9], 2
	s_add_u32 s8, s18, s8
	s_addc_u32 s9, s19, s9
	s_load_dword s30, s[8:9], 0x0
.LBB81_4:
	s_lshl_b32 s6, s7, 6
	s_waitcnt lgkmcnt(0)
	s_cmp_lt_i32 s6, s30
	v_mbcnt_lo_u32_b32 v38, -1, 0
	s_cbranch_scc1 .LBB81_10
; %bb.5:
	v_mbcnt_hi_u32_b32 v21, -1, v38
	v_and_b32_e32 v5, 0x60, v21
	v_add_u32_e32 v59, 32, v5
	v_xor_b32_e32 v62, 16, v21
	v_xor_b32_e32 v60, 8, v21
	;; [unrolled: 1-line block ×5, first 2 shown]
	v_lshlrev_b32_e32 v19, 2, v0
	s_cbranch_execz .LBB81_11
; %bb.6:
	v_mov_b32_e32 v42, 0
	v_mov_b32_e32 v56, 0
	;; [unrolled: 1-line block ×16, first 2 shown]
.LBB81_7:
	v_cmp_lt_i32_e32 vcc, v62, v59
	v_cndmask_b32_e32 v5, v21, v62, vcc
	v_lshlrev_b32_e32 v5, 2, v5
	ds_bpermute_b32 v6, v5, v53
	ds_bpermute_b32 v12, v5, v54
	;; [unrolled: 1-line block ×4, first 2 shown]
	v_cmp_lt_i32_e32 vcc, v60, v59
	v_cndmask_b32_e32 v7, v21, v60, vcc
	v_cmp_lt_i32_e32 vcc, v61, v59
	v_cndmask_b32_e32 v9, v21, v61, vcc
	v_cmp_lt_i32_e32 vcc, v63, v59
	v_lshlrev_b32_e32 v7, 2, v7
	s_waitcnt lgkmcnt(3)
	v_add_f32_e32 v6, v53, v6
	v_cndmask_b32_e32 v10, v21, v63, vcc
	v_cmp_lt_i32_e32 vcc, v64, v59
	s_waitcnt lgkmcnt(2)
	v_add_f32_e32 v12, v54, v12
	s_waitcnt lgkmcnt(1)
	v_add_f32_e32 v20, v55, v20
	;; [unrolled: 2-line block ×3, first 2 shown]
	ds_bpermute_b32 v8, v7, v6
	v_cndmask_b32_e32 v11, v21, v64, vcc
	ds_bpermute_b32 v21, v7, v12
	ds_bpermute_b32 v22, v7, v20
	ds_bpermute_b32 v7, v7, v5
	v_lshlrev_b32_e32 v9, 2, v9
	s_waitcnt lgkmcnt(3)
	v_add_f32_e32 v6, v6, v8
	s_waitcnt lgkmcnt(2)
	v_add_f32_e32 v12, v12, v21
	s_waitcnt lgkmcnt(1)
	v_add_f32_e32 v20, v20, v22
	s_waitcnt lgkmcnt(0)
	v_add_f32_e32 v5, v5, v7
	ds_bpermute_b32 v8, v9, v6
	ds_bpermute_b32 v21, v9, v12
	ds_bpermute_b32 v22, v9, v20
	ds_bpermute_b32 v7, v9, v5
	v_lshlrev_b32_e32 v10, 2, v10
	s_waitcnt lgkmcnt(3)
	v_add_f32_e32 v6, v6, v8
	s_waitcnt lgkmcnt(2)
	v_add_f32_e32 v9, v12, v21
	s_waitcnt lgkmcnt(1)
	v_add_f32_e32 v20, v20, v22
	s_waitcnt lgkmcnt(0)
	v_add_f32_e32 v5, v5, v7
	ds_bpermute_b32 v8, v10, v6
	;; [unrolled: 13-line block ×3, first 2 shown]
	ds_bpermute_b32 v10, v11, v9
	ds_bpermute_b32 v20, v11, v12
	;; [unrolled: 1-line block ×3, first 2 shown]
	s_cmp_lg_u64 s[16:17], 0
	s_cselect_b64 s[0:1], -1, 0
	s_cmp_eq_u32 s7, 0
	s_cselect_b64 s[8:9], -1, 0
	s_and_b64 s[0:1], s[8:9], s[0:1]
	s_waitcnt lgkmcnt(3)
	v_add_f32_e32 v5, v6, v8
	s_waitcnt lgkmcnt(2)
	v_add_f32_e32 v6, v9, v10
	;; [unrolled: 2-line block ×4, first 2 shown]
	s_and_b64 vcc, exec, s[0:1]
	s_cbranch_vccz .LBB81_46
; %bb.8:
	s_ashr_i32 s29, s28, 31
	s_lshl_b64 s[0:1], s[28:29], 2
	s_add_u32 s0, s16, s0
	s_addc_u32 s1, s17, s1
	v_mov_b32_e32 v9, 0
	global_load_dwordx2 v[11:12], v9, s[0:1]
	v_max_f32_e32 v9, v1, v1
	v_max_f32_e32 v10, v2, v2
	;; [unrolled: 1-line block ×3, first 2 shown]
	s_mov_b32 s6, 0x3fb8aa3b
	s_mov_b32 s1, 0xc2ce8ed0
	;; [unrolled: 1-line block ×3, first 2 shown]
	v_mov_b32_e32 v24, 0x7f800000
	s_waitcnt vmcnt(0)
	v_max_f32_e32 v23, v11, v11
	v_max_f32_e32 v20, v9, v23
	;; [unrolled: 1-line block ×3, first 2 shown]
	v_sub_f32_e32 v1, v1, v20
	v_max_f32_e32 v21, v10, v25
	v_max_f32_e32 v22, v22, v23
	v_sub_f32_e32 v9, v11, v20
	v_mul_f32_e32 v23, 0x3fb8aa3b, v1
	v_sub_f32_e32 v2, v2, v21
	v_mul_f32_e32 v26, 0x3fb8aa3b, v9
	v_fma_f32 v31, v1, s6, -v23
	v_rndne_f32_e32 v32, v23
	v_sub_f32_e32 v10, v12, v21
	v_mul_f32_e32 v27, 0x3fb8aa3b, v2
	v_fma_f32 v33, v9, s6, -v26
	v_rndne_f32_e32 v34, v26
	v_fmac_f32_e32 v31, 0x32a5705f, v1
	v_sub_f32_e32 v23, v23, v32
	v_mul_f32_e32 v28, 0x3fb8aa3b, v10
	v_fma_f32 v35, v2, s6, -v27
	v_rndne_f32_e32 v36, v27
	v_fmac_f32_e32 v33, 0x32a5705f, v9
	v_sub_f32_e32 v26, v26, v34
	v_add_f32_e32 v23, v23, v31
	v_fma_f32 v45, v10, s6, -v28
	v_rndne_f32_e32 v46, v28
	v_cvt_i32_f32_e32 v32, v32
	v_fmac_f32_e32 v35, 0x32a5705f, v2
	v_sub_f32_e32 v27, v27, v36
	v_add_f32_e32 v26, v26, v33
	v_exp_f32_e32 v23, v23
	v_cvt_i32_f32_e32 v34, v34
	v_fmac_f32_e32 v45, 0x32a5705f, v10
	v_sub_f32_e32 v28, v28, v46
	v_add_f32_e32 v27, v27, v35
	v_exp_f32_e32 v26, v26
	v_cvt_i32_f32_e32 v36, v36
	v_add_f32_e32 v28, v28, v45
	v_exp_f32_e32 v27, v27
	v_cvt_i32_f32_e32 v46, v46
	v_exp_f32_e32 v28, v28
	v_ldexp_f32 v23, v23, v32
	v_cmp_ngt_f32_e32 vcc, s1, v1
	v_ldexp_f32 v26, v26, v34
	v_cndmask_b32_e32 v23, 0, v23, vcc
	v_cmp_ngt_f32_e32 vcc, s1, v9
	v_sub_f32_e32 v3, v3, v22
	v_ldexp_f32 v27, v27, v36
	v_cndmask_b32_e32 v26, 0, v26, vcc
	v_cmp_ngt_f32_e32 vcc, s1, v2
	v_mul_f32_e32 v29, 0x3fb8aa3b, v3
	v_ldexp_f32 v28, v28, v46
	v_cndmask_b32_e32 v27, 0, v27, vcc
	v_cmp_ngt_f32_e32 vcc, s1, v10
	v_sub_f32_e32 v11, v11, v22
	v_fma_f32 v47, v3, s6, -v29
	v_rndne_f32_e32 v48, v29
	v_cndmask_b32_e32 v28, 0, v28, vcc
	v_cmp_nlt_f32_e32 vcc, s0, v1
	v_mul_f32_e32 v30, 0x3fb8aa3b, v11
	v_fmac_f32_e32 v47, 0x32a5705f, v3
	v_sub_f32_e32 v29, v29, v48
	v_cndmask_b32_e32 v1, v24, v23, vcc
	v_cmp_nlt_f32_e32 vcc, s0, v9
	v_fma_f32 v49, v11, s6, -v30
	v_rndne_f32_e32 v50, v30
	v_add_f32_e32 v29, v29, v47
	v_cndmask_b32_e32 v9, v24, v26, vcc
	v_cmp_nlt_f32_e32 vcc, s0, v2
	v_cvt_i32_f32_e32 v48, v48
	v_fmac_f32_e32 v49, 0x32a5705f, v11
	v_sub_f32_e32 v30, v30, v50
	v_exp_f32_e32 v29, v29
	v_cndmask_b32_e32 v2, v24, v27, vcc
	v_cvt_f16_f32_e32 v23, v1
	v_add_f32_e32 v30, v30, v49
	v_cvt_f16_f32_e32 v26, v2
	v_cvt_i32_f32_e32 v50, v50
	v_exp_f32_e32 v30, v30
	v_cmp_nlt_f32_e32 vcc, s0, v10
	v_ldexp_f32 v29, v29, v48
	v_cndmask_b32_e32 v10, v24, v28, vcc
	v_fmac_f32_e32 v9, v5, v1
	v_mul_u32_u24_e32 v1, 0x10001, v23
	v_cmp_ngt_f32_e32 vcc, s1, v3
	v_fmac_f32_e32 v10, v6, v2
	v_mul_u32_u24_e32 v2, 0x10001, v26
	v_pk_mul_f16 v42, v42, v1
	v_pk_mul_f16 v44, v44, v1
	v_cndmask_b32_e32 v1, 0, v29, vcc
	v_cmp_nlt_f32_e32 vcc, s0, v3
	v_pk_mul_f16 v41, v41, v2
	v_pk_mul_f16 v43, v43, v2
	v_cndmask_b32_e32 v1, v24, v1, vcc
	v_ldexp_f32 v2, v30, v50
	v_cmp_ngt_f32_e32 vcc, s1, v11
	v_cndmask_b32_e32 v2, 0, v2, vcc
	v_cmp_nlt_f32_e32 vcc, s0, v11
	v_cndmask_b32_e32 v11, v24, v2, vcc
	v_max_f32_e32 v2, v4, v4
	v_max_f32_e32 v23, v2, v25
	v_sub_f32_e32 v2, v4, v23
	v_mul_f32_e32 v3, 0x3fb8aa3b, v2
	v_fma_f32 v4, v2, s6, -v3
	v_rndne_f32_e32 v5, v3
	v_fmac_f32_e32 v4, 0x32a5705f, v2
	v_sub_f32_e32 v3, v3, v5
	v_fmac_f32_e32 v11, v7, v1
	v_cvt_f16_f32_e32 v1, v1
	v_add_f32_e32 v3, v3, v4
	v_exp_f32_e32 v3, v3
	v_cvt_i32_f32_e32 v4, v5
	v_mul_u32_u24_e32 v1, 0x10001, v1
	v_pk_mul_f16 v39, v39, v1
	v_pk_mul_f16 v40, v40, v1
	v_ldexp_f32 v1, v3, v4
	v_sub_f32_e32 v3, v12, v23
	v_mul_f32_e32 v4, 0x3fb8aa3b, v3
	v_fma_f32 v5, v3, s6, -v4
	v_rndne_f32_e32 v6, v4
	v_fmac_f32_e32 v5, 0x32a5705f, v3
	v_sub_f32_e32 v4, v4, v6
	v_add_f32_e32 v4, v4, v5
	v_exp_f32_e32 v4, v4
	v_cvt_i32_f32_e32 v5, v6
	v_cmp_ngt_f32_e32 vcc, s1, v2
	v_cndmask_b32_e32 v1, 0, v1, vcc
	v_cmp_nlt_f32_e32 vcc, s0, v2
	v_cndmask_b32_e32 v1, v24, v1, vcc
	v_ldexp_f32 v2, v4, v5
	v_cvt_f16_f32_e32 v4, v1
	v_cmp_ngt_f32_e32 vcc, s1, v3
	v_cndmask_b32_e32 v2, 0, v2, vcc
	v_cmp_nlt_f32_e32 vcc, s0, v3
	v_cndmask_b32_e32 v12, v24, v2, vcc
	v_fmac_f32_e32 v12, v8, v1
	v_mul_u32_u24_e32 v1, 0x10001, v4
	v_pk_mul_f16 v38, v38, v1
	v_pk_mul_f16 v37, v37, v1
	v_mov_b32_e32 v1, v20
	v_mov_b32_e32 v2, v21
	;; [unrolled: 1-line block ×8, first 2 shown]
	v_cmp_gt_i32_e32 vcc, s2, v14
	s_and_saveexec_b64 s[0:1], vcc
	s_cbranch_execnz .LBB81_47
.LBB81_9:
	s_endpgm
.LBB81_10:
                                        ; implicit-def: $vgpr21
                                        ; implicit-def: $vgpr59
                                        ; implicit-def: $vgpr62
                                        ; implicit-def: $vgpr60
                                        ; implicit-def: $vgpr61
                                        ; implicit-def: $vgpr63
                                        ; implicit-def: $vgpr64
	v_lshlrev_b32_e32 v19, 2, v0
.LBB81_11:
	s_sub_i32 s8, 0, s29
	s_mul_i32 s8, s8, s38
	s_mul_hi_u32 s8, s38, s8
	s_add_i32 s38, s38, s8
	s_load_dwordx4 s[24:27], s[4:5], 0x98
	s_load_dword s15, s[4:5], 0x54
	s_load_dwordx2 s[8:9], s[4:5], 0x8c
	s_abs_i32 s36, s28
	s_mul_hi_u32 s40, s36, s38
	s_waitcnt lgkmcnt(0)
	s_ashr_i32 s18, s26, 2
	s_ashr_i32 s26, s37, 1
	;; [unrolled: 1-line block ×4, first 2 shown]
	s_mul_hi_u32 s37, s24, s33
	s_mul_i32 s42, s24, s8
	s_add_i32 s37, s37, s42
	s_mul_i32 s25, s25, s33
	s_ashr_i32 s41, s28, 31
	s_ashr_i32 s31, s31, 31
	s_add_i32 s37, s37, s25
	s_mul_i32 s24, s24, s33
	s_add_u32 s10, s10, s24
	s_mul_i32 s25, s40, s29
	s_addc_u32 s11, s11, s37
	s_sub_i32 s25, s36, s25
	s_xor_b32 s24, s41, s31
	s_add_i32 s31, s40, 1
	s_sub_i32 s36, s25, s29
	s_cmp_ge_u32 s25, s29
	s_cselect_b32 s31, s31, s40
	s_cselect_b32 s25, s36, s25
	s_add_i32 s36, s31, 1
	s_cmp_ge_u32 s25, s29
	s_load_dwordx2 s[38:39], s[4:5], 0xa8
	s_cselect_b32 s25, s36, s31
	s_xor_b32 s25, s25, s24
	s_sub_i32 s24, s25, s24
	s_mul_i32 s9, s24, s9
	s_ashr_i32 s25, s9, 31
	s_add_u32 s10, s10, s9
	s_waitcnt lgkmcnt(0)
	s_mul_hi_u32 s9, s38, s33
	s_mul_i32 s8, s38, s8
	s_addc_u32 s11, s11, s25
	s_add_i32 s8, s9, s8
	s_mul_i32 s9, s39, s33
	s_add_i32 s8, s8, s9
	s_mul_i32 s9, s38, s33
	s_add_u32 s9, s12, s9
	s_mul_i32 s24, s24, s27
	s_addc_u32 s8, s13, s8
	s_ashr_i32 s13, s24, 31
	s_add_u32 s12, s9, s24
	v_lshrrev_b32_e32 v5, 3, v0
	v_and_b32_e32 v9, 28, v19
	s_addc_u32 s13, s8, s13
	v_add_u32_e32 v3, v5, v3
	v_lshlrev_b32_e32 v6, 2, v9
	s_movk_i32 s8, 0x90
	v_mul_lo_u32 v5, s19, v3
	v_mad_u32_u24 v22, v3, s8, v6
	v_add3_u32 v3, s14, v13, 1
	v_mul_hi_u32 v10, s0, v3
	v_mul_lo_u32 v26, v2, s26
	v_and_b32_e32 v11, 60, v19
	v_lshl_add_u32 v7, s19, 5, v5
	v_add_u32_e32 v10, v3, v10
	v_lshrrev_b32_e32 v10, s1, v10
	v_mul_lo_u32 v10, v10, s2
	v_ashrrev_i32_e32 v6, 31, v5
	v_ashrrev_i32_e32 v8, 31, v7
	v_add_u32_e32 v24, 0x2400, v4
	v_sub_u32_e32 v2, v3, v10
	v_mul_lo_u32 v27, v2, s26
	v_mov_b32_e32 v2, 0x4400
	v_lshl_add_u32 v28, v1, 9, v2
	v_lshrrev_b32_e32 v1, 4, v0
	v_add_u32_e32 v2, v1, v13
	v_mul_lo_u32 v1, s18, v2
	v_lshlrev_b32_e32 v3, 2, v11
	v_lshl_or_b32 v29, v2, 8, v3
	s_add_u32 s0, s4, 0xd0
	v_lshl_add_u32 v3, s18, 4, v1
	v_ashrrev_i32_e32 v2, 31, v1
	v_ashrrev_i32_e32 v4, 31, v3
	v_lshlrev_b64 v[5:6], 2, v[5:6]
	v_lshlrev_b32_e32 v31, 2, v9
	v_lshlrev_b64 v[7:8], 2, v[7:8]
	v_lshlrev_b64 v[9:10], 2, v[1:2]
	v_lshlrev_b32_e32 v35, 2, v11
	v_lshlrev_b64 v[11:12], 2, v[3:4]
	v_mov_b32_e32 v37, 0
	v_add_u32_e32 v23, 0x1200, v22
	v_mul_u32_u24_e32 v25, 0x90, v0
	v_add_u32_e32 v30, 0x1000, v29
	s_addc_u32 s1, s5, 0
	v_mov_b32_e32 v52, 0xfeffffff
	s_mov_b32 s24, 0x3f200000
	s_mov_b32 s25, 0x3fb8aa3b
	;; [unrolled: 1-line block ×4, first 2 shown]
	v_mov_b32_e32 v32, 0xbd5c1c4e
	v_mov_b32_e32 v33, 0x3e088382
	;; [unrolled: 1-line block ×3, first 2 shown]
	s_brev_b32 s29, -2
	s_mov_b32 s31, 0x10001
	v_mov_b32_e32 v36, 0x7f800000
	v_mbcnt_hi_u32_b32 v21, -1, v38
	v_mov_b32_e32 v38, 0
	v_mov_b32_e32 v40, 0
	;; [unrolled: 1-line block ×14, first 2 shown]
.LBB81_12:                              ; =>This Inner Loop Header: Depth=1
	s_mul_hi_i32 s9, s6, s19
	s_mul_i32 s8, s6, s19
	s_lshl_b64 s[8:9], s[8:9], 2
	s_add_u32 s8, s10, s8
	s_addc_u32 s9, s11, s9
	v_mov_b32_e32 v1, s9
	v_add_co_u32_e32 v2, vcc, s8, v5
	v_addc_co_u32_e32 v3, vcc, v1, v6, vcc
	v_add_co_u32_e32 v1, vcc, v2, v31
	v_addc_co_u32_e32 v2, vcc, 0, v3, vcc
	v_mov_b32_e32 v3, s9
	v_add_co_u32_e32 v4, vcc, s8, v7
	v_addc_co_u32_e32 v53, vcc, v3, v8, vcc
	v_add_co_u32_e32 v3, vcc, v4, v31
	v_addc_co_u32_e32 v4, vcc, 0, v53, vcc
	global_load_dwordx4 v[61:64], v[1:2], off
	global_load_dwordx4 v[65:68], v[3:4], off
	v_mov_b32_e32 v59, 0
	v_mov_b32_e32 v57, 0
	;; [unrolled: 1-line block ×8, first 2 shown]
	s_waitcnt vmcnt(1)
	ds_write_b128 v22, v[61:64]
	s_waitcnt vmcnt(0)
	ds_write_b128 v23, v[65:68]
	s_waitcnt lgkmcnt(0)
	s_barrier
	ds_read_b128 v[61:64], v24
	ds_read_b128 v[65:68], v25
	ds_read_b128 v[69:72], v25 offset:4608
	ds_read_b128 v[73:76], v24 offset:256
	;; [unrolled: 1-line block ×4, first 2 shown]
	s_waitcnt lgkmcnt(4)
	;;#ASMSTART
	v_dot2_f32_f16 v59, v65, v61, v59
	;;#ASMEND
	;;#ASMSTART
	v_dot2_f32_f16 v59, v66, v62, v59
	;;#ASMEND
	;;#ASMSTART
	v_dot2_f32_f16 v59, v67, v63, v59
	;;#ASMEND
	;;#ASMSTART
	v_dot2_f32_f16 v59, v68, v64, v59
	;;#ASMEND
	s_waitcnt lgkmcnt(2)
	;;#ASMSTART
	v_dot2_f32_f16 v57, v65, v73, v57
	;;#ASMEND
	;;#ASMSTART
	v_dot2_f32_f16 v57, v66, v74, v57
	;;#ASMEND
	;;#ASMSTART
	v_dot2_f32_f16 v57, v67, v75, v57
	;;#ASMEND
	;;#ASMSTART
	v_dot2_f32_f16 v57, v68, v76, v57
	;;#ASMEND
	;; [unrolled: 13-line block ×4, first 2 shown]
	;;#ASMSTART
	v_dot2_f32_f16 v60, v69, v61, v60
	;;#ASMEND
	;;#ASMSTART
	v_dot2_f32_f16 v60, v70, v62, v60
	;;#ASMEND
	;; [unrolled: 3-line block ×16, first 2 shown]
	ds_read_b128 v[61:64], v24 offset:16
	ds_read_b128 v[65:68], v25 offset:16
	;; [unrolled: 1-line block ×6, first 2 shown]
	s_waitcnt lgkmcnt(4)
	;;#ASMSTART
	v_dot2_f32_f16 v59, v65, v61, v59
	;;#ASMEND
	;;#ASMSTART
	v_dot2_f32_f16 v59, v66, v62, v59
	;;#ASMEND
	;;#ASMSTART
	v_dot2_f32_f16 v59, v67, v63, v59
	;;#ASMEND
	;;#ASMSTART
	v_dot2_f32_f16 v59, v68, v64, v59
	;;#ASMEND
	s_waitcnt lgkmcnt(2)
	;;#ASMSTART
	v_dot2_f32_f16 v57, v65, v73, v57
	;;#ASMEND
	;;#ASMSTART
	v_dot2_f32_f16 v57, v66, v74, v57
	;;#ASMEND
	;;#ASMSTART
	v_dot2_f32_f16 v57, v67, v75, v57
	;;#ASMEND
	;;#ASMSTART
	v_dot2_f32_f16 v57, v68, v76, v57
	;;#ASMEND
	;; [unrolled: 13-line block ×4, first 2 shown]
	;;#ASMSTART
	v_dot2_f32_f16 v60, v69, v61, v60
	;;#ASMEND
	;;#ASMSTART
	v_dot2_f32_f16 v60, v70, v62, v60
	;;#ASMEND
	;; [unrolled: 3-line block ×16, first 2 shown]
	ds_read_b128 v[61:64], v24 offset:32
	ds_read_b128 v[65:68], v25 offset:32
	;; [unrolled: 1-line block ×6, first 2 shown]
	s_waitcnt lgkmcnt(4)
	;;#ASMSTART
	v_dot2_f32_f16 v59, v65, v61, v59
	;;#ASMEND
	;;#ASMSTART
	v_dot2_f32_f16 v59, v66, v62, v59
	;;#ASMEND
	;;#ASMSTART
	v_dot2_f32_f16 v59, v67, v63, v59
	;;#ASMEND
	;;#ASMSTART
	v_dot2_f32_f16 v59, v68, v64, v59
	;;#ASMEND
	s_waitcnt lgkmcnt(2)
	;;#ASMSTART
	v_dot2_f32_f16 v57, v65, v73, v57
	;;#ASMEND
	;;#ASMSTART
	v_dot2_f32_f16 v57, v66, v74, v57
	;;#ASMEND
	;;#ASMSTART
	v_dot2_f32_f16 v57, v67, v75, v57
	;;#ASMEND
	;;#ASMSTART
	v_dot2_f32_f16 v57, v68, v76, v57
	;;#ASMEND
	;; [unrolled: 13-line block ×4, first 2 shown]
	;;#ASMSTART
	v_dot2_f32_f16 v60, v69, v61, v60
	;;#ASMEND
	;;#ASMSTART
	v_dot2_f32_f16 v60, v70, v62, v60
	;;#ASMEND
	;; [unrolled: 3-line block ×16, first 2 shown]
	ds_read_b128 v[61:64], v24 offset:48
	ds_read_b128 v[65:68], v25 offset:48
	;; [unrolled: 1-line block ×6, first 2 shown]
	s_waitcnt lgkmcnt(4)
	;;#ASMSTART
	v_dot2_f32_f16 v59, v65, v61, v59
	;;#ASMEND
	;;#ASMSTART
	v_dot2_f32_f16 v59, v66, v62, v59
	;;#ASMEND
	;;#ASMSTART
	v_dot2_f32_f16 v59, v67, v63, v59
	;;#ASMEND
	;;#ASMSTART
	v_dot2_f32_f16 v59, v68, v64, v59
	;;#ASMEND
	s_waitcnt lgkmcnt(2)
	;;#ASMSTART
	v_dot2_f32_f16 v57, v65, v73, v57
	;;#ASMEND
	;;#ASMSTART
	v_dot2_f32_f16 v57, v66, v74, v57
	;;#ASMEND
	;;#ASMSTART
	v_dot2_f32_f16 v57, v67, v75, v57
	;;#ASMEND
	;;#ASMSTART
	v_dot2_f32_f16 v57, v68, v76, v57
	;;#ASMEND
	;; [unrolled: 13-line block ×4, first 2 shown]
	;;#ASMSTART
	v_dot2_f32_f16 v60, v69, v61, v60
	;;#ASMEND
	;;#ASMSTART
	v_dot2_f32_f16 v60, v70, v62, v60
	;;#ASMEND
	;; [unrolled: 3-line block ×16, first 2 shown]
	ds_read_b128 v[61:64], v24 offset:64
	ds_read_b128 v[65:68], v25 offset:64
	;; [unrolled: 1-line block ×6, first 2 shown]
	s_waitcnt lgkmcnt(4)
	;;#ASMSTART
	v_dot2_f32_f16 v59, v65, v61, v59
	;;#ASMEND
	;;#ASMSTART
	v_dot2_f32_f16 v59, v66, v62, v59
	;;#ASMEND
	;;#ASMSTART
	v_dot2_f32_f16 v59, v67, v63, v59
	;;#ASMEND
	;;#ASMSTART
	v_dot2_f32_f16 v59, v68, v64, v59
	;;#ASMEND
	s_waitcnt lgkmcnt(2)
	;;#ASMSTART
	v_dot2_f32_f16 v57, v65, v73, v57
	;;#ASMEND
	;;#ASMSTART
	v_dot2_f32_f16 v57, v66, v74, v57
	;;#ASMEND
	;;#ASMSTART
	v_dot2_f32_f16 v57, v67, v75, v57
	;;#ASMEND
	;;#ASMSTART
	v_dot2_f32_f16 v57, v68, v76, v57
	;;#ASMEND
	;; [unrolled: 13-line block ×4, first 2 shown]
	;;#ASMSTART
	v_dot2_f32_f16 v60, v69, v61, v60
	;;#ASMEND
	;;#ASMSTART
	v_dot2_f32_f16 v60, v70, v62, v60
	;;#ASMEND
	;; [unrolled: 3-line block ×16, first 2 shown]
	ds_read_b128 v[61:64], v24 offset:80
	ds_read_b128 v[65:68], v25 offset:80
	;; [unrolled: 1-line block ×6, first 2 shown]
	s_waitcnt lgkmcnt(4)
	;;#ASMSTART
	v_dot2_f32_f16 v59, v65, v61, v59
	;;#ASMEND
	;;#ASMSTART
	v_dot2_f32_f16 v59, v66, v62, v59
	;;#ASMEND
	;;#ASMSTART
	v_dot2_f32_f16 v59, v67, v63, v59
	;;#ASMEND
	;;#ASMSTART
	v_dot2_f32_f16 v59, v68, v64, v59
	;;#ASMEND
	s_waitcnt lgkmcnt(2)
	;;#ASMSTART
	v_dot2_f32_f16 v57, v65, v73, v57
	;;#ASMEND
	;;#ASMSTART
	v_dot2_f32_f16 v57, v66, v74, v57
	;;#ASMEND
	;;#ASMSTART
	v_dot2_f32_f16 v57, v67, v75, v57
	;;#ASMEND
	;;#ASMSTART
	v_dot2_f32_f16 v57, v68, v76, v57
	;;#ASMEND
	;; [unrolled: 13-line block ×4, first 2 shown]
	;;#ASMSTART
	v_dot2_f32_f16 v60, v69, v61, v60
	;;#ASMEND
	;;#ASMSTART
	v_dot2_f32_f16 v60, v70, v62, v60
	;;#ASMEND
	;; [unrolled: 3-line block ×16, first 2 shown]
	ds_read_b128 v[61:64], v24 offset:96
	ds_read_b128 v[65:68], v25 offset:96
	;; [unrolled: 1-line block ×6, first 2 shown]
	s_waitcnt lgkmcnt(4)
	;;#ASMSTART
	v_dot2_f32_f16 v59, v65, v61, v59
	;;#ASMEND
	;;#ASMSTART
	v_dot2_f32_f16 v59, v66, v62, v59
	;;#ASMEND
	;;#ASMSTART
	v_dot2_f32_f16 v59, v67, v63, v59
	;;#ASMEND
	;;#ASMSTART
	v_dot2_f32_f16 v59, v68, v64, v59
	;;#ASMEND
	s_waitcnt lgkmcnt(2)
	;;#ASMSTART
	v_dot2_f32_f16 v57, v65, v73, v57
	;;#ASMEND
	;;#ASMSTART
	v_dot2_f32_f16 v57, v66, v74, v57
	;;#ASMEND
	;;#ASMSTART
	v_dot2_f32_f16 v57, v67, v75, v57
	;;#ASMEND
	;;#ASMSTART
	v_dot2_f32_f16 v57, v68, v76, v57
	;;#ASMEND
	;; [unrolled: 13-line block ×4, first 2 shown]
	;;#ASMSTART
	v_dot2_f32_f16 v60, v69, v61, v60
	;;#ASMEND
	;;#ASMSTART
	v_dot2_f32_f16 v60, v70, v62, v60
	;;#ASMEND
	;; [unrolled: 3-line block ×16, first 2 shown]
	ds_read_b128 v[61:64], v24 offset:112
	ds_read_b128 v[65:68], v25 offset:112
	;; [unrolled: 1-line block ×6, first 2 shown]
	s_waitcnt lgkmcnt(4)
	;;#ASMSTART
	v_dot2_f32_f16 v59, v65, v61, v59
	;;#ASMEND
	;;#ASMSTART
	v_dot2_f32_f16 v59, v66, v62, v59
	;;#ASMEND
	;;#ASMSTART
	v_dot2_f32_f16 v59, v67, v63, v59
	;;#ASMEND
	;;#ASMSTART
	v_dot2_f32_f16 v59, v68, v64, v59
	;;#ASMEND
	s_waitcnt lgkmcnt(2)
	;;#ASMSTART
	v_dot2_f32_f16 v57, v65, v73, v57
	;;#ASMEND
	;;#ASMSTART
	v_dot2_f32_f16 v57, v66, v74, v57
	;;#ASMEND
	;;#ASMSTART
	v_dot2_f32_f16 v57, v67, v75, v57
	;;#ASMEND
	;;#ASMSTART
	v_dot2_f32_f16 v57, v68, v76, v57
	;;#ASMEND
	;; [unrolled: 13-line block ×4, first 2 shown]
	;;#ASMSTART
	v_dot2_f32_f16 v60, v69, v61, v60
	;;#ASMEND
	;;#ASMSTART
	v_dot2_f32_f16 v60, v70, v62, v60
	;;#ASMEND
	;; [unrolled: 3-line block ×16, first 2 shown]
	s_barrier
	global_load_dwordx4 v[61:64], v[1:2], off offset:128
	s_nop 0
	global_load_dwordx4 v[1:4], v[3:4], off offset:128
	s_waitcnt vmcnt(1)
	ds_write_b128 v22, v[61:64]
	s_waitcnt vmcnt(0)
	ds_write_b128 v23, v[1:4]
	s_waitcnt lgkmcnt(0)
	s_barrier
	ds_read_b128 v[1:4], v24 offset:128
	ds_read_b128 v[61:64], v25
	ds_read_b128 v[65:68], v25 offset:4608
	ds_read_b128 v[69:72], v24 offset:384
	;; [unrolled: 1-line block ×4, first 2 shown]
	s_waitcnt lgkmcnt(4)
	;;#ASMSTART
	v_dot2_f32_f16 v59, v61, v1, v59
	;;#ASMEND
	;;#ASMSTART
	v_dot2_f32_f16 v59, v62, v2, v59
	;;#ASMEND
	;;#ASMSTART
	v_dot2_f32_f16 v59, v63, v3, v59
	;;#ASMEND
	;;#ASMSTART
	v_dot2_f32_f16 v59, v64, v4, v59
	;;#ASMEND
	s_waitcnt lgkmcnt(2)
	;;#ASMSTART
	v_dot2_f32_f16 v57, v61, v69, v57
	;;#ASMEND
	;;#ASMSTART
	v_dot2_f32_f16 v57, v62, v70, v57
	;;#ASMEND
	;;#ASMSTART
	v_dot2_f32_f16 v57, v63, v71, v57
	;;#ASMEND
	;;#ASMSTART
	v_dot2_f32_f16 v57, v64, v72, v57
	;;#ASMEND
	;; [unrolled: 13-line block ×4, first 2 shown]
	;;#ASMSTART
	v_dot2_f32_f16 v60, v65, v1, v60
	;;#ASMEND
	;;#ASMSTART
	v_dot2_f32_f16 v60, v66, v2, v60
	;;#ASMEND
	;; [unrolled: 3-line block ×16, first 2 shown]
	ds_read_b128 v[1:4], v24 offset:144
	ds_read_b128 v[61:64], v25 offset:16
	;; [unrolled: 1-line block ×6, first 2 shown]
	s_waitcnt lgkmcnt(4)
	;;#ASMSTART
	v_dot2_f32_f16 v59, v61, v1, v59
	;;#ASMEND
	;;#ASMSTART
	v_dot2_f32_f16 v59, v62, v2, v59
	;;#ASMEND
	;;#ASMSTART
	v_dot2_f32_f16 v59, v63, v3, v59
	;;#ASMEND
	;;#ASMSTART
	v_dot2_f32_f16 v59, v64, v4, v59
	;;#ASMEND
	s_waitcnt lgkmcnt(2)
	;;#ASMSTART
	v_dot2_f32_f16 v57, v61, v69, v57
	;;#ASMEND
	;;#ASMSTART
	v_dot2_f32_f16 v57, v62, v70, v57
	;;#ASMEND
	;;#ASMSTART
	v_dot2_f32_f16 v57, v63, v71, v57
	;;#ASMEND
	;;#ASMSTART
	v_dot2_f32_f16 v57, v64, v72, v57
	;;#ASMEND
	;; [unrolled: 13-line block ×4, first 2 shown]
	;;#ASMSTART
	v_dot2_f32_f16 v60, v65, v1, v60
	;;#ASMEND
	;;#ASMSTART
	v_dot2_f32_f16 v60, v66, v2, v60
	;;#ASMEND
	;; [unrolled: 3-line block ×16, first 2 shown]
	ds_read_b128 v[1:4], v24 offset:160
	ds_read_b128 v[61:64], v25 offset:32
	;; [unrolled: 1-line block ×6, first 2 shown]
	s_waitcnt lgkmcnt(4)
	;;#ASMSTART
	v_dot2_f32_f16 v59, v61, v1, v59
	;;#ASMEND
	;;#ASMSTART
	v_dot2_f32_f16 v59, v62, v2, v59
	;;#ASMEND
	;;#ASMSTART
	v_dot2_f32_f16 v59, v63, v3, v59
	;;#ASMEND
	;;#ASMSTART
	v_dot2_f32_f16 v59, v64, v4, v59
	;;#ASMEND
	s_waitcnt lgkmcnt(2)
	;;#ASMSTART
	v_dot2_f32_f16 v57, v61, v69, v57
	;;#ASMEND
	;;#ASMSTART
	v_dot2_f32_f16 v57, v62, v70, v57
	;;#ASMEND
	;;#ASMSTART
	v_dot2_f32_f16 v57, v63, v71, v57
	;;#ASMEND
	;;#ASMSTART
	v_dot2_f32_f16 v57, v64, v72, v57
	;;#ASMEND
	;; [unrolled: 13-line block ×4, first 2 shown]
	;;#ASMSTART
	v_dot2_f32_f16 v60, v65, v1, v60
	;;#ASMEND
	;;#ASMSTART
	v_dot2_f32_f16 v60, v66, v2, v60
	;;#ASMEND
	;; [unrolled: 3-line block ×16, first 2 shown]
	ds_read_b128 v[1:4], v24 offset:176
	ds_read_b128 v[61:64], v25 offset:48
	;; [unrolled: 1-line block ×6, first 2 shown]
	s_waitcnt lgkmcnt(4)
	;;#ASMSTART
	v_dot2_f32_f16 v59, v61, v1, v59
	;;#ASMEND
	;;#ASMSTART
	v_dot2_f32_f16 v59, v62, v2, v59
	;;#ASMEND
	;;#ASMSTART
	v_dot2_f32_f16 v59, v63, v3, v59
	;;#ASMEND
	;;#ASMSTART
	v_dot2_f32_f16 v59, v64, v4, v59
	;;#ASMEND
	s_waitcnt lgkmcnt(2)
	;;#ASMSTART
	v_dot2_f32_f16 v57, v61, v69, v57
	;;#ASMEND
	;;#ASMSTART
	v_dot2_f32_f16 v57, v62, v70, v57
	;;#ASMEND
	;;#ASMSTART
	v_dot2_f32_f16 v57, v63, v71, v57
	;;#ASMEND
	;;#ASMSTART
	v_dot2_f32_f16 v57, v64, v72, v57
	;;#ASMEND
	;; [unrolled: 13-line block ×4, first 2 shown]
	;;#ASMSTART
	v_dot2_f32_f16 v60, v65, v1, v60
	;;#ASMEND
	;;#ASMSTART
	v_dot2_f32_f16 v60, v66, v2, v60
	;;#ASMEND
	;; [unrolled: 3-line block ×16, first 2 shown]
	ds_read_b128 v[1:4], v24 offset:192
	ds_read_b128 v[61:64], v25 offset:64
	;; [unrolled: 1-line block ×6, first 2 shown]
	s_waitcnt lgkmcnt(4)
	;;#ASMSTART
	v_dot2_f32_f16 v59, v61, v1, v59
	;;#ASMEND
	;;#ASMSTART
	v_dot2_f32_f16 v59, v62, v2, v59
	;;#ASMEND
	;;#ASMSTART
	v_dot2_f32_f16 v59, v63, v3, v59
	;;#ASMEND
	;;#ASMSTART
	v_dot2_f32_f16 v59, v64, v4, v59
	;;#ASMEND
	s_waitcnt lgkmcnt(2)
	;;#ASMSTART
	v_dot2_f32_f16 v57, v61, v69, v57
	;;#ASMEND
	;;#ASMSTART
	v_dot2_f32_f16 v57, v62, v70, v57
	;;#ASMEND
	;;#ASMSTART
	v_dot2_f32_f16 v57, v63, v71, v57
	;;#ASMEND
	;;#ASMSTART
	v_dot2_f32_f16 v57, v64, v72, v57
	;;#ASMEND
	;; [unrolled: 13-line block ×4, first 2 shown]
	;;#ASMSTART
	v_dot2_f32_f16 v60, v65, v1, v60
	;;#ASMEND
	;;#ASMSTART
	v_dot2_f32_f16 v60, v66, v2, v60
	;;#ASMEND
	;; [unrolled: 3-line block ×16, first 2 shown]
	ds_read_b128 v[1:4], v24 offset:208
	ds_read_b128 v[61:64], v25 offset:80
	;; [unrolled: 1-line block ×6, first 2 shown]
	s_waitcnt lgkmcnt(4)
	;;#ASMSTART
	v_dot2_f32_f16 v59, v61, v1, v59
	;;#ASMEND
	;;#ASMSTART
	v_dot2_f32_f16 v59, v62, v2, v59
	;;#ASMEND
	;;#ASMSTART
	v_dot2_f32_f16 v59, v63, v3, v59
	;;#ASMEND
	;;#ASMSTART
	v_dot2_f32_f16 v59, v64, v4, v59
	;;#ASMEND
	s_waitcnt lgkmcnt(2)
	;;#ASMSTART
	v_dot2_f32_f16 v57, v61, v69, v57
	;;#ASMEND
	;;#ASMSTART
	v_dot2_f32_f16 v57, v62, v70, v57
	;;#ASMEND
	;;#ASMSTART
	v_dot2_f32_f16 v57, v63, v71, v57
	;;#ASMEND
	;;#ASMSTART
	v_dot2_f32_f16 v57, v64, v72, v57
	;;#ASMEND
	s_waitcnt lgkmcnt(1)
	;;#ASMSTART
	v_dot2_f32_f16 v55, v61, v73, v55
	;;#ASMEND
	;;#ASMSTART
	v_dot2_f32_f16 v55, v62, v74, v55
	;;#ASMEND
	;;#ASMSTART
	v_dot2_f32_f16 v55, v63, v75, v55
	;;#ASMEND
	;;#ASMSTART
	v_dot2_f32_f16 v55, v64, v76, v55
	;;#ASMEND
	s_waitcnt lgkmcnt(0)
	;;#ASMSTART
	v_dot2_f32_f16 v53, v61, v77, v53
	;;#ASMEND
	;;#ASMSTART
	v_dot2_f32_f16 v53, v62, v78, v53
	;;#ASMEND
	;;#ASMSTART
	v_dot2_f32_f16 v53, v63, v79, v53
	;;#ASMEND
	;;#ASMSTART
	v_dot2_f32_f16 v53, v64, v80, v53
	;;#ASMEND
	;;#ASMSTART
	v_dot2_f32_f16 v60, v65, v1, v60
	;;#ASMEND
	;;#ASMSTART
	v_dot2_f32_f16 v60, v66, v2, v60
	;;#ASMEND
	;;#ASMSTART
	v_dot2_f32_f16 v60, v67, v3, v60
	;;#ASMEND
	;;#ASMSTART
	v_dot2_f32_f16 v60, v68, v4, v60
	;;#ASMEND
	;;#ASMSTART
	v_dot2_f32_f16 v58, v65, v69, v58
	;;#ASMEND
	;;#ASMSTART
	v_dot2_f32_f16 v58, v66, v70, v58
	;;#ASMEND
	;;#ASMSTART
	v_dot2_f32_f16 v58, v67, v71, v58
	;;#ASMEND
	;;#ASMSTART
	v_dot2_f32_f16 v58, v68, v72, v58
	;;#ASMEND
	;;#ASMSTART
	v_dot2_f32_f16 v56, v65, v73, v56
	;;#ASMEND
	;;#ASMSTART
	v_dot2_f32_f16 v56, v66, v74, v56
	;;#ASMEND
	;;#ASMSTART
	v_dot2_f32_f16 v56, v67, v75, v56
	;;#ASMEND
	;;#ASMSTART
	v_dot2_f32_f16 v56, v68, v76, v56
	;;#ASMEND
	;;#ASMSTART
	v_dot2_f32_f16 v54, v65, v77, v54
	;;#ASMEND
	;;#ASMSTART
	v_dot2_f32_f16 v54, v66, v78, v54
	;;#ASMEND
	;;#ASMSTART
	v_dot2_f32_f16 v54, v67, v79, v54
	;;#ASMEND
	;;#ASMSTART
	v_dot2_f32_f16 v54, v68, v80, v54
	;;#ASMEND
	ds_read_b128 v[1:4], v24 offset:224
	ds_read_b128 v[61:64], v25 offset:96
	;; [unrolled: 1-line block ×6, first 2 shown]
	s_waitcnt lgkmcnt(4)
	;;#ASMSTART
	v_dot2_f32_f16 v59, v61, v1, v59
	;;#ASMEND
	;;#ASMSTART
	v_dot2_f32_f16 v59, v62, v2, v59
	;;#ASMEND
	;;#ASMSTART
	v_dot2_f32_f16 v59, v63, v3, v59
	;;#ASMEND
	;;#ASMSTART
	v_dot2_f32_f16 v59, v64, v4, v59
	;;#ASMEND
	s_waitcnt lgkmcnt(2)
	;;#ASMSTART
	v_dot2_f32_f16 v57, v61, v69, v57
	;;#ASMEND
	;;#ASMSTART
	v_dot2_f32_f16 v57, v62, v70, v57
	;;#ASMEND
	;;#ASMSTART
	v_dot2_f32_f16 v57, v63, v71, v57
	;;#ASMEND
	;;#ASMSTART
	v_dot2_f32_f16 v57, v64, v72, v57
	;;#ASMEND
	;; [unrolled: 13-line block ×4, first 2 shown]
	;;#ASMSTART
	v_dot2_f32_f16 v60, v65, v1, v60
	;;#ASMEND
	;;#ASMSTART
	v_dot2_f32_f16 v60, v66, v2, v60
	;;#ASMEND
	;; [unrolled: 3-line block ×16, first 2 shown]
	ds_read_b128 v[1:4], v24 offset:240
	ds_read_b128 v[61:64], v25 offset:112
	;; [unrolled: 1-line block ×6, first 2 shown]
	s_waitcnt lgkmcnt(4)
	;;#ASMSTART
	v_dot2_f32_f16 v59, v61, v1, v59
	;;#ASMEND
	;;#ASMSTART
	v_dot2_f32_f16 v59, v62, v2, v59
	;;#ASMEND
	;;#ASMSTART
	v_dot2_f32_f16 v59, v63, v3, v59
	;;#ASMEND
	;;#ASMSTART
	v_dot2_f32_f16 v59, v64, v4, v59
	;;#ASMEND
	s_waitcnt lgkmcnt(2)
	;;#ASMSTART
	v_dot2_f32_f16 v57, v61, v69, v57
	;;#ASMEND
	;;#ASMSTART
	v_dot2_f32_f16 v57, v62, v70, v57
	;;#ASMEND
	;;#ASMSTART
	v_dot2_f32_f16 v57, v63, v71, v57
	;;#ASMEND
	;;#ASMSTART
	v_dot2_f32_f16 v57, v64, v72, v57
	;;#ASMEND
	;; [unrolled: 13-line block ×4, first 2 shown]
	;;#ASMSTART
	v_dot2_f32_f16 v60, v65, v1, v60
	;;#ASMEND
	;;#ASMSTART
	v_dot2_f32_f16 v60, v66, v2, v60
	;;#ASMEND
	;; [unrolled: 3-line block ×15, first 2 shown]
	v_cmp_nlt_f32_e64 s[8:9], |v59|, s24
	;;#ASMSTART
	v_dot2_f32_f16 v54, v68, v80, v54
	;;#ASMEND
                                        ; implicit-def: $vgpr3
	s_and_saveexec_b64 s[36:37], s[8:9]
	s_xor_b64 s[8:9], exec, s[36:37]
	s_cbranch_execz .LBB81_14
; %bb.13:                               ;   in Loop: Header=BB81_12 Depth=1
	v_add_f32_e64 v1, |v59|, |v59|
	v_mul_f32_e32 v2, 0x3fb8aa3b, v1
	v_rndne_f32_e32 v3, v2
	v_sub_f32_e32 v4, v2, v3
	v_fma_f32 v2, v1, s25, -v2
	v_fmac_f32_e32 v2, 0x32a5705f, v1
	v_add_f32_e32 v2, v4, v2
	v_cvt_i32_f32_e32 v3, v3
	v_exp_f32_e32 v2, v2
	v_cmp_ngt_f32_e32 vcc, s26, v1
	v_ldexp_f32 v2, v2, v3
	v_cndmask_b32_e32 v2, 0, v2, vcc
	v_cmp_nlt_f32_e32 vcc, s27, v1
	v_cndmask_b32_e32 v1, v36, v2, vcc
	v_add_f32_e32 v1, 1.0, v1
	v_rcp_f32_e32 v1, v1
	v_fma_f32 v3, v1, -2.0, 1.0
.LBB81_14:                              ;   in Loop: Header=BB81_12 Depth=1
	s_andn2_saveexec_b64 s[8:9], s[8:9]
; %bb.15:                               ;   in Loop: Header=BB81_12 Depth=1
	v_mul_f32_e32 v1, v59, v59
	v_mov_b32_e32 v2, 0x3ca908c9
	v_fmac_f32_e32 v2, 0xbbbac73d, v1
	v_fma_f32 v2, v1, v2, v32
	v_fma_f32 v2, v1, v2, v33
	;; [unrolled: 1-line block ×3, first 2 shown]
	v_mul_f32_e64 v2, |v59|, v2
	v_fma_f32 v3, v1, v2, |v59|
; %bb.16:                               ;   in Loop: Header=BB81_12 Depth=1
	s_or_b64 exec, exec, s[8:9]
	v_add_u32_e32 v74, s6, v0
	v_add_u32_e32 v1, v74, v26
	v_ashrrev_i32_e32 v2, 31, v1
	v_lshlrev_b64 v[1:2], 1, v[1:2]
	v_mov_b32_e32 v4, s35
	v_add_co_u32_e32 v1, vcc, s34, v1
	v_addc_co_u32_e32 v2, vcc, v4, v2, vcc
	global_load_ushort v70, v[1:2], off
	v_cmp_nlt_f32_e64 s[8:9], |v60|, s24
                                        ; implicit-def: $vgpr61
	s_and_saveexec_b64 s[36:37], s[8:9]
	s_xor_b64 s[8:9], exec, s[36:37]
	s_cbranch_execz .LBB81_18
; %bb.17:                               ;   in Loop: Header=BB81_12 Depth=1
	v_add_f32_e64 v4, |v60|, |v60|
	v_mul_f32_e32 v61, 0x3fb8aa3b, v4
	v_rndne_f32_e32 v62, v61
	v_sub_f32_e32 v63, v61, v62
	v_fma_f32 v61, v4, s25, -v61
	v_fmac_f32_e32 v61, 0x32a5705f, v4
	v_add_f32_e32 v61, v63, v61
	v_cvt_i32_f32_e32 v62, v62
	v_exp_f32_e32 v61, v61
	v_cmp_ngt_f32_e32 vcc, s26, v4
	v_ldexp_f32 v61, v61, v62
	v_cndmask_b32_e32 v61, 0, v61, vcc
	v_cmp_nlt_f32_e32 vcc, s27, v4
	v_cndmask_b32_e32 v4, v36, v61, vcc
	v_add_f32_e32 v4, 1.0, v4
	v_rcp_f32_e32 v4, v4
	v_fma_f32 v61, v4, -2.0, 1.0
.LBB81_18:                              ;   in Loop: Header=BB81_12 Depth=1
	s_andn2_saveexec_b64 s[8:9], s[8:9]
; %bb.19:                               ;   in Loop: Header=BB81_12 Depth=1
	v_mul_f32_e32 v4, v60, v60
	v_mov_b32_e32 v61, 0x3ca908c9
	v_fmac_f32_e32 v61, 0xbbbac73d, v4
	v_fma_f32 v61, v4, v61, v32
	v_fma_f32 v61, v4, v61, v33
	;; [unrolled: 1-line block ×3, first 2 shown]
	v_mul_f32_e64 v61, |v60|, v61
	v_fma_f32 v61, v4, v61, |v60|
; %bb.20:                               ;   in Loop: Header=BB81_12 Depth=1
	s_or_b64 exec, exec, s[8:9]
	global_load_ushort v1, v[1:2], off offset:64
	v_bfi_b32 v2, s29, v3, v59
	v_and_b32_e32 v3, 0x60, v21
	v_add_u32_e32 v59, 32, v3
	v_xor_b32_e32 v62, 16, v21
	v_bfi_b32 v60, s29, v61, v60
	s_waitcnt vmcnt(1)
	v_fma_mix_f32 v4, s15, v2, v70 op_sel_hi:[0,0,1]
	v_cmp_lt_i32_e32 vcc, v62, v59
	v_add_f32_e32 v2, 0x40051340, v4
	v_cndmask_b32_e32 v3, v21, v62, vcc
	v_lshlrev_b32_e32 v3, 2, v3
	v_cmp_nlt_f32_e64 s[8:9], |v57|, s24
	s_waitcnt vmcnt(0)
	v_fma_mix_f32 v65, s15, v60, v1 op_sel_hi:[0,0,1]
	v_add_f32_e32 v60, 0x40051340, v65
	v_max3_f32 v2, v52, v2, v60
	ds_bpermute_b32 v61, v3, v2
	v_xor_b32_e32 v60, 8, v21
	v_cmp_lt_i32_e32 vcc, v60, v59
	v_cndmask_b32_e32 v63, v21, v60, vcc
	v_lshlrev_b32_e32 v68, 2, v63
	s_waitcnt lgkmcnt(0)
	v_max_f32_e32 v61, v61, v61
	v_max_f32_e32 v2, v2, v61
	ds_bpermute_b32 v63, v68, v2
	v_xor_b32_e32 v61, 4, v21
	v_cmp_lt_i32_e32 vcc, v61, v59
	v_cndmask_b32_e32 v64, v21, v61, vcc
	v_lshlrev_b32_e32 v69, 2, v64
	s_waitcnt lgkmcnt(0)
	v_max_f32_e32 v63, v63, v63
	v_max_f32_e32 v2, v2, v63
	;; [unrolled: 8-line block ×4, first 2 shown]
	ds_bpermute_b32 v72, v66, v71
                                        ; implicit-def: $vgpr2
	s_and_saveexec_b64 s[36:37], s[8:9]
	s_xor_b64 s[8:9], exec, s[36:37]
	s_cbranch_execz .LBB81_22
; %bb.21:                               ;   in Loop: Header=BB81_12 Depth=1
	v_add_f32_e64 v2, |v57|, |v57|
	v_mul_f32_e32 v73, 0x3fb8aa3b, v2
	v_rndne_f32_e32 v75, v73
	v_sub_f32_e32 v76, v73, v75
	v_fma_f32 v73, v2, s25, -v73
	v_fmac_f32_e32 v73, 0x32a5705f, v2
	v_add_f32_e32 v73, v76, v73
	v_cvt_i32_f32_e32 v75, v75
	v_exp_f32_e32 v73, v73
	v_cmp_ngt_f32_e32 vcc, s26, v2
	v_ldexp_f32 v73, v73, v75
	v_cndmask_b32_e32 v73, 0, v73, vcc
	v_cmp_nlt_f32_e32 vcc, s27, v2
	v_cndmask_b32_e32 v2, v36, v73, vcc
	v_add_f32_e32 v2, 1.0, v2
	v_rcp_f32_e32 v2, v2
	v_fma_f32 v2, v2, -2.0, 1.0
.LBB81_22:                              ;   in Loop: Header=BB81_12 Depth=1
	s_andn2_saveexec_b64 s[8:9], s[8:9]
; %bb.23:                               ;   in Loop: Header=BB81_12 Depth=1
	v_mul_f32_e32 v2, v57, v57
	v_mov_b32_e32 v73, 0x3ca908c9
	v_fmac_f32_e32 v73, 0xbbbac73d, v2
	v_fma_f32 v73, v2, v73, v32
	v_fma_f32 v73, v2, v73, v33
	;; [unrolled: 1-line block ×3, first 2 shown]
	v_mul_f32_e64 v73, |v57|, v73
	v_fma_f32 v2, v2, v73, |v57|
; %bb.24:                               ;   in Loop: Header=BB81_12 Depth=1
	s_or_b64 exec, exec, s[8:9]
	v_cmp_nlt_f32_e64 s[8:9], |v58|, s24
                                        ; implicit-def: $vgpr75
	s_and_saveexec_b64 s[36:37], s[8:9]
	s_xor_b64 s[8:9], exec, s[36:37]
	s_cbranch_execz .LBB81_26
; %bb.25:                               ;   in Loop: Header=BB81_12 Depth=1
	v_add_f32_e64 v73, |v58|, |v58|
	v_mul_f32_e32 v75, 0x3fb8aa3b, v73
	v_rndne_f32_e32 v76, v75
	v_sub_f32_e32 v77, v75, v76
	v_fma_f32 v75, v73, s25, -v75
	v_fmac_f32_e32 v75, 0x32a5705f, v73
	v_add_f32_e32 v75, v77, v75
	v_cvt_i32_f32_e32 v76, v76
	v_exp_f32_e32 v75, v75
	v_cmp_ngt_f32_e32 vcc, s26, v73
	v_ldexp_f32 v75, v75, v76
	v_cndmask_b32_e32 v75, 0, v75, vcc
	v_cmp_nlt_f32_e32 vcc, s27, v73
	v_cndmask_b32_e32 v73, v36, v75, vcc
	v_add_f32_e32 v73, 1.0, v73
	v_rcp_f32_e32 v73, v73
	v_fma_f32 v75, v73, -2.0, 1.0
.LBB81_26:                              ;   in Loop: Header=BB81_12 Depth=1
	s_andn2_saveexec_b64 s[8:9], s[8:9]
; %bb.27:                               ;   in Loop: Header=BB81_12 Depth=1
	v_mul_f32_e32 v73, v58, v58
	v_mov_b32_e32 v75, 0x3ca908c9
	v_fmac_f32_e32 v75, 0xbbbac73d, v73
	v_fma_f32 v75, v73, v75, v32
	v_fma_f32 v75, v73, v75, v33
	;; [unrolled: 1-line block ×3, first 2 shown]
	v_mul_f32_e64 v75, |v58|, v75
	v_fma_f32 v75, v73, v75, |v58|
; %bb.28:                               ;   in Loop: Header=BB81_12 Depth=1
	s_or_b64 exec, exec, s[8:9]
	v_cvt_f32_f16_e32 v73, v70
	v_cvt_f32_f16_e32 v70, v1
	v_bfi_b32 v1, s29, v2, v57
	v_bfi_b32 v2, s29, v75, v58
	v_fmac_f32_e32 v73, s15, v1
	v_fmac_f32_e32 v70, s15, v2
	v_add_f32_e32 v1, 0x40051340, v73
	v_add_f32_e32 v2, 0x40051340, v70
	v_max3_f32 v1, v50, v1, v2
	ds_bpermute_b32 v2, v3, v1
	v_cmp_nlt_f32_e64 s[8:9], |v55|, s24
                                        ; implicit-def: $vgpr58
	s_waitcnt lgkmcnt(0)
	v_max_f32_e32 v2, v2, v2
	v_max_f32_e32 v1, v1, v2
	ds_bpermute_b32 v2, v68, v1
	s_waitcnt lgkmcnt(0)
	v_max_f32_e32 v2, v2, v2
	v_max_f32_e32 v1, v1, v2
	ds_bpermute_b32 v2, v69, v1
	;; [unrolled: 4-line block ×4, first 2 shown]
	s_and_saveexec_b64 s[36:37], s[8:9]
	s_xor_b64 s[8:9], exec, s[36:37]
	s_cbranch_execz .LBB81_30
; %bb.29:                               ;   in Loop: Header=BB81_12 Depth=1
	v_add_f32_e64 v1, |v55|, |v55|
	v_mul_f32_e32 v2, 0x3fb8aa3b, v1
	v_rndne_f32_e32 v57, v2
	v_sub_f32_e32 v58, v2, v57
	v_fma_f32 v2, v1, s25, -v2
	v_fmac_f32_e32 v2, 0x32a5705f, v1
	v_add_f32_e32 v2, v58, v2
	v_cvt_i32_f32_e32 v57, v57
	v_exp_f32_e32 v2, v2
	v_cmp_ngt_f32_e32 vcc, s26, v1
	v_ldexp_f32 v2, v2, v57
	v_cndmask_b32_e32 v2, 0, v2, vcc
	v_cmp_nlt_f32_e32 vcc, s27, v1
	v_cndmask_b32_e32 v1, v36, v2, vcc
	v_add_f32_e32 v1, 1.0, v1
	v_rcp_f32_e32 v1, v1
	v_fma_f32 v58, v1, -2.0, 1.0
.LBB81_30:                              ;   in Loop: Header=BB81_12 Depth=1
	s_andn2_saveexec_b64 s[8:9], s[8:9]
; %bb.31:                               ;   in Loop: Header=BB81_12 Depth=1
	v_mul_f32_e32 v1, v55, v55
	v_mov_b32_e32 v2, 0x3ca908c9
	v_fmac_f32_e32 v2, 0xbbbac73d, v1
	v_fma_f32 v2, v1, v2, v32
	v_fma_f32 v2, v1, v2, v33
	;; [unrolled: 1-line block ×3, first 2 shown]
	v_mul_f32_e64 v2, |v55|, v2
	v_fma_f32 v58, v1, v2, |v55|
; %bb.32:                               ;   in Loop: Header=BB81_12 Depth=1
	s_or_b64 exec, exec, s[8:9]
	v_add_u32_e32 v1, v74, v27
	v_ashrrev_i32_e32 v2, 31, v1
	v_lshlrev_b64 v[1:2], 1, v[1:2]
	v_mov_b32_e32 v57, s35
	v_add_co_u32_e32 v1, vcc, s34, v1
	v_addc_co_u32_e32 v2, vcc, v57, v2, vcc
	global_load_ushort v57, v[1:2], off
	v_cmp_nlt_f32_e64 s[8:9], |v56|, s24
                                        ; implicit-def: $vgpr77
	s_and_saveexec_b64 s[36:37], s[8:9]
	s_xor_b64 s[8:9], exec, s[36:37]
	s_cbranch_execz .LBB81_34
; %bb.33:                               ;   in Loop: Header=BB81_12 Depth=1
	v_add_f32_e64 v74, |v56|, |v56|
	v_mul_f32_e32 v77, 0x3fb8aa3b, v74
	v_rndne_f32_e32 v78, v77
	v_sub_f32_e32 v79, v77, v78
	v_fma_f32 v77, v74, s25, -v77
	v_fmac_f32_e32 v77, 0x32a5705f, v74
	v_add_f32_e32 v77, v79, v77
	v_cvt_i32_f32_e32 v78, v78
	v_exp_f32_e32 v77, v77
	v_cmp_ngt_f32_e32 vcc, s26, v74
	v_ldexp_f32 v77, v77, v78
	v_cndmask_b32_e32 v77, 0, v77, vcc
	v_cmp_nlt_f32_e32 vcc, s27, v74
	v_cndmask_b32_e32 v74, v36, v77, vcc
	v_add_f32_e32 v74, 1.0, v74
	v_rcp_f32_e32 v74, v74
	v_fma_f32 v77, v74, -2.0, 1.0
.LBB81_34:                              ;   in Loop: Header=BB81_12 Depth=1
	s_andn2_saveexec_b64 s[8:9], s[8:9]
; %bb.35:                               ;   in Loop: Header=BB81_12 Depth=1
	v_mul_f32_e32 v74, v56, v56
	v_mov_b32_e32 v77, 0x3ca908c9
	v_fmac_f32_e32 v77, 0xbbbac73d, v74
	v_fma_f32 v77, v74, v77, v32
	v_fma_f32 v77, v74, v77, v33
	;; [unrolled: 1-line block ×3, first 2 shown]
	v_mul_f32_e64 v77, |v56|, v77
	v_fma_f32 v77, v74, v77, |v56|
; %bb.36:                               ;   in Loop: Header=BB81_12 Depth=1
	s_or_b64 exec, exec, s[8:9]
	global_load_ushort v74, v[1:2], off offset:64
	v_bfi_b32 v1, s29, v58, v55
	v_bfi_b32 v2, s29, v77, v56
	s_waitcnt vmcnt(1)
	v_fma_mix_f32 v58, s15, v1, v57 op_sel_hi:[0,0,1]
	v_add_f32_e32 v1, 0x40051340, v58
	v_cmp_nlt_f32_e64 s[8:9], |v53|, s24
                                        ; implicit-def: $vgpr77
	s_waitcnt vmcnt(0)
	v_fma_mix_f32 v55, s15, v2, v74 op_sel_hi:[0,0,1]
	v_add_f32_e32 v2, 0x40051340, v55
	v_max3_f32 v1, v48, v1, v2
	ds_bpermute_b32 v2, v3, v1
	s_waitcnt lgkmcnt(0)
	v_max_f32_e32 v2, v2, v2
	v_max_f32_e32 v1, v1, v2
	ds_bpermute_b32 v2, v68, v1
	s_waitcnt lgkmcnt(0)
	v_max_f32_e32 v2, v2, v2
	v_max_f32_e32 v1, v1, v2
	;; [unrolled: 4-line block ×4, first 2 shown]
	ds_bpermute_b32 v2, v66, v1
	s_and_saveexec_b64 s[36:37], s[8:9]
	s_xor_b64 s[8:9], exec, s[36:37]
	s_cbranch_execz .LBB81_38
; %bb.37:                               ;   in Loop: Header=BB81_12 Depth=1
	v_add_f32_e64 v56, |v53|, |v53|
	v_mul_f32_e32 v77, 0x3fb8aa3b, v56
	v_rndne_f32_e32 v78, v77
	v_sub_f32_e32 v79, v77, v78
	v_fma_f32 v77, v56, s25, -v77
	v_fmac_f32_e32 v77, 0x32a5705f, v56
	v_add_f32_e32 v77, v79, v77
	v_cvt_i32_f32_e32 v78, v78
	v_exp_f32_e32 v77, v77
	v_cmp_ngt_f32_e32 vcc, s26, v56
	v_ldexp_f32 v77, v77, v78
	v_cndmask_b32_e32 v77, 0, v77, vcc
	v_cmp_nlt_f32_e32 vcc, s27, v56
	v_cndmask_b32_e32 v56, v36, v77, vcc
	v_add_f32_e32 v56, 1.0, v56
	v_rcp_f32_e32 v56, v56
	v_fma_f32 v77, v56, -2.0, 1.0
.LBB81_38:                              ;   in Loop: Header=BB81_12 Depth=1
	s_andn2_saveexec_b64 s[8:9], s[8:9]
; %bb.39:                               ;   in Loop: Header=BB81_12 Depth=1
	v_mul_f32_e32 v56, v53, v53
	v_mov_b32_e32 v77, 0x3ca908c9
	v_fmac_f32_e32 v77, 0xbbbac73d, v56
	v_fma_f32 v77, v56, v77, v32
	v_fma_f32 v77, v56, v77, v33
	v_fma_f32 v77, v56, v77, v34
	v_mul_f32_e64 v77, |v53|, v77
	v_fma_f32 v77, v56, v77, |v53|
; %bb.40:                               ;   in Loop: Header=BB81_12 Depth=1
	s_or_b64 exec, exec, s[8:9]
	v_cmp_nlt_f32_e64 s[8:9], |v54|, s24
                                        ; implicit-def: $vgpr78
	s_and_saveexec_b64 s[36:37], s[8:9]
	s_xor_b64 s[8:9], exec, s[36:37]
	s_cbranch_execz .LBB81_42
; %bb.41:                               ;   in Loop: Header=BB81_12 Depth=1
	v_add_f32_e64 v56, |v54|, |v54|
	v_mul_f32_e32 v78, 0x3fb8aa3b, v56
	v_rndne_f32_e32 v79, v78
	v_sub_f32_e32 v80, v78, v79
	v_fma_f32 v78, v56, s25, -v78
	v_fmac_f32_e32 v78, 0x32a5705f, v56
	v_add_f32_e32 v78, v80, v78
	v_cvt_i32_f32_e32 v79, v79
	v_exp_f32_e32 v78, v78
	v_cmp_ngt_f32_e32 vcc, s26, v56
	v_ldexp_f32 v78, v78, v79
	v_cndmask_b32_e32 v78, 0, v78, vcc
	v_cmp_nlt_f32_e32 vcc, s27, v56
	v_cndmask_b32_e32 v56, v36, v78, vcc
	v_add_f32_e32 v56, 1.0, v56
	v_rcp_f32_e32 v56, v56
	v_fma_f32 v78, v56, -2.0, 1.0
.LBB81_42:                              ;   in Loop: Header=BB81_12 Depth=1
	s_andn2_saveexec_b64 s[8:9], s[8:9]
; %bb.43:                               ;   in Loop: Header=BB81_12 Depth=1
	v_mul_f32_e32 v56, v54, v54
	v_mov_b32_e32 v78, 0x3ca908c9
	v_fmac_f32_e32 v78, 0xbbbac73d, v56
	v_fma_f32 v78, v56, v78, v32
	v_fma_f32 v78, v56, v78, v33
	;; [unrolled: 1-line block ×3, first 2 shown]
	v_mul_f32_e64 v78, |v54|, v78
	v_fma_f32 v78, v56, v78, |v54|
; %bb.44:                               ;   in Loop: Header=BB81_12 Depth=1
	s_or_b64 exec, exec, s[8:9]
	v_cvt_f32_f16_e32 v57, v57
	v_cvt_f32_f16_e32 v56, v74
	v_bfi_b32 v53, s29, v77, v53
	v_bfi_b32 v54, s29, v78, v54
	v_fmac_f32_e32 v57, s15, v53
	v_fmac_f32_e32 v56, s15, v54
	v_add_f32_e32 v53, 0x40051340, v57
	v_add_f32_e32 v54, 0x40051340, v56
	v_max3_f32 v53, v46, v53, v54
	ds_bpermute_b32 v3, v3, v53
	s_waitcnt lgkmcnt(1)
	v_max_f32_e32 v2, v2, v2
	v_max_f32_e32 v1, v1, v1
	;; [unrolled: 1-line block ×4, first 2 shown]
	s_waitcnt lgkmcnt(0)
	v_max_f32_e32 v3, v3, v3
	v_max_f32_e32 v3, v53, v3
	ds_bpermute_b32 v53, v68, v3
	v_max_f32_e32 v68, v75, v75
	v_max_f32_e32 v71, v71, v71
	s_mul_hi_i32 s9, s6, s18
	s_mul_i32 s8, s6, s18
	s_waitcnt lgkmcnt(0)
	v_max_f32_e32 v53, v53, v53
	v_max_f32_e32 v53, v3, v53
	ds_bpermute_b32 v69, v69, v53
	v_max_f32_e32 v3, v1, v2
	v_max_f32_e32 v2, v68, v54
	;; [unrolled: 1-line block ×3, first 2 shown]
	v_sub_f32_e32 v50, v50, v2
	s_waitcnt lgkmcnt(0)
	v_max_f32_e32 v54, v69, v69
	v_max_f32_e32 v53, v53, v54
	ds_bpermute_b32 v54, v67, v53
	v_sub_f32_e32 v67, v4, v1
	v_mul_f32_e32 v4, 0x3fb8aa3b, v67
	v_fma_f32 v68, v67, s25, -v4
	v_rndne_f32_e32 v69, v4
	s_waitcnt lgkmcnt(0)
	v_max_f32_e32 v54, v54, v54
	v_max_f32_e32 v53, v53, v54
	ds_bpermute_b32 v54, v66, v53
	v_fmac_f32_e32 v68, 0x32a5705f, v67
	v_sub_f32_e32 v4, v4, v69
	v_add_f32_e32 v4, v4, v68
	v_exp_f32_e32 v66, v4
	s_waitcnt lgkmcnt(0)
	v_max_f32_e32 v4, v54, v54
	v_max_f32_e32 v4, v53, v4
	v_cvt_i32_f32_e32 v53, v69
	v_sub_f32_e32 v54, v52, v1
	v_cmp_ngt_f32_e32 vcc, s26, v67
	v_sub_f32_e32 v55, v55, v3
	v_ldexp_f32 v52, v66, v53
	v_sub_f32_e32 v53, v65, v1
	v_mul_f32_e32 v65, 0x3fb8aa3b, v53
	v_fma_f32 v66, v53, s25, -v65
	v_rndne_f32_e32 v68, v65
	v_fmac_f32_e32 v66, 0x32a5705f, v53
	v_sub_f32_e32 v65, v65, v68
	v_add_f32_e32 v65, v65, v66
	v_exp_f32_e32 v65, v65
	v_cvt_i32_f32_e32 v66, v68
	v_cndmask_b32_e32 v52, 0, v52, vcc
	v_cmp_nlt_f32_e32 vcc, s27, v67
	v_cndmask_b32_e32 v67, v36, v52, vcc
	v_ldexp_f32 v65, v65, v66
	v_mul_f32_e32 v66, 0x3fb8aa3b, v54
	v_fma_f32 v68, v54, s25, -v66
	v_rndne_f32_e32 v69, v66
	v_fmac_f32_e32 v68, 0x32a5705f, v54
	v_sub_f32_e32 v66, v66, v69
	v_add_f32_e32 v66, v66, v68
	v_exp_f32_e32 v66, v66
	v_cvt_i32_f32_e32 v68, v69
	v_cmp_ngt_f32_e32 vcc, s26, v53
	v_cndmask_b32_e32 v65, 0, v65, vcc
	v_cmp_nlt_f32_e32 vcc, s27, v53
	v_cndmask_b32_e32 v65, v36, v65, vcc
	v_ldexp_f32 v66, v66, v68
	v_cmp_ngt_f32_e32 vcc, s26, v54
	v_cndmask_b32_e32 v66, 0, v66, vcc
	v_cmp_nlt_f32_e32 vcc, s27, v54
	v_add_f32_e32 v53, v67, v65
	v_cndmask_b32_e32 v54, v36, v66, vcc
	v_fmac_f32_e32 v53, v51, v54
	v_cvt_f16_f32_e32 v51, v54
	v_sub_f32_e32 v54, v73, v2
	v_mul_f32_e32 v66, 0x3fb8aa3b, v54
	v_cvt_f16_f32_e32 v52, v67
	v_fma_f32 v67, v54, s25, -v66
	v_rndne_f32_e32 v68, v66
	v_fmac_f32_e32 v67, 0x32a5705f, v54
	v_sub_f32_e32 v66, v66, v68
	v_add_f32_e32 v66, v66, v67
	v_exp_f32_e32 v66, v66
	v_cvt_i32_f32_e32 v67, v68
	v_cmp_ngt_f32_e32 vcc, s26, v54
	v_sub_f32_e32 v76, v48, v3
	s_lshl_b64 s[8:9], s[8:9], 2
	v_ldexp_f32 v66, v66, v67
	v_sub_f32_e32 v67, v70, v2
	v_mul_f32_e32 v68, 0x3fb8aa3b, v67
	v_fma_f32 v69, v67, s25, -v68
	v_rndne_f32_e32 v70, v68
	v_fmac_f32_e32 v69, 0x32a5705f, v67
	v_sub_f32_e32 v68, v68, v70
	v_add_f32_e32 v68, v68, v69
	v_exp_f32_e32 v68, v68
	v_cvt_i32_f32_e32 v69, v70
	v_cndmask_b32_e32 v66, 0, v66, vcc
	v_cmp_nlt_f32_e32 vcc, s27, v54
	v_cndmask_b32_e32 v54, v36, v66, vcc
	v_ldexp_f32 v66, v68, v69
	v_mul_f32_e32 v68, 0x3fb8aa3b, v50
	v_fma_f32 v69, v50, s25, -v68
	v_rndne_f32_e32 v70, v68
	v_fmac_f32_e32 v69, 0x32a5705f, v50
	v_sub_f32_e32 v68, v68, v70
	v_add_f32_e32 v68, v68, v69
	v_exp_f32_e32 v68, v68
	v_cvt_i32_f32_e32 v69, v70
	v_cmp_ngt_f32_e32 vcc, s26, v67
	v_cndmask_b32_e32 v66, 0, v66, vcc
	v_cmp_nlt_f32_e32 vcc, s27, v67
	v_cndmask_b32_e32 v66, v36, v66, vcc
	v_cvt_f16_f32_e32 v74, v54
	v_add_f32_e32 v54, v54, v66
	v_cvt_f16_f32_e32 v75, v66
	v_ldexp_f32 v66, v68, v69
	v_cmp_ngt_f32_e32 vcc, s26, v50
	v_cndmask_b32_e32 v66, 0, v66, vcc
	v_cmp_nlt_f32_e32 vcc, s27, v50
	v_cndmask_b32_e32 v50, v36, v66, vcc
	v_fmac_f32_e32 v54, v49, v50
	v_cvt_f16_f32_e32 v49, v50
	v_sub_f32_e32 v50, v58, v3
	v_mul_f32_e32 v58, 0x3fb8aa3b, v50
	v_fma_f32 v66, v50, s25, -v58
	v_rndne_f32_e32 v67, v58
	v_fmac_f32_e32 v66, 0x32a5705f, v50
	v_sub_f32_e32 v58, v58, v67
	v_add_f32_e32 v58, v58, v66
	v_exp_f32_e32 v58, v58
	v_cvt_i32_f32_e32 v66, v67
	v_mul_u32_u24_e32 v81, 0x10001, v49
	v_mul_f32_e32 v49, 0x3fb8aa3b, v55
	v_cmp_ngt_f32_e32 vcc, s26, v50
	v_ldexp_f32 v48, v58, v66
	v_fma_f32 v58, v55, s25, -v49
	v_rndne_f32_e32 v66, v49
	v_fmac_f32_e32 v58, 0x32a5705f, v55
	v_sub_f32_e32 v49, v49, v66
	v_add_f32_e32 v49, v49, v58
	v_exp_f32_e32 v49, v49
	v_cvt_i32_f32_e32 v58, v66
	s_add_u32 s8, s12, s8
	v_cndmask_b32_e32 v48, 0, v48, vcc
	v_cmp_nlt_f32_e32 vcc, s27, v50
	s_addc_u32 s9, s13, s9
	v_cndmask_b32_e32 v50, v36, v48, vcc
	v_ldexp_f32 v58, v49, v58
	v_mov_b32_e32 v48, s9
	v_add_co_u32_e32 v49, vcc, s8, v9
	v_addc_co_u32_e32 v66, vcc, v48, v10, vcc
	v_add_co_u32_e32 v48, vcc, v49, v35
	v_addc_co_u32_e32 v49, vcc, 0, v66, vcc
	v_mov_b32_e32 v66, s9
	v_add_co_u32_e32 v67, vcc, s8, v11
	v_addc_co_u32_e32 v66, vcc, v66, v12, vcc
	v_add_co_u32_e32 v70, vcc, v67, v35
	v_addc_co_u32_e32 v71, vcc, 0, v66, vcc
	s_barrier
	global_load_dwordx4 v[66:69], v[48:49], off
	s_nop 0
	global_load_dwordx4 v[70:73], v[70:71], off
	v_cmp_ngt_f32_e32 vcc, s26, v55
	v_mul_f32_e32 v49, 0x3fb8aa3b, v76
	v_cndmask_b32_e32 v48, 0, v58, vcc
	v_fma_f32 v58, v76, s25, -v49
	v_rndne_f32_e32 v78, v49
	v_fmac_f32_e32 v58, 0x32a5705f, v76
	v_sub_f32_e32 v49, v49, v78
	v_add_f32_e32 v49, v49, v58
	v_exp_f32_e32 v49, v49
	v_cvt_i32_f32_e32 v58, v78
	v_cmp_nlt_f32_e32 vcc, s27, v55
	v_cndmask_b32_e32 v48, v36, v48, vcc
	v_cmp_ngt_f32_e32 vcc, s26, v76
	v_ldexp_f32 v49, v49, v58
	v_cndmask_b32_e32 v49, 0, v49, vcc
	v_cmp_nlt_f32_e32 vcc, s27, v76
	v_add_f32_e32 v55, v50, v48
	v_cndmask_b32_e32 v49, v36, v49, vcc
	v_fmac_f32_e32 v55, v47, v49
	v_cvt_f16_f32_e32 v47, v49
	v_sub_f32_e32 v49, v57, v4
	v_cvt_f16_f32_e32 v77, v50
	v_mul_f32_e32 v50, 0x3fb8aa3b, v49
	v_fma_f32 v57, v49, s25, -v50
	v_rndne_f32_e32 v58, v50
	v_fmac_f32_e32 v57, 0x32a5705f, v49
	v_sub_f32_e32 v50, v50, v58
	v_add_f32_e32 v50, v50, v57
	v_exp_f32_e32 v50, v50
	v_cvt_i32_f32_e32 v57, v58
	v_mul_u32_u24_e32 v58, 0x10001, v47
	v_sub_f32_e32 v46, v46, v4
	v_cmp_ngt_f32_e32 vcc, s26, v49
	v_ldexp_f32 v47, v50, v57
	v_sub_f32_e32 v50, v56, v4
	v_mul_f32_e32 v56, 0x3fb8aa3b, v50
	v_fma_f32 v57, v50, s25, -v56
	v_rndne_f32_e32 v76, v56
	v_fmac_f32_e32 v57, 0x32a5705f, v50
	v_sub_f32_e32 v56, v56, v76
	v_add_f32_e32 v56, v56, v57
	v_exp_f32_e32 v56, v56
	v_cvt_i32_f32_e32 v57, v76
	v_cndmask_b32_e32 v47, 0, v47, vcc
	v_cmp_nlt_f32_e32 vcc, s27, v49
	v_cndmask_b32_e32 v47, v36, v47, vcc
	v_ldexp_f32 v56, v56, v57
	v_mul_f32_e32 v57, 0x3fb8aa3b, v46
	v_fma_f32 v76, v46, s25, -v57
	v_rndne_f32_e32 v78, v57
	v_fmac_f32_e32 v76, 0x32a5705f, v46
	v_sub_f32_e32 v57, v57, v78
	v_add_f32_e32 v57, v57, v76
	v_exp_f32_e32 v57, v57
	v_cvt_i32_f32_e32 v76, v78
	v_cmp_ngt_f32_e32 vcc, s26, v50
	v_cndmask_b32_e32 v56, 0, v56, vcc
	v_cmp_nlt_f32_e32 vcc, s27, v50
	v_cndmask_b32_e32 v50, v36, v56, vcc
	v_ldexp_f32 v56, v57, v76
	v_cmp_ngt_f32_e32 vcc, s26, v46
	v_cndmask_b32_e32 v56, 0, v56, vcc
	v_cmp_nlt_f32_e32 vcc, s27, v46
	v_cndmask_b32_e32 v46, v36, v56, vcc
	v_cvt_f16_f32_e32 v57, v46
	v_cvt_f16_f32_e32 v65, v65
	v_cvt_f16_f32_e32 v48, v48
	v_cvt_f16_f32_e32 v49, v47
	v_add_f32_e32 v56, v47, v50
	v_cvt_f16_f32_e32 v47, v50
	v_fmac_f32_e32 v56, v45, v46
	v_mul_u32_u24_e32 v45, 0x10001, v57
	v_pk_mul_f16 v50, v38, v45
	v_pk_mul_f16 v57, v37, v45
	v_add_u32_e32 v76, v28, v20
	v_pack_b32_f16 v38, v77, v49
	v_pack_b32_f16 v37, v52, v74
	;; [unrolled: 1-line block ×4, first 2 shown]
	ds_write2_b64 v76, v[37:38], v[45:46] offset1:32
	s_waitcnt vmcnt(1)
	ds_write_b128 v29, v[66:69]
	s_waitcnt vmcnt(0)
	ds_write_b128 v30, v[70:73]
	s_waitcnt lgkmcnt(0)
	s_barrier
	ds_read_b128 v[45:48], v28
	ds_read2_b64 v[65:68], v20 offset1:32
	ds_read_b128 v[69:72], v28 offset:16
	ds_read_b128 v[73:76], v28 offset:32
	;; [unrolled: 1-line block ×3, first 2 shown]
	s_waitcnt lgkmcnt(4)
	v_mul_u32_u24_sdwa v37, v45, s31 dst_sel:DWORD dst_unused:UNUSED_PAD src0_sel:WORD_0 src1_sel:DWORD
	v_mul_u32_u24_e32 v51, 0x10001, v51
	v_mul_u32_u24_sdwa v38, v45, s31 dst_sel:DWORD dst_unused:UNUSED_PAD src0_sel:WORD_1 src1_sel:DWORD
	s_waitcnt lgkmcnt(3)
	v_pk_mul_f16 v49, v65, v37
	v_mul_u32_u24_sdwa v45, v46, s31 dst_sel:DWORD dst_unused:UNUSED_PAD src0_sel:WORD_0 src1_sel:DWORD
	v_pk_fma_f16 v42, v42, v51, v49
	v_pk_mul_f16 v49, v65, v38
	v_pk_mul_f16 v44, v44, v51
	;; [unrolled: 1-line block ×4, first 2 shown]
	v_mul_u32_u24_sdwa v46, v46, s31 dst_sel:DWORD dst_unused:UNUSED_PAD src0_sel:WORD_1 src1_sel:DWORD
	v_pk_fma_f16 v41, v41, v81, v49
	v_pk_mul_f16 v49, v65, v45
	v_pk_fma_f16 v39, v39, v58, v49
	v_pk_fma_f16 v49, v65, v46, v50
	;; [unrolled: 1-line block ×6, first 2 shown]
	v_mul_u32_u24_sdwa v44, v47, s31 dst_sel:DWORD dst_unused:UNUSED_PAD src0_sel:WORD_0 src1_sel:DWORD
	v_mul_u32_u24_sdwa v45, v47, s31 dst_sel:DWORD dst_unused:UNUSED_PAD src0_sel:WORD_1 src1_sel:DWORD
	v_mul_u32_u24_sdwa v46, v48, s31 dst_sel:DWORD dst_unused:UNUSED_PAD src0_sel:WORD_0 src1_sel:DWORD
	v_mul_u32_u24_sdwa v47, v48, s31 dst_sel:DWORD dst_unused:UNUSED_PAD src0_sel:WORD_1 src1_sel:DWORD
	v_pk_fma_f16 v42, v67, v44, v42
	v_pk_fma_f16 v41, v67, v45, v41
	v_pk_fma_f16 v48, v67, v46, v39
	v_pk_fma_f16 v44, v68, v44, v37
	v_pk_fma_f16 v45, v68, v45, v38
	v_pk_fma_f16 v46, v68, v46, v40
	ds_read2_b64 v[37:40], v20 offset0:64 offset1:96
	v_pk_fma_f16 v49, v67, v47, v49
	v_pk_fma_f16 v43, v68, v47, v43
	s_waitcnt lgkmcnt(3)
	v_mul_u32_u24_sdwa v47, v69, s31 dst_sel:DWORD dst_unused:UNUSED_PAD src0_sel:WORD_0 src1_sel:DWORD
	v_mul_u32_u24_sdwa v50, v69, s31 dst_sel:DWORD dst_unused:UNUSED_PAD src0_sel:WORD_1 src1_sel:DWORD
	v_mul_u32_u24_sdwa v51, v70, s31 dst_sel:DWORD dst_unused:UNUSED_PAD src0_sel:WORD_0 src1_sel:DWORD
	v_mul_u32_u24_sdwa v52, v70, s31 dst_sel:DWORD dst_unused:UNUSED_PAD src0_sel:WORD_1 src1_sel:DWORD
	s_waitcnt lgkmcnt(0)
	v_pk_fma_f16 v42, v37, v47, v42
	v_pk_fma_f16 v41, v37, v50, v41
	;; [unrolled: 1-line block ×8, first 2 shown]
	v_mul_u32_u24_sdwa v43, v71, s31 dst_sel:DWORD dst_unused:UNUSED_PAD src0_sel:WORD_0 src1_sel:DWORD
	v_mul_u32_u24_sdwa v47, v71, s31 dst_sel:DWORD dst_unused:UNUSED_PAD src0_sel:WORD_1 src1_sel:DWORD
	v_mul_u32_u24_sdwa v49, v72, s31 dst_sel:DWORD dst_unused:UNUSED_PAD src0_sel:WORD_0 src1_sel:DWORD
	v_mul_u32_u24_sdwa v50, v72, s31 dst_sel:DWORD dst_unused:UNUSED_PAD src0_sel:WORD_1 src1_sel:DWORD
	v_pk_fma_f16 v42, v39, v43, v42
	v_pk_fma_f16 v41, v39, v47, v41
	;; [unrolled: 1-line block ×8, first 2 shown]
	ds_read2_b64 v[37:40], v20 offset0:128 offset1:160
	v_mul_u32_u24_sdwa v47, v73, s31 dst_sel:DWORD dst_unused:UNUSED_PAD src0_sel:WORD_0 src1_sel:DWORD
	v_mul_u32_u24_sdwa v49, v73, s31 dst_sel:DWORD dst_unused:UNUSED_PAD src0_sel:WORD_1 src1_sel:DWORD
	v_mul_u32_u24_sdwa v50, v74, s31 dst_sel:DWORD dst_unused:UNUSED_PAD src0_sel:WORD_0 src1_sel:DWORD
	v_mul_u32_u24_sdwa v52, v74, s31 dst_sel:DWORD dst_unused:UNUSED_PAD src0_sel:WORD_1 src1_sel:DWORD
	s_waitcnt lgkmcnt(0)
	v_pk_fma_f16 v42, v37, v47, v42
	v_pk_fma_f16 v41, v37, v49, v41
	;; [unrolled: 1-line block ×8, first 2 shown]
	v_mul_u32_u24_sdwa v46, v75, s31 dst_sel:DWORD dst_unused:UNUSED_PAD src0_sel:WORD_0 src1_sel:DWORD
	v_mul_u32_u24_sdwa v47, v75, s31 dst_sel:DWORD dst_unused:UNUSED_PAD src0_sel:WORD_1 src1_sel:DWORD
	v_mul_u32_u24_sdwa v49, v76, s31 dst_sel:DWORD dst_unused:UNUSED_PAD src0_sel:WORD_0 src1_sel:DWORD
	v_mul_u32_u24_sdwa v50, v76, s31 dst_sel:DWORD dst_unused:UNUSED_PAD src0_sel:WORD_1 src1_sel:DWORD
	v_pk_fma_f16 v42, v39, v46, v42
	v_pk_fma_f16 v41, v39, v47, v41
	;; [unrolled: 1-line block ×8, first 2 shown]
	ds_read2_b64 v[37:40], v20 offset0:192 offset1:224
	v_mul_u32_u24_sdwa v47, v77, s31 dst_sel:DWORD dst_unused:UNUSED_PAD src0_sel:WORD_0 src1_sel:DWORD
	v_mul_u32_u24_sdwa v49, v77, s31 dst_sel:DWORD dst_unused:UNUSED_PAD src0_sel:WORD_1 src1_sel:DWORD
	v_mul_u32_u24_sdwa v50, v78, s31 dst_sel:DWORD dst_unused:UNUSED_PAD src0_sel:WORD_0 src1_sel:DWORD
	v_mul_u32_u24_sdwa v52, v78, s31 dst_sel:DWORD dst_unused:UNUSED_PAD src0_sel:WORD_1 src1_sel:DWORD
	s_waitcnt lgkmcnt(0)
	v_pk_fma_f16 v42, v37, v47, v42
	v_pk_fma_f16 v41, v37, v49, v41
	;; [unrolled: 1-line block ×6, first 2 shown]
	v_mul_u32_u24_sdwa v46, v79, s31 dst_sel:DWORD dst_unused:UNUSED_PAD src0_sel:WORD_0 src1_sel:DWORD
	v_mul_u32_u24_sdwa v47, v79, s31 dst_sel:DWORD dst_unused:UNUSED_PAD src0_sel:WORD_1 src1_sel:DWORD
	v_pk_fma_f16 v48, v37, v50, v48
	v_pk_fma_f16 v37, v37, v52, v51
	v_mul_u32_u24_sdwa v49, v80, s31 dst_sel:DWORD dst_unused:UNUSED_PAD src0_sel:WORD_0 src1_sel:DWORD
	v_mul_u32_u24_sdwa v50, v80, s31 dst_sel:DWORD dst_unused:UNUSED_PAD src0_sel:WORD_1 src1_sel:DWORD
	v_pk_fma_f16 v57, v39, v46, v42
	v_pk_fma_f16 v58, v39, v47, v41
	;; [unrolled: 1-line block ×4, first 2 shown]
	ds_read_b128 v[41:44], v28 offset:64
	v_pk_fma_f16 v65, v39, v49, v48
	v_pk_fma_f16 v39, v39, v50, v37
	v_add_u32_e32 v37, 0x800, v20
	v_pk_fma_f16 v68, v40, v49, v45
	v_pk_fma_f16 v38, v40, v50, v38
	ds_read2_b64 v[45:48], v37 offset1:32
	ds_read_b128 v[49:52], v28 offset:80
	s_waitcnt lgkmcnt(2)
	v_mul_u32_u24_sdwa v40, v41, s31 dst_sel:DWORD dst_unused:UNUSED_PAD src0_sel:WORD_0 src1_sel:DWORD
	v_mul_u32_u24_sdwa v41, v41, s31 dst_sel:DWORD dst_unused:UNUSED_PAD src0_sel:WORD_1 src1_sel:DWORD
	v_mul_u32_u24_sdwa v69, v42, s31 dst_sel:DWORD dst_unused:UNUSED_PAD src0_sel:WORD_0 src1_sel:DWORD
	v_mul_u32_u24_sdwa v42, v42, s31 dst_sel:DWORD dst_unused:UNUSED_PAD src0_sel:WORD_1 src1_sel:DWORD
	s_waitcnt lgkmcnt(1)
	v_pk_fma_f16 v57, v45, v40, v57
	v_pk_fma_f16 v58, v45, v41, v58
	v_pk_fma_f16 v65, v45, v69, v65
	v_pk_fma_f16 v39, v45, v42, v39
	v_pk_fma_f16 v40, v46, v40, v66
	v_pk_fma_f16 v41, v46, v41, v67
	v_pk_fma_f16 v45, v46, v69, v68
	v_pk_fma_f16 v38, v46, v42, v38
	v_mul_u32_u24_sdwa v42, v43, s31 dst_sel:DWORD dst_unused:UNUSED_PAD src0_sel:WORD_0 src1_sel:DWORD
	v_mul_u32_u24_sdwa v43, v43, s31 dst_sel:DWORD dst_unused:UNUSED_PAD src0_sel:WORD_1 src1_sel:DWORD
	v_mul_u32_u24_sdwa v46, v44, s31 dst_sel:DWORD dst_unused:UNUSED_PAD src0_sel:WORD_0 src1_sel:DWORD
	v_mul_u32_u24_sdwa v44, v44, s31 dst_sel:DWORD dst_unused:UNUSED_PAD src0_sel:WORD_1 src1_sel:DWORD
	v_pk_fma_f16 v57, v47, v42, v57
	v_pk_fma_f16 v58, v47, v43, v58
	;; [unrolled: 1-line block ×7, first 2 shown]
	ds_read2_b64 v[38:41], v37 offset0:64 offset1:96
	v_pk_fma_f16 v45, v48, v46, v45
	s_waitcnt lgkmcnt(1)
	v_mul_u32_u24_sdwa v46, v49, s31 dst_sel:DWORD dst_unused:UNUSED_PAD src0_sel:WORD_0 src1_sel:DWORD
	v_mul_u32_u24_sdwa v48, v49, s31 dst_sel:DWORD dst_unused:UNUSED_PAD src0_sel:WORD_1 src1_sel:DWORD
	v_mul_u32_u24_sdwa v49, v50, s31 dst_sel:DWORD dst_unused:UNUSED_PAD src0_sel:WORD_0 src1_sel:DWORD
	v_mul_u32_u24_sdwa v50, v50, s31 dst_sel:DWORD dst_unused:UNUSED_PAD src0_sel:WORD_1 src1_sel:DWORD
	s_waitcnt lgkmcnt(0)
	v_pk_fma_f16 v57, v38, v46, v57
	v_pk_fma_f16 v58, v38, v48, v58
	v_pk_fma_f16 v65, v38, v49, v65
	v_pk_fma_f16 v38, v38, v50, v47
	v_pk_fma_f16 v42, v39, v46, v42
	v_pk_fma_f16 v43, v39, v48, v43
	v_pk_fma_f16 v46, v39, v49, v45
	v_pk_fma_f16 v39, v39, v50, v44
	v_mul_u32_u24_sdwa v44, v51, s31 dst_sel:DWORD dst_unused:UNUSED_PAD src0_sel:WORD_0 src1_sel:DWORD
	v_mul_u32_u24_sdwa v45, v51, s31 dst_sel:DWORD dst_unused:UNUSED_PAD src0_sel:WORD_1 src1_sel:DWORD
	v_mul_u32_u24_sdwa v47, v52, s31 dst_sel:DWORD dst_unused:UNUSED_PAD src0_sel:WORD_0 src1_sel:DWORD
	v_mul_u32_u24_sdwa v48, v52, s31 dst_sel:DWORD dst_unused:UNUSED_PAD src0_sel:WORD_1 src1_sel:DWORD
	v_pk_fma_f16 v50, v40, v44, v57
	v_pk_fma_f16 v51, v40, v45, v58
	;; [unrolled: 1-line block ×5, first 2 shown]
	ds_read_b128 v[42:45], v28 offset:96
	v_pk_fma_f16 v57, v40, v48, v38
	v_pk_fma_f16 v66, v41, v47, v46
	;; [unrolled: 1-line block ×3, first 2 shown]
	ds_read2_b64 v[38:41], v37 offset0:128 offset1:160
	ds_read_b128 v[46:49], v28 offset:112
	s_waitcnt lgkmcnt(2)
	v_mul_u32_u24_sdwa v68, v42, s31 dst_sel:DWORD dst_unused:UNUSED_PAD src0_sel:WORD_0 src1_sel:DWORD
	v_mul_u32_u24_sdwa v42, v42, s31 dst_sel:DWORD dst_unused:UNUSED_PAD src0_sel:WORD_1 src1_sel:DWORD
	v_mul_u32_u24_sdwa v69, v43, s31 dst_sel:DWORD dst_unused:UNUSED_PAD src0_sel:WORD_0 src1_sel:DWORD
	v_mul_u32_u24_sdwa v43, v43, s31 dst_sel:DWORD dst_unused:UNUSED_PAD src0_sel:WORD_1 src1_sel:DWORD
	s_waitcnt lgkmcnt(1)
	v_pk_fma_f16 v50, v38, v68, v50
	v_pk_fma_f16 v51, v38, v42, v51
	;; [unrolled: 1-line block ×8, first 2 shown]
	v_mul_u32_u24_sdwa v43, v44, s31 dst_sel:DWORD dst_unused:UNUSED_PAD src0_sel:WORD_0 src1_sel:DWORD
	v_mul_u32_u24_sdwa v44, v44, s31 dst_sel:DWORD dst_unused:UNUSED_PAD src0_sel:WORD_1 src1_sel:DWORD
	v_mul_u32_u24_sdwa v65, v45, s31 dst_sel:DWORD dst_unused:UNUSED_PAD src0_sel:WORD_0 src1_sel:DWORD
	v_mul_u32_u24_sdwa v45, v45, s31 dst_sel:DWORD dst_unused:UNUSED_PAD src0_sel:WORD_1 src1_sel:DWORD
	v_pk_fma_f16 v50, v40, v43, v50
	v_pk_fma_f16 v51, v40, v44, v51
	;; [unrolled: 1-line block ×8, first 2 shown]
	ds_read2_b64 v[38:41], v37 offset0:192 offset1:224
	s_waitcnt lgkmcnt(1)
	v_mul_u32_u24_sdwa v57, v46, s31 dst_sel:DWORD dst_unused:UNUSED_PAD src0_sel:WORD_0 src1_sel:DWORD
	v_mul_u32_u24_sdwa v46, v46, s31 dst_sel:DWORD dst_unused:UNUSED_PAD src0_sel:WORD_1 src1_sel:DWORD
	v_mul_u32_u24_sdwa v58, v47, s31 dst_sel:DWORD dst_unused:UNUSED_PAD src0_sel:WORD_0 src1_sel:DWORD
	v_mul_u32_u24_sdwa v47, v47, s31 dst_sel:DWORD dst_unused:UNUSED_PAD src0_sel:WORD_1 src1_sel:DWORD
	s_waitcnt lgkmcnt(0)
	v_pk_fma_f16 v50, v38, v57, v50
	v_pk_fma_f16 v51, v38, v46, v51
	;; [unrolled: 1-line block ×8, first 2 shown]
	v_mul_u32_u24_sdwa v45, v48, s31 dst_sel:DWORD dst_unused:UNUSED_PAD src0_sel:WORD_0 src1_sel:DWORD
	v_mul_u32_u24_sdwa v46, v48, s31 dst_sel:DWORD dst_unused:UNUSED_PAD src0_sel:WORD_1 src1_sel:DWORD
	v_mul_u32_u24_sdwa v47, v49, s31 dst_sel:DWORD dst_unused:UNUSED_PAD src0_sel:WORD_0 src1_sel:DWORD
	v_mul_u32_u24_sdwa v48, v49, s31 dst_sel:DWORD dst_unused:UNUSED_PAD src0_sel:WORD_1 src1_sel:DWORD
	v_pk_fma_f16 v50, v40, v45, v50
	v_pk_fma_f16 v57, v41, v45, v43
	;; [unrolled: 1-line block ×4, first 2 shown]
	ds_read_b128 v[42:45], v28 offset:128
	v_pk_fma_f16 v51, v40, v46, v51
	v_pk_fma_f16 v52, v40, v47, v52
	;; [unrolled: 1-line block ×3, first 2 shown]
	v_add_u32_e32 v38, 0x1000, v20
	v_pk_fma_f16 v39, v41, v48, v39
	ds_read2_b64 v[46:49], v38 offset1:32
	ds_read_b128 v[65:68], v28 offset:144
	s_waitcnt lgkmcnt(2)
	v_mul_u32_u24_sdwa v41, v42, s31 dst_sel:DWORD dst_unused:UNUSED_PAD src0_sel:WORD_0 src1_sel:DWORD
	v_mul_u32_u24_sdwa v42, v42, s31 dst_sel:DWORD dst_unused:UNUSED_PAD src0_sel:WORD_1 src1_sel:DWORD
	v_mul_u32_u24_sdwa v70, v43, s31 dst_sel:DWORD dst_unused:UNUSED_PAD src0_sel:WORD_0 src1_sel:DWORD
	v_mul_u32_u24_sdwa v43, v43, s31 dst_sel:DWORD dst_unused:UNUSED_PAD src0_sel:WORD_1 src1_sel:DWORD
	s_waitcnt lgkmcnt(1)
	v_pk_fma_f16 v50, v46, v41, v50
	v_pk_fma_f16 v51, v46, v42, v51
	;; [unrolled: 1-line block ×8, first 2 shown]
	v_mul_u32_u24_sdwa v43, v44, s31 dst_sel:DWORD dst_unused:UNUSED_PAD src0_sel:WORD_0 src1_sel:DWORD
	v_mul_u32_u24_sdwa v44, v44, s31 dst_sel:DWORD dst_unused:UNUSED_PAD src0_sel:WORD_1 src1_sel:DWORD
	v_mul_u32_u24_sdwa v47, v45, s31 dst_sel:DWORD dst_unused:UNUSED_PAD src0_sel:WORD_0 src1_sel:DWORD
	v_mul_u32_u24_sdwa v45, v45, s31 dst_sel:DWORD dst_unused:UNUSED_PAD src0_sel:WORD_1 src1_sel:DWORD
	v_pk_fma_f16 v50, v48, v43, v50
	v_pk_fma_f16 v51, v48, v44, v51
	;; [unrolled: 1-line block ×7, first 2 shown]
	ds_read2_b64 v[39:42], v38 offset0:64 offset1:96
	v_pk_fma_f16 v46, v49, v47, v46
	s_waitcnt lgkmcnt(1)
	v_mul_u32_u24_sdwa v47, v65, s31 dst_sel:DWORD dst_unused:UNUSED_PAD src0_sel:WORD_0 src1_sel:DWORD
	v_mul_u32_u24_sdwa v49, v65, s31 dst_sel:DWORD dst_unused:UNUSED_PAD src0_sel:WORD_1 src1_sel:DWORD
	v_mul_u32_u24_sdwa v57, v66, s31 dst_sel:DWORD dst_unused:UNUSED_PAD src0_sel:WORD_0 src1_sel:DWORD
	v_mul_u32_u24_sdwa v58, v66, s31 dst_sel:DWORD dst_unused:UNUSED_PAD src0_sel:WORD_1 src1_sel:DWORD
	s_waitcnt lgkmcnt(0)
	v_pk_fma_f16 v50, v39, v47, v50
	v_pk_fma_f16 v51, v39, v49, v51
	;; [unrolled: 1-line block ×6, first 2 shown]
	v_mul_u32_u24_sdwa v45, v67, s31 dst_sel:DWORD dst_unused:UNUSED_PAD src0_sel:WORD_0 src1_sel:DWORD
	v_mul_u32_u24_sdwa v46, v67, s31 dst_sel:DWORD dst_unused:UNUSED_PAD src0_sel:WORD_1 src1_sel:DWORD
	v_pk_fma_f16 v52, v39, v57, v52
	v_pk_fma_f16 v57, v41, v45, v50
	v_pk_fma_f16 v51, v41, v46, v51
	v_pk_fma_f16 v65, v42, v45, v43
	v_pk_fma_f16 v66, v42, v46, v44
	ds_read_b128 v[43:46], v28 offset:160
	v_pk_fma_f16 v39, v39, v58, v48
	v_mul_u32_u24_sdwa v48, v68, s31 dst_sel:DWORD dst_unused:UNUSED_PAD src0_sel:WORD_0 src1_sel:DWORD
	v_mul_u32_u24_sdwa v49, v68, s31 dst_sel:DWORD dst_unused:UNUSED_PAD src0_sel:WORD_1 src1_sel:DWORD
	v_pk_fma_f16 v52, v41, v48, v52
	v_pk_fma_f16 v58, v41, v49, v39
	;; [unrolled: 1-line block ×4, first 2 shown]
	ds_read2_b64 v[39:42], v38 offset0:128 offset1:160
	ds_read_b128 v[47:50], v28 offset:176
	s_waitcnt lgkmcnt(2)
	v_mul_u32_u24_sdwa v69, v43, s31 dst_sel:DWORD dst_unused:UNUSED_PAD src0_sel:WORD_0 src1_sel:DWORD
	v_mul_u32_u24_sdwa v43, v43, s31 dst_sel:DWORD dst_unused:UNUSED_PAD src0_sel:WORD_1 src1_sel:DWORD
	v_mul_u32_u24_sdwa v70, v44, s31 dst_sel:DWORD dst_unused:UNUSED_PAD src0_sel:WORD_0 src1_sel:DWORD
	v_mul_u32_u24_sdwa v44, v44, s31 dst_sel:DWORD dst_unused:UNUSED_PAD src0_sel:WORD_1 src1_sel:DWORD
	s_waitcnt lgkmcnt(1)
	v_pk_fma_f16 v57, v39, v69, v57
	v_pk_fma_f16 v51, v39, v43, v51
	;; [unrolled: 1-line block ×8, first 2 shown]
	v_mul_u32_u24_sdwa v44, v45, s31 dst_sel:DWORD dst_unused:UNUSED_PAD src0_sel:WORD_0 src1_sel:DWORD
	v_mul_u32_u24_sdwa v45, v45, s31 dst_sel:DWORD dst_unused:UNUSED_PAD src0_sel:WORD_1 src1_sel:DWORD
	v_mul_u32_u24_sdwa v66, v46, s31 dst_sel:DWORD dst_unused:UNUSED_PAD src0_sel:WORD_0 src1_sel:DWORD
	v_mul_u32_u24_sdwa v46, v46, s31 dst_sel:DWORD dst_unused:UNUSED_PAD src0_sel:WORD_1 src1_sel:DWORD
	v_pk_fma_f16 v57, v41, v44, v57
	v_pk_fma_f16 v51, v41, v45, v51
	;; [unrolled: 1-line block ×8, first 2 shown]
	ds_read2_b64 v[39:42], v38 offset0:192 offset1:224
	s_waitcnt lgkmcnt(1)
	v_mul_u32_u24_sdwa v58, v47, s31 dst_sel:DWORD dst_unused:UNUSED_PAD src0_sel:WORD_0 src1_sel:DWORD
	v_mul_u32_u24_sdwa v47, v47, s31 dst_sel:DWORD dst_unused:UNUSED_PAD src0_sel:WORD_1 src1_sel:DWORD
	v_mul_u32_u24_sdwa v65, v48, s31 dst_sel:DWORD dst_unused:UNUSED_PAD src0_sel:WORD_0 src1_sel:DWORD
	v_mul_u32_u24_sdwa v48, v48, s31 dst_sel:DWORD dst_unused:UNUSED_PAD src0_sel:WORD_1 src1_sel:DWORD
	s_waitcnt lgkmcnt(0)
	v_pk_fma_f16 v57, v39, v58, v57
	v_pk_fma_f16 v51, v39, v47, v51
	;; [unrolled: 1-line block ×8, first 2 shown]
	v_mul_u32_u24_sdwa v46, v49, s31 dst_sel:DWORD dst_unused:UNUSED_PAD src0_sel:WORD_0 src1_sel:DWORD
	v_mul_u32_u24_sdwa v47, v49, s31 dst_sel:DWORD dst_unused:UNUSED_PAD src0_sel:WORD_1 src1_sel:DWORD
	v_mul_u32_u24_sdwa v48, v50, s31 dst_sel:DWORD dst_unused:UNUSED_PAD src0_sel:WORD_0 src1_sel:DWORD
	v_mul_u32_u24_sdwa v49, v50, s31 dst_sel:DWORD dst_unused:UNUSED_PAD src0_sel:WORD_1 src1_sel:DWORD
	v_pk_fma_f16 v57, v41, v46, v57
	v_pk_fma_f16 v58, v42, v46, v44
	;; [unrolled: 1-line block ×4, first 2 shown]
	ds_read_b128 v[43:46], v28 offset:192
	v_pk_fma_f16 v51, v41, v47, v51
	v_pk_fma_f16 v52, v41, v48, v52
	;; [unrolled: 1-line block ×3, first 2 shown]
	v_add_u32_e32 v39, 0x1800, v20
	v_pk_fma_f16 v40, v42, v49, v40
	ds_read2_b64 v[47:50], v39 offset1:32
	ds_read_b128 v[65:68], v28 offset:208
	s_or_b32 s8, s6, 32
	s_mul_hi_i32 s9, s8, s18
	s_mul_i32 s8, s8, s18
	s_lshl_b64 s[8:9], s[8:9], 2
	s_waitcnt lgkmcnt(2)
	v_mul_u32_u24_sdwa v42, v43, s31 dst_sel:DWORD dst_unused:UNUSED_PAD src0_sel:WORD_0 src1_sel:DWORD
	v_mul_u32_u24_sdwa v43, v43, s31 dst_sel:DWORD dst_unused:UNUSED_PAD src0_sel:WORD_1 src1_sel:DWORD
	s_add_u32 s8, s12, s8
	v_mul_u32_u24_sdwa v71, v44, s31 dst_sel:DWORD dst_unused:UNUSED_PAD src0_sel:WORD_0 src1_sel:DWORD
	s_waitcnt lgkmcnt(1)
	v_pk_fma_f16 v51, v47, v43, v51
	v_mul_u32_u24_sdwa v95, v45, s31 dst_sel:DWORD dst_unused:UNUSED_PAD src0_sel:WORD_1 src1_sel:DWORD
	s_addc_u32 s9, s13, s9
	v_pk_fma_f16 v57, v47, v42, v57
	v_pk_fma_f16 v89, v47, v71, v52
	v_mul_u32_u24_sdwa v94, v45, s31 dst_sel:DWORD dst_unused:UNUSED_PAD src0_sel:WORD_0 src1_sel:DWORD
	v_pk_fma_f16 v99, v49, v95, v51
	v_mov_b32_e32 v51, s9
	v_add_co_u32_e32 v52, vcc, s8, v9
	v_pk_fma_f16 v98, v49, v94, v57
	v_addc_co_u32_e32 v57, vcc, v51, v10, vcc
	v_add_co_u32_e32 v51, vcc, v52, v35
	v_addc_co_u32_e32 v52, vcc, 0, v57, vcc
	v_pk_fma_f16 v91, v48, v42, v58
	v_mov_b32_e32 v57, s9
	v_add_co_u32_e32 v58, vcc, s8, v11
	v_addc_co_u32_e32 v81, vcc, v57, v12, vcc
	v_mul_u32_u24_sdwa v44, v44, s31 dst_sel:DWORD dst_unused:UNUSED_PAD src0_sel:WORD_1 src1_sel:DWORD
	v_add_co_u32_e32 v57, vcc, v58, v35
	v_pk_fma_f16 v90, v47, v44, v41
	v_pk_fma_f16 v92, v48, v43, v69
	;; [unrolled: 1-line block ×4, first 2 shown]
	v_mul_u32_u24_sdwa v96, v46, s31 dst_sel:DWORD dst_unused:UNUSED_PAD src0_sel:WORD_0 src1_sel:DWORD
	v_mul_u32_u24_sdwa v97, v46, s31 dst_sel:DWORD dst_unused:UNUSED_PAD src0_sel:WORD_1 src1_sel:DWORD
	ds_read2_b64 v[40:43], v39 offset0:64 offset1:96
	ds_read2_b64 v[44:47], v39 offset0:128 offset1:160
	;; [unrolled: 1-line block ×3, first 2 shown]
	ds_read_b128 v[73:76], v28 offset:224
	ds_read_b128 v[77:80], v28 offset:240
	s_waitcnt lgkmcnt(0)
	s_barrier
	v_addc_co_u32_e32 v58, vcc, 0, v81, vcc
	global_load_dwordx4 v[81:84], v[51:52], off
	global_load_dwordx4 v[85:88], v[57:58], off
	v_pk_fma_f16 v51, v49, v96, v89
	v_pk_fma_f16 v49, v49, v97, v90
	v_pk_fma_f16 v52, v50, v94, v91
	v_pk_fma_f16 v57, v50, v95, v92
	v_pk_fma_f16 v58, v50, v96, v93
	v_pk_fma_f16 v48, v50, v97, v48
	v_mul_u32_u24_sdwa v50, v65, s31 dst_sel:DWORD dst_unused:UNUSED_PAD src0_sel:WORD_0 src1_sel:DWORD
	v_mul_u32_u24_sdwa v65, v65, s31 dst_sel:DWORD dst_unused:UNUSED_PAD src0_sel:WORD_1 src1_sel:DWORD
	v_mul_u32_u24_sdwa v89, v66, s31 dst_sel:DWORD dst_unused:UNUSED_PAD src0_sel:WORD_0 src1_sel:DWORD
	v_mul_u32_u24_sdwa v66, v66, s31 dst_sel:DWORD dst_unused:UNUSED_PAD src0_sel:WORD_1 src1_sel:DWORD
	v_pk_fma_f16 v90, v40, v50, v98
	v_pk_fma_f16 v91, v40, v65, v99
	v_pk_fma_f16 v51, v40, v89, v51
	v_pk_fma_f16 v40, v40, v66, v49
	v_pk_fma_f16 v49, v41, v50, v52
	v_pk_fma_f16 v50, v41, v65, v57
	v_pk_fma_f16 v52, v41, v89, v58
	v_pk_fma_f16 v41, v41, v66, v48
	v_mul_u32_u24_sdwa v48, v67, s31 dst_sel:DWORD dst_unused:UNUSED_PAD src0_sel:WORD_0 src1_sel:DWORD
	v_mul_u32_u24_sdwa v57, v67, s31 dst_sel:DWORD dst_unused:UNUSED_PAD src0_sel:WORD_1 src1_sel:DWORD
	v_mul_u32_u24_sdwa v58, v68, s31 dst_sel:DWORD dst_unused:UNUSED_PAD src0_sel:WORD_0 src1_sel:DWORD
	v_mul_u32_u24_sdwa v65, v68, s31 dst_sel:DWORD dst_unused:UNUSED_PAD src0_sel:WORD_1 src1_sel:DWORD
	v_pk_fma_f16 v66, v42, v48, v90
	v_pk_fma_f16 v67, v42, v57, v91
	;; [unrolled: 12-line block ×6, first 2 shown]
	v_pk_fma_f16 v58, v71, v47, v51
	v_pk_fma_f16 v73, v71, v48, v40
	;; [unrolled: 1-line block ×6, first 2 shown]
	s_waitcnt vmcnt(1)
	ds_write_b128 v29, v[81:84]
	s_waitcnt vmcnt(0)
	ds_write_b128 v30, v[85:88]
	s_waitcnt lgkmcnt(0)
	s_barrier
	ds_read_b128 v[40:43], v28 offset:256
	ds_read2_b64 v[44:47], v20 offset1:32
	ds_read_b128 v[48:51], v28 offset:272
	ds_read_b128 v[65:68], v28 offset:288
	;; [unrolled: 1-line block ×3, first 2 shown]
	s_waitcnt lgkmcnt(4)
	v_mul_u32_u24_sdwa v78, v40, s31 dst_sel:DWORD dst_unused:UNUSED_PAD src0_sel:WORD_0 src1_sel:DWORD
	v_mul_u32_u24_sdwa v40, v40, s31 dst_sel:DWORD dst_unused:UNUSED_PAD src0_sel:WORD_1 src1_sel:DWORD
	v_mul_u32_u24_sdwa v79, v41, s31 dst_sel:DWORD dst_unused:UNUSED_PAD src0_sel:WORD_0 src1_sel:DWORD
	v_mul_u32_u24_sdwa v41, v41, s31 dst_sel:DWORD dst_unused:UNUSED_PAD src0_sel:WORD_1 src1_sel:DWORD
	s_waitcnt lgkmcnt(3)
	v_pk_fma_f16 v52, v44, v78, v52
	v_pk_fma_f16 v57, v44, v40, v57
	v_pk_fma_f16 v58, v44, v79, v58
	v_pk_fma_f16 v44, v44, v41, v73
	v_pk_fma_f16 v73, v45, v78, v74
	v_pk_fma_f16 v40, v45, v40, v75
	v_pk_fma_f16 v74, v45, v79, v76
	v_pk_fma_f16 v41, v45, v41, v77
	v_mul_u32_u24_sdwa v45, v42, s31 dst_sel:DWORD dst_unused:UNUSED_PAD src0_sel:WORD_0 src1_sel:DWORD
	v_mul_u32_u24_sdwa v42, v42, s31 dst_sel:DWORD dst_unused:UNUSED_PAD src0_sel:WORD_1 src1_sel:DWORD
	v_mul_u32_u24_sdwa v75, v43, s31 dst_sel:DWORD dst_unused:UNUSED_PAD src0_sel:WORD_0 src1_sel:DWORD
	v_mul_u32_u24_sdwa v43, v43, s31 dst_sel:DWORD dst_unused:UNUSED_PAD src0_sel:WORD_1 src1_sel:DWORD
	v_pk_fma_f16 v52, v46, v45, v52
	v_pk_fma_f16 v57, v46, v42, v57
	;; [unrolled: 1-line block ×8, first 2 shown]
	ds_read2_b64 v[40:43], v20 offset0:64 offset1:96
	s_waitcnt lgkmcnt(3)
	v_mul_u32_u24_sdwa v74, v48, s31 dst_sel:DWORD dst_unused:UNUSED_PAD src0_sel:WORD_0 src1_sel:DWORD
	v_mul_u32_u24_sdwa v48, v48, s31 dst_sel:DWORD dst_unused:UNUSED_PAD src0_sel:WORD_1 src1_sel:DWORD
	v_mul_u32_u24_sdwa v75, v49, s31 dst_sel:DWORD dst_unused:UNUSED_PAD src0_sel:WORD_0 src1_sel:DWORD
	v_mul_u32_u24_sdwa v49, v49, s31 dst_sel:DWORD dst_unused:UNUSED_PAD src0_sel:WORD_1 src1_sel:DWORD
	s_waitcnt lgkmcnt(0)
	v_pk_fma_f16 v52, v40, v74, v52
	v_pk_fma_f16 v57, v40, v48, v57
	;; [unrolled: 1-line block ×8, first 2 shown]
	v_mul_u32_u24_sdwa v47, v50, s31 dst_sel:DWORD dst_unused:UNUSED_PAD src0_sel:WORD_0 src1_sel:DWORD
	v_mul_u32_u24_sdwa v48, v50, s31 dst_sel:DWORD dst_unused:UNUSED_PAD src0_sel:WORD_1 src1_sel:DWORD
	v_mul_u32_u24_sdwa v49, v51, s31 dst_sel:DWORD dst_unused:UNUSED_PAD src0_sel:WORD_0 src1_sel:DWORD
	v_mul_u32_u24_sdwa v50, v51, s31 dst_sel:DWORD dst_unused:UNUSED_PAD src0_sel:WORD_1 src1_sel:DWORD
	v_pk_fma_f16 v51, v42, v47, v52
	v_pk_fma_f16 v52, v42, v48, v57
	;; [unrolled: 1-line block ×8, first 2 shown]
	ds_read2_b64 v[40:43], v20 offset0:128 offset1:160
	v_mul_u32_u24_sdwa v48, v65, s31 dst_sel:DWORD dst_unused:UNUSED_PAD src0_sel:WORD_0 src1_sel:DWORD
	v_mul_u32_u24_sdwa v49, v65, s31 dst_sel:DWORD dst_unused:UNUSED_PAD src0_sel:WORD_1 src1_sel:DWORD
	v_mul_u32_u24_sdwa v50, v66, s31 dst_sel:DWORD dst_unused:UNUSED_PAD src0_sel:WORD_0 src1_sel:DWORD
	v_mul_u32_u24_sdwa v65, v66, s31 dst_sel:DWORD dst_unused:UNUSED_PAD src0_sel:WORD_1 src1_sel:DWORD
	s_waitcnt lgkmcnt(0)
	v_pk_fma_f16 v51, v40, v48, v51
	v_pk_fma_f16 v52, v40, v49, v52
	;; [unrolled: 1-line block ×8, first 2 shown]
	v_mul_u32_u24_sdwa v47, v67, s31 dst_sel:DWORD dst_unused:UNUSED_PAD src0_sel:WORD_0 src1_sel:DWORD
	v_mul_u32_u24_sdwa v48, v67, s31 dst_sel:DWORD dst_unused:UNUSED_PAD src0_sel:WORD_1 src1_sel:DWORD
	v_mul_u32_u24_sdwa v49, v68, s31 dst_sel:DWORD dst_unused:UNUSED_PAD src0_sel:WORD_0 src1_sel:DWORD
	v_mul_u32_u24_sdwa v50, v68, s31 dst_sel:DWORD dst_unused:UNUSED_PAD src0_sel:WORD_1 src1_sel:DWORD
	v_pk_fma_f16 v51, v42, v47, v51
	v_pk_fma_f16 v52, v42, v48, v52
	;; [unrolled: 1-line block ×8, first 2 shown]
	ds_read2_b64 v[40:43], v20 offset0:192 offset1:224
	v_mul_u32_u24_sdwa v48, v69, s31 dst_sel:DWORD dst_unused:UNUSED_PAD src0_sel:WORD_0 src1_sel:DWORD
	v_mul_u32_u24_sdwa v49, v69, s31 dst_sel:DWORD dst_unused:UNUSED_PAD src0_sel:WORD_1 src1_sel:DWORD
	v_mul_u32_u24_sdwa v50, v70, s31 dst_sel:DWORD dst_unused:UNUSED_PAD src0_sel:WORD_0 src1_sel:DWORD
	v_mul_u32_u24_sdwa v65, v70, s31 dst_sel:DWORD dst_unused:UNUSED_PAD src0_sel:WORD_1 src1_sel:DWORD
	s_waitcnt lgkmcnt(0)
	v_pk_fma_f16 v51, v40, v48, v51
	v_pk_fma_f16 v52, v40, v49, v52
	;; [unrolled: 1-line block ×6, first 2 shown]
	v_mul_u32_u24_sdwa v46, v71, s31 dst_sel:DWORD dst_unused:UNUSED_PAD src0_sel:WORD_0 src1_sel:DWORD
	v_mul_u32_u24_sdwa v47, v71, s31 dst_sel:DWORD dst_unused:UNUSED_PAD src0_sel:WORD_1 src1_sel:DWORD
	v_pk_fma_f16 v57, v40, v50, v57
	v_pk_fma_f16 v40, v40, v65, v58
	;; [unrolled: 1-line block ×6, first 2 shown]
	ds_read_b128 v[44:47], v28 offset:320
	v_mul_u32_u24_sdwa v49, v72, s31 dst_sel:DWORD dst_unused:UNUSED_PAD src0_sel:WORD_0 src1_sel:DWORD
	v_mul_u32_u24_sdwa v50, v72, s31 dst_sel:DWORD dst_unused:UNUSED_PAD src0_sel:WORD_1 src1_sel:DWORD
	v_pk_fma_f16 v57, v42, v49, v57
	v_pk_fma_f16 v65, v42, v50, v40
	v_pk_fma_f16 v68, v43, v49, v48
	v_pk_fma_f16 v69, v43, v50, v41
	ds_read2_b64 v[40:43], v37 offset1:32
	ds_read_b128 v[48:51], v28 offset:336
	s_waitcnt lgkmcnt(2)
	v_mul_u32_u24_sdwa v70, v44, s31 dst_sel:DWORD dst_unused:UNUSED_PAD src0_sel:WORD_0 src1_sel:DWORD
	v_mul_u32_u24_sdwa v44, v44, s31 dst_sel:DWORD dst_unused:UNUSED_PAD src0_sel:WORD_1 src1_sel:DWORD
	v_mul_u32_u24_sdwa v71, v45, s31 dst_sel:DWORD dst_unused:UNUSED_PAD src0_sel:WORD_0 src1_sel:DWORD
	v_mul_u32_u24_sdwa v45, v45, s31 dst_sel:DWORD dst_unused:UNUSED_PAD src0_sel:WORD_1 src1_sel:DWORD
	s_waitcnt lgkmcnt(1)
	v_pk_fma_f16 v58, v40, v70, v58
	v_pk_fma_f16 v52, v40, v44, v52
	;; [unrolled: 1-line block ×8, first 2 shown]
	v_mul_u32_u24_sdwa v45, v46, s31 dst_sel:DWORD dst_unused:UNUSED_PAD src0_sel:WORD_0 src1_sel:DWORD
	v_mul_u32_u24_sdwa v46, v46, s31 dst_sel:DWORD dst_unused:UNUSED_PAD src0_sel:WORD_1 src1_sel:DWORD
	v_mul_u32_u24_sdwa v67, v47, s31 dst_sel:DWORD dst_unused:UNUSED_PAD src0_sel:WORD_0 src1_sel:DWORD
	v_mul_u32_u24_sdwa v47, v47, s31 dst_sel:DWORD dst_unused:UNUSED_PAD src0_sel:WORD_1 src1_sel:DWORD
	v_pk_fma_f16 v58, v42, v45, v58
	v_pk_fma_f16 v52, v42, v46, v52
	;; [unrolled: 1-line block ×8, first 2 shown]
	ds_read2_b64 v[40:43], v37 offset0:64 offset1:96
	s_waitcnt lgkmcnt(1)
	v_mul_u32_u24_sdwa v65, v48, s31 dst_sel:DWORD dst_unused:UNUSED_PAD src0_sel:WORD_0 src1_sel:DWORD
	v_mul_u32_u24_sdwa v48, v48, s31 dst_sel:DWORD dst_unused:UNUSED_PAD src0_sel:WORD_1 src1_sel:DWORD
	v_mul_u32_u24_sdwa v66, v49, s31 dst_sel:DWORD dst_unused:UNUSED_PAD src0_sel:WORD_0 src1_sel:DWORD
	v_mul_u32_u24_sdwa v49, v49, s31 dst_sel:DWORD dst_unused:UNUSED_PAD src0_sel:WORD_1 src1_sel:DWORD
	s_waitcnt lgkmcnt(0)
	v_pk_fma_f16 v58, v40, v65, v58
	v_pk_fma_f16 v52, v40, v48, v52
	;; [unrolled: 1-line block ×6, first 2 shown]
	v_mul_u32_u24_sdwa v46, v50, s31 dst_sel:DWORD dst_unused:UNUSED_PAD src0_sel:WORD_0 src1_sel:DWORD
	v_mul_u32_u24_sdwa v47, v50, s31 dst_sel:DWORD dst_unused:UNUSED_PAD src0_sel:WORD_1 src1_sel:DWORD
	v_pk_fma_f16 v57, v40, v66, v57
	v_pk_fma_f16 v58, v42, v46, v58
	;; [unrolled: 1-line block ×5, first 2 shown]
	ds_read_b128 v[44:47], v28 offset:352
	v_pk_fma_f16 v40, v40, v49, v68
	v_mul_u32_u24_sdwa v49, v51, s31 dst_sel:DWORD dst_unused:UNUSED_PAD src0_sel:WORD_0 src1_sel:DWORD
	v_mul_u32_u24_sdwa v50, v51, s31 dst_sel:DWORD dst_unused:UNUSED_PAD src0_sel:WORD_1 src1_sel:DWORD
	v_pk_fma_f16 v57, v42, v49, v57
	v_pk_fma_f16 v65, v42, v50, v40
	;; [unrolled: 1-line block ×4, first 2 shown]
	ds_read2_b64 v[40:43], v37 offset0:128 offset1:160
	ds_read_b128 v[48:51], v28 offset:368
	s_waitcnt lgkmcnt(2)
	v_mul_u32_u24_sdwa v70, v44, s31 dst_sel:DWORD dst_unused:UNUSED_PAD src0_sel:WORD_0 src1_sel:DWORD
	v_mul_u32_u24_sdwa v44, v44, s31 dst_sel:DWORD dst_unused:UNUSED_PAD src0_sel:WORD_1 src1_sel:DWORD
	v_mul_u32_u24_sdwa v71, v45, s31 dst_sel:DWORD dst_unused:UNUSED_PAD src0_sel:WORD_0 src1_sel:DWORD
	v_mul_u32_u24_sdwa v45, v45, s31 dst_sel:DWORD dst_unused:UNUSED_PAD src0_sel:WORD_1 src1_sel:DWORD
	s_waitcnt lgkmcnt(1)
	v_pk_fma_f16 v58, v40, v70, v58
	v_pk_fma_f16 v52, v40, v44, v52
	;; [unrolled: 1-line block ×8, first 2 shown]
	v_mul_u32_u24_sdwa v45, v46, s31 dst_sel:DWORD dst_unused:UNUSED_PAD src0_sel:WORD_0 src1_sel:DWORD
	v_mul_u32_u24_sdwa v46, v46, s31 dst_sel:DWORD dst_unused:UNUSED_PAD src0_sel:WORD_1 src1_sel:DWORD
	v_mul_u32_u24_sdwa v67, v47, s31 dst_sel:DWORD dst_unused:UNUSED_PAD src0_sel:WORD_0 src1_sel:DWORD
	v_mul_u32_u24_sdwa v47, v47, s31 dst_sel:DWORD dst_unused:UNUSED_PAD src0_sel:WORD_1 src1_sel:DWORD
	v_pk_fma_f16 v58, v42, v45, v58
	v_pk_fma_f16 v52, v42, v46, v52
	;; [unrolled: 1-line block ×8, first 2 shown]
	ds_read2_b64 v[40:43], v37 offset0:192 offset1:224
	s_waitcnt lgkmcnt(1)
	v_mul_u32_u24_sdwa v37, v48, s31 dst_sel:DWORD dst_unused:UNUSED_PAD src0_sel:WORD_0 src1_sel:DWORD
	v_mul_u32_u24_sdwa v48, v48, s31 dst_sel:DWORD dst_unused:UNUSED_PAD src0_sel:WORD_1 src1_sel:DWORD
	v_mul_u32_u24_sdwa v65, v49, s31 dst_sel:DWORD dst_unused:UNUSED_PAD src0_sel:WORD_0 src1_sel:DWORD
	v_mul_u32_u24_sdwa v49, v49, s31 dst_sel:DWORD dst_unused:UNUSED_PAD src0_sel:WORD_1 src1_sel:DWORD
	s_waitcnt lgkmcnt(0)
	v_pk_fma_f16 v58, v40, v37, v58
	v_pk_fma_f16 v52, v40, v48, v52
	;; [unrolled: 1-line block ×5, first 2 shown]
	v_mul_u32_u24_sdwa v45, v50, s31 dst_sel:DWORD dst_unused:UNUSED_PAD src0_sel:WORD_0 src1_sel:DWORD
	v_mul_u32_u24_sdwa v46, v50, s31 dst_sel:DWORD dst_unused:UNUSED_PAD src0_sel:WORD_1 src1_sel:DWORD
	v_pk_fma_f16 v41, v41, v49, v47
	v_pk_fma_f16 v58, v42, v45, v58
	;; [unrolled: 1-line block ×5, first 2 shown]
	ds_read_b128 v[44:47], v28 offset:384
	v_pk_fma_f16 v57, v40, v65, v57
	v_pk_fma_f16 v40, v40, v49, v68
	v_mul_u32_u24_sdwa v49, v51, s31 dst_sel:DWORD dst_unused:UNUSED_PAD src0_sel:WORD_0 src1_sel:DWORD
	v_mul_u32_u24_sdwa v50, v51, s31 dst_sel:DWORD dst_unused:UNUSED_PAD src0_sel:WORD_1 src1_sel:DWORD
	v_pk_fma_f16 v57, v42, v49, v57
	v_pk_fma_f16 v65, v42, v50, v40
	;; [unrolled: 1-line block ×4, first 2 shown]
	ds_read2_b64 v[40:43], v38 offset1:32
	ds_read_b128 v[48:51], v28 offset:400
	s_waitcnt lgkmcnt(2)
	v_mul_u32_u24_sdwa v69, v44, s31 dst_sel:DWORD dst_unused:UNUSED_PAD src0_sel:WORD_0 src1_sel:DWORD
	v_mul_u32_u24_sdwa v44, v44, s31 dst_sel:DWORD dst_unused:UNUSED_PAD src0_sel:WORD_1 src1_sel:DWORD
	v_mul_u32_u24_sdwa v70, v45, s31 dst_sel:DWORD dst_unused:UNUSED_PAD src0_sel:WORD_0 src1_sel:DWORD
	v_mul_u32_u24_sdwa v45, v45, s31 dst_sel:DWORD dst_unused:UNUSED_PAD src0_sel:WORD_1 src1_sel:DWORD
	s_waitcnt lgkmcnt(1)
	v_pk_fma_f16 v58, v40, v69, v58
	v_pk_fma_f16 v52, v40, v44, v52
	;; [unrolled: 1-line block ×8, first 2 shown]
	v_mul_u32_u24_sdwa v45, v46, s31 dst_sel:DWORD dst_unused:UNUSED_PAD src0_sel:WORD_0 src1_sel:DWORD
	v_mul_u32_u24_sdwa v46, v46, s31 dst_sel:DWORD dst_unused:UNUSED_PAD src0_sel:WORD_1 src1_sel:DWORD
	v_mul_u32_u24_sdwa v66, v47, s31 dst_sel:DWORD dst_unused:UNUSED_PAD src0_sel:WORD_0 src1_sel:DWORD
	v_mul_u32_u24_sdwa v47, v47, s31 dst_sel:DWORD dst_unused:UNUSED_PAD src0_sel:WORD_1 src1_sel:DWORD
	v_pk_fma_f16 v58, v42, v45, v58
	v_pk_fma_f16 v52, v42, v46, v52
	;; [unrolled: 1-line block ×8, first 2 shown]
	ds_read2_b64 v[40:43], v38 offset0:64 offset1:96
	s_waitcnt lgkmcnt(1)
	v_mul_u32_u24_sdwa v47, v48, s31 dst_sel:DWORD dst_unused:UNUSED_PAD src0_sel:WORD_0 src1_sel:DWORD
	v_mul_u32_u24_sdwa v48, v48, s31 dst_sel:DWORD dst_unused:UNUSED_PAD src0_sel:WORD_1 src1_sel:DWORD
	v_mul_u32_u24_sdwa v65, v49, s31 dst_sel:DWORD dst_unused:UNUSED_PAD src0_sel:WORD_0 src1_sel:DWORD
	v_mul_u32_u24_sdwa v49, v49, s31 dst_sel:DWORD dst_unused:UNUSED_PAD src0_sel:WORD_1 src1_sel:DWORD
	s_waitcnt lgkmcnt(0)
	v_pk_fma_f16 v58, v40, v47, v58
	v_pk_fma_f16 v52, v40, v48, v52
	;; [unrolled: 1-line block ×6, first 2 shown]
	v_mul_u32_u24_sdwa v45, v50, s31 dst_sel:DWORD dst_unused:UNUSED_PAD src0_sel:WORD_0 src1_sel:DWORD
	v_mul_u32_u24_sdwa v46, v50, s31 dst_sel:DWORD dst_unused:UNUSED_PAD src0_sel:WORD_1 src1_sel:DWORD
	v_pk_fma_f16 v58, v42, v45, v58
	v_pk_fma_f16 v52, v42, v46, v52
	;; [unrolled: 1-line block ×4, first 2 shown]
	ds_read_b128 v[44:47], v28 offset:416
	v_pk_fma_f16 v57, v40, v65, v57
	v_pk_fma_f16 v40, v40, v49, v67
	v_mul_u32_u24_sdwa v49, v51, s31 dst_sel:DWORD dst_unused:UNUSED_PAD src0_sel:WORD_0 src1_sel:DWORD
	v_mul_u32_u24_sdwa v50, v51, s31 dst_sel:DWORD dst_unused:UNUSED_PAD src0_sel:WORD_1 src1_sel:DWORD
	v_pk_fma_f16 v57, v42, v49, v57
	v_pk_fma_f16 v65, v42, v50, v40
	;; [unrolled: 1-line block ×4, first 2 shown]
	ds_read2_b64 v[40:43], v38 offset0:128 offset1:160
	ds_read_b128 v[48:51], v28 offset:432
	s_waitcnt lgkmcnt(2)
	v_mul_u32_u24_sdwa v69, v44, s31 dst_sel:DWORD dst_unused:UNUSED_PAD src0_sel:WORD_0 src1_sel:DWORD
	v_mul_u32_u24_sdwa v44, v44, s31 dst_sel:DWORD dst_unused:UNUSED_PAD src0_sel:WORD_1 src1_sel:DWORD
	v_mul_u32_u24_sdwa v70, v45, s31 dst_sel:DWORD dst_unused:UNUSED_PAD src0_sel:WORD_0 src1_sel:DWORD
	v_mul_u32_u24_sdwa v45, v45, s31 dst_sel:DWORD dst_unused:UNUSED_PAD src0_sel:WORD_1 src1_sel:DWORD
	s_waitcnt lgkmcnt(1)
	v_pk_fma_f16 v58, v40, v69, v58
	v_pk_fma_f16 v52, v40, v44, v52
	;; [unrolled: 1-line block ×8, first 2 shown]
	v_mul_u32_u24_sdwa v45, v46, s31 dst_sel:DWORD dst_unused:UNUSED_PAD src0_sel:WORD_0 src1_sel:DWORD
	v_mul_u32_u24_sdwa v46, v46, s31 dst_sel:DWORD dst_unused:UNUSED_PAD src0_sel:WORD_1 src1_sel:DWORD
	v_mul_u32_u24_sdwa v66, v47, s31 dst_sel:DWORD dst_unused:UNUSED_PAD src0_sel:WORD_0 src1_sel:DWORD
	v_mul_u32_u24_sdwa v47, v47, s31 dst_sel:DWORD dst_unused:UNUSED_PAD src0_sel:WORD_1 src1_sel:DWORD
	v_pk_fma_f16 v58, v42, v45, v58
	v_pk_fma_f16 v52, v42, v46, v52
	;; [unrolled: 1-line block ×8, first 2 shown]
	ds_read2_b64 v[40:43], v38 offset0:192 offset1:224
	s_waitcnt lgkmcnt(1)
	v_mul_u32_u24_sdwa v38, v48, s31 dst_sel:DWORD dst_unused:UNUSED_PAD src0_sel:WORD_0 src1_sel:DWORD
	v_mul_u32_u24_sdwa v47, v48, s31 dst_sel:DWORD dst_unused:UNUSED_PAD src0_sel:WORD_1 src1_sel:DWORD
	v_mul_u32_u24_sdwa v48, v49, s31 dst_sel:DWORD dst_unused:UNUSED_PAD src0_sel:WORD_0 src1_sel:DWORD
	v_mul_u32_u24_sdwa v49, v49, s31 dst_sel:DWORD dst_unused:UNUSED_PAD src0_sel:WORD_1 src1_sel:DWORD
	s_waitcnt lgkmcnt(0)
	v_pk_fma_f16 v58, v40, v38, v58
	v_pk_fma_f16 v52, v40, v47, v52
	;; [unrolled: 1-line block ×6, first 2 shown]
	v_mul_u32_u24_sdwa v44, v50, s31 dst_sel:DWORD dst_unused:UNUSED_PAD src0_sel:WORD_0 src1_sel:DWORD
	v_mul_u32_u24_sdwa v45, v50, s31 dst_sel:DWORD dst_unused:UNUSED_PAD src0_sel:WORD_1 src1_sel:DWORD
	v_pk_fma_f16 v41, v41, v49, v46
	v_pk_fma_f16 v58, v42, v44, v58
	;; [unrolled: 1-line block ×5, first 2 shown]
	ds_read_b128 v[44:47], v28 offset:448
	v_pk_fma_f16 v40, v40, v49, v67
	v_mul_u32_u24_sdwa v49, v51, s31 dst_sel:DWORD dst_unused:UNUSED_PAD src0_sel:WORD_0 src1_sel:DWORD
	v_mul_u32_u24_sdwa v50, v51, s31 dst_sel:DWORD dst_unused:UNUSED_PAD src0_sel:WORD_1 src1_sel:DWORD
	v_pk_fma_f16 v57, v42, v49, v57
	v_pk_fma_f16 v65, v42, v50, v40
	;; [unrolled: 1-line block ×4, first 2 shown]
	ds_read2_b64 v[40:43], v39 offset1:32
	ds_read_b128 v[48:51], v28 offset:464
	s_waitcnt lgkmcnt(2)
	v_mul_u32_u24_sdwa v68, v44, s31 dst_sel:DWORD dst_unused:UNUSED_PAD src0_sel:WORD_0 src1_sel:DWORD
	v_mul_u32_u24_sdwa v44, v44, s31 dst_sel:DWORD dst_unused:UNUSED_PAD src0_sel:WORD_1 src1_sel:DWORD
	v_mul_u32_u24_sdwa v69, v45, s31 dst_sel:DWORD dst_unused:UNUSED_PAD src0_sel:WORD_0 src1_sel:DWORD
	v_mul_u32_u24_sdwa v45, v45, s31 dst_sel:DWORD dst_unused:UNUSED_PAD src0_sel:WORD_1 src1_sel:DWORD
	s_waitcnt lgkmcnt(1)
	v_pk_fma_f16 v58, v40, v68, v58
	v_pk_fma_f16 v52, v40, v44, v52
	v_pk_fma_f16 v57, v40, v69, v57
	v_pk_fma_f16 v40, v40, v45, v65
	v_pk_fma_f16 v37, v41, v68, v37
	v_pk_fma_f16 v38, v41, v44, v38
	v_pk_fma_f16 v44, v41, v69, v66
	v_pk_fma_f16 v41, v41, v45, v67
	v_mul_u32_u24_sdwa v45, v46, s31 dst_sel:DWORD dst_unused:UNUSED_PAD src0_sel:WORD_0 src1_sel:DWORD
	v_mul_u32_u24_sdwa v46, v46, s31 dst_sel:DWORD dst_unused:UNUSED_PAD src0_sel:WORD_1 src1_sel:DWORD
	v_mul_u32_u24_sdwa v65, v47, s31 dst_sel:DWORD dst_unused:UNUSED_PAD src0_sel:WORD_0 src1_sel:DWORD
	v_mul_u32_u24_sdwa v47, v47, s31 dst_sel:DWORD dst_unused:UNUSED_PAD src0_sel:WORD_1 src1_sel:DWORD
	v_pk_fma_f16 v58, v42, v45, v58
	v_pk_fma_f16 v52, v42, v46, v52
	;; [unrolled: 1-line block ×8, first 2 shown]
	ds_read2_b64 v[40:43], v39 offset0:64 offset1:96
	s_waitcnt lgkmcnt(1)
	v_mul_u32_u24_sdwa v46, v48, s31 dst_sel:DWORD dst_unused:UNUSED_PAD src0_sel:WORD_0 src1_sel:DWORD
	v_mul_u32_u24_sdwa v47, v48, s31 dst_sel:DWORD dst_unused:UNUSED_PAD src0_sel:WORD_1 src1_sel:DWORD
	v_mul_u32_u24_sdwa v48, v49, s31 dst_sel:DWORD dst_unused:UNUSED_PAD src0_sel:WORD_0 src1_sel:DWORD
	v_mul_u32_u24_sdwa v49, v49, s31 dst_sel:DWORD dst_unused:UNUSED_PAD src0_sel:WORD_1 src1_sel:DWORD
	s_waitcnt lgkmcnt(0)
	v_pk_fma_f16 v58, v40, v46, v58
	v_pk_fma_f16 v52, v40, v47, v52
	;; [unrolled: 1-line block ×7, first 2 shown]
	v_mul_u32_u24_sdwa v44, v50, s31 dst_sel:DWORD dst_unused:UNUSED_PAD src0_sel:WORD_0 src1_sel:DWORD
	v_mul_u32_u24_sdwa v45, v50, s31 dst_sel:DWORD dst_unused:UNUSED_PAD src0_sel:WORD_1 src1_sel:DWORD
	v_pk_fma_f16 v58, v42, v44, v58
	v_pk_fma_f16 v52, v42, v45, v52
	;; [unrolled: 1-line block ×4, first 2 shown]
	ds_read_b128 v[44:47], v28 offset:480
	v_pk_fma_f16 v40, v40, v49, v66
	v_mul_u32_u24_sdwa v49, v51, s31 dst_sel:DWORD dst_unused:UNUSED_PAD src0_sel:WORD_0 src1_sel:DWORD
	v_mul_u32_u24_sdwa v50, v51, s31 dst_sel:DWORD dst_unused:UNUSED_PAD src0_sel:WORD_1 src1_sel:DWORD
	v_pk_fma_f16 v57, v42, v49, v57
	v_pk_fma_f16 v65, v42, v50, v40
	;; [unrolled: 1-line block ×4, first 2 shown]
	ds_read2_b64 v[40:43], v39 offset0:128 offset1:160
	ds_read_b128 v[48:51], v28 offset:496
	s_waitcnt lgkmcnt(2)
	v_mul_u32_u24_sdwa v68, v44, s31 dst_sel:DWORD dst_unused:UNUSED_PAD src0_sel:WORD_0 src1_sel:DWORD
	v_mul_u32_u24_sdwa v44, v44, s31 dst_sel:DWORD dst_unused:UNUSED_PAD src0_sel:WORD_1 src1_sel:DWORD
	v_mul_u32_u24_sdwa v69, v45, s31 dst_sel:DWORD dst_unused:UNUSED_PAD src0_sel:WORD_0 src1_sel:DWORD
	v_mul_u32_u24_sdwa v45, v45, s31 dst_sel:DWORD dst_unused:UNUSED_PAD src0_sel:WORD_1 src1_sel:DWORD
	s_waitcnt lgkmcnt(1)
	v_pk_fma_f16 v58, v40, v68, v58
	v_pk_fma_f16 v52, v40, v44, v52
	;; [unrolled: 1-line block ×8, first 2 shown]
	v_mul_u32_u24_sdwa v45, v46, s31 dst_sel:DWORD dst_unused:UNUSED_PAD src0_sel:WORD_0 src1_sel:DWORD
	v_mul_u32_u24_sdwa v46, v46, s31 dst_sel:DWORD dst_unused:UNUSED_PAD src0_sel:WORD_1 src1_sel:DWORD
	v_mul_u32_u24_sdwa v65, v47, s31 dst_sel:DWORD dst_unused:UNUSED_PAD src0_sel:WORD_0 src1_sel:DWORD
	v_mul_u32_u24_sdwa v47, v47, s31 dst_sel:DWORD dst_unused:UNUSED_PAD src0_sel:WORD_1 src1_sel:DWORD
	v_pk_fma_f16 v58, v42, v45, v58
	v_pk_fma_f16 v52, v42, v46, v52
	;; [unrolled: 1-line block ×8, first 2 shown]
	ds_read2_b64 v[42:45], v39 offset0:192 offset1:224
	s_waitcnt lgkmcnt(0)
	s_barrier
	s_load_dword s8, s[0:1], 0x4
	v_mul_u32_u24_sdwa v39, v48, s31 dst_sel:DWORD dst_unused:UNUSED_PAD src0_sel:WORD_0 src1_sel:DWORD
	v_mul_u32_u24_sdwa v47, v48, s31 dst_sel:DWORD dst_unused:UNUSED_PAD src0_sel:WORD_1 src1_sel:DWORD
	v_mul_u32_u24_sdwa v48, v49, s31 dst_sel:DWORD dst_unused:UNUSED_PAD src0_sel:WORD_0 src1_sel:DWORD
	v_mul_u32_u24_sdwa v49, v49, s31 dst_sel:DWORD dst_unused:UNUSED_PAD src0_sel:WORD_1 src1_sel:DWORD
	s_waitcnt lgkmcnt(0)
	s_lshl_b32 s8, s8, 6
	v_pk_fma_f16 v58, v42, v39, v58
	v_pk_fma_f16 v52, v42, v47, v52
	;; [unrolled: 1-line block ×8, first 2 shown]
	v_mul_u32_u24_sdwa v43, v50, s31 dst_sel:DWORD dst_unused:UNUSED_PAD src0_sel:WORD_0 src1_sel:DWORD
	v_mul_u32_u24_sdwa v49, v50, s31 dst_sel:DWORD dst_unused:UNUSED_PAD src0_sel:WORD_1 src1_sel:DWORD
	v_mul_u32_u24_sdwa v50, v51, s31 dst_sel:DWORD dst_unused:UNUSED_PAD src0_sel:WORD_0 src1_sel:DWORD
	v_mul_u32_u24_sdwa v51, v51, s31 dst_sel:DWORD dst_unused:UNUSED_PAD src0_sel:WORD_1 src1_sel:DWORD
	s_add_i32 s6, s8, s6
	v_pk_fma_f16 v42, v44, v43, v58
	v_pk_fma_f16 v41, v44, v49, v52
	;; [unrolled: 1-line block ×7, first 2 shown]
	s_cmp_ge_i32 s6, s30
	v_pk_fma_f16 v37, v45, v51, v48
	s_cbranch_scc1 .LBB81_7
; %bb.45:                               ;   in Loop: Header=BB81_12 Depth=1
	v_mov_b32_e32 v52, v1
	v_mov_b32_e32 v50, v2
	;; [unrolled: 1-line block ×8, first 2 shown]
	s_branch .LBB81_12
.LBB81_46:
	v_mov_b32_e32 v12, v8
	v_mov_b32_e32 v11, v7
	;; [unrolled: 1-line block ×4, first 2 shown]
	v_cmp_gt_i32_e32 vcc, s2, v14
	s_and_saveexec_b64 s[0:1], vcc
	s_cbranch_execz .LBB81_9
.LBB81_47:
	s_load_dword s6, s[4:5], 0xd4
	v_mov_b32_e32 v14, 1.0
	s_waitcnt lgkmcnt(0)
	s_cmp_lg_u32 s6, 1
	s_cselect_b64 s[4:5], -1, 0
	s_cmp_eq_u32 s6, 1
	s_cselect_b64 s[8:9], -1, 0
	s_and_b64 vcc, exec, s[4:5]
	s_cbranch_vccnz .LBB81_49
; %bb.48:
	v_div_scale_f32 v14, s[0:1], v5, v5, 1.0
	v_div_scale_f32 v20, vcc, 1.0, v5, 1.0
	v_rcp_f32_e32 v21, v14
	v_fma_f32 v22, -v14, v21, 1.0
	v_fmac_f32_e32 v21, v22, v21
	v_mul_f32_e32 v22, v20, v21
	v_fma_f32 v23, -v14, v22, v20
	v_fmac_f32_e32 v22, v23, v21
	v_fma_f32 v14, -v14, v22, v20
	v_div_fmas_f32 v14, v14, v21, v22
	v_div_fixup_f32 v14, v14, v5, 1.0
.LBB81_49:
	s_mul_i32 s10, s33, s2
	s_add_i32 s10, s10, s14
	v_add_u32_e32 v5, s10, v13
	v_mul_lo_u32 v5, v5, s3
	v_cmp_eq_u32_e32 vcc, 0, v0
	v_cvt_f32_f16_e32 v0, v42
	v_mov_b32_e32 v25, 0
	v_add_u32_e32 v13, s28, v5
	v_mul_lo_u32 v13, s6, v13
	v_cvt_f32_f16_sdwa v21, v42 dst_sel:DWORD dst_unused:UNUSED_PAD src0_sel:WORD_1
	v_cvt_f32_f16_e32 v22, v44
	v_cvt_f32_f16_sdwa v23, v44 dst_sel:DWORD dst_unused:UNUSED_PAD src0_sel:WORD_1
	v_add_u32_e32 v13, s7, v13
	v_lshl_add_u32 v24, v13, 7, v19
	v_lshlrev_b64 v[24:25], 2, v[24:25]
	v_mul_f32_e32 v20, v14, v0
	v_mov_b32_e32 v0, s21
	v_add_co_u32_e64 v24, s[0:1], s20, v24
	v_mul_f32_e32 v21, v14, v21
	v_mul_f32_e32 v22, v14, v22
	;; [unrolled: 1-line block ×3, first 2 shown]
	v_addc_co_u32_e64 v25, s[0:1], v0, v25, s[0:1]
	s_and_b64 s[4:5], vcc, s[4:5]
	global_store_dwordx4 v[24:25], v[20:23], off
	s_and_saveexec_b64 s[0:1], s[4:5]
	s_cbranch_execz .LBB81_51
; %bb.50:
	v_ashrrev_i32_e32 v14, 31, v13
	v_lshlrev_b64 v[13:14], 3, v[13:14]
	v_mov_b32_e32 v0, s23
	v_add_co_u32_e32 v13, vcc, s22, v13
	v_addc_co_u32_e32 v14, vcc, v0, v14, vcc
	v_mov_b32_e32 v0, v1
	v_mov_b32_e32 v1, v9
	global_store_dwordx2 v[13:14], v[0:1], off
.LBB81_51:
	s_or_b64 exec, exec, s[0:1]
	v_cndmask_b32_e64 v0, 0, 1, s[8:9]
	v_cmp_ne_u32_e64 s[0:1], 1, v0
	s_andn2_b64 vcc, exec, s[8:9]
	v_mov_b32_e32 v1, 1.0
	s_cbranch_vccnz .LBB81_53
; %bb.52:
	v_div_scale_f32 v0, s[8:9], v6, v6, 1.0
	v_div_scale_f32 v1, vcc, 1.0, v6, 1.0
	v_rcp_f32_e32 v9, v0
	v_fma_f32 v13, -v0, v9, 1.0
	v_fmac_f32_e32 v9, v13, v9
	v_mul_f32_e32 v13, v1, v9
	v_fma_f32 v14, -v0, v13, v1
	v_fmac_f32_e32 v13, v14, v9
	v_fma_f32 v0, -v0, v13, v1
	v_div_fmas_f32 v0, v0, v9, v13
	v_div_fixup_f32 v1, v0, v6, 1.0
.LBB81_53:
	s_add_i32 s11, s28, 1
	v_add_u32_e32 v0, s11, v5
	v_mul_lo_u32 v0, s6, v0
	v_cvt_f32_f16_e32 v9, v41
	v_cvt_f32_f16_sdwa v13, v41 dst_sel:DWORD dst_unused:UNUSED_PAD src0_sel:WORD_1
	v_cvt_f32_f16_e32 v14, v43
	v_add_u32_e32 v0, s7, v0
	v_cvt_f32_f16_sdwa v23, v43 dst_sel:DWORD dst_unused:UNUSED_PAD src0_sel:WORD_1
	v_mov_b32_e32 v6, 0
	v_lshl_add_u32 v5, v0, 7, v19
	v_lshlrev_b64 v[5:6], 2, v[5:6]
	v_mul_f32_e32 v20, v1, v9
	v_mul_f32_e32 v21, v1, v13
	;; [unrolled: 1-line block ×4, first 2 shown]
	v_mov_b32_e32 v1, s21
	v_add_co_u32_e32 v5, vcc, s20, v5
	v_addc_co_u32_e32 v6, vcc, v1, v6, vcc
	global_store_dwordx4 v[5:6], v[20:23], off
	s_and_saveexec_b64 s[8:9], s[4:5]
	s_cbranch_execz .LBB81_55
; %bb.54:
	v_ashrrev_i32_e32 v1, 31, v0
	v_lshlrev_b64 v[0:1], 3, v[0:1]
	v_mov_b32_e32 v5, s23
	v_add_co_u32_e32 v0, vcc, s22, v0
	v_addc_co_u32_e32 v1, vcc, v5, v1, vcc
	v_mov_b32_e32 v9, v2
	global_store_dwordx2 v[0:1], v[9:10], off
.LBB81_55:
	s_or_b64 exec, exec, s[8:9]
	v_cmp_gt_i32_e32 vcc, s2, v18
	s_and_b64 exec, exec, vcc
	s_cbranch_execz .LBB81_9
; %bb.56:
	s_and_b64 vcc, exec, s[0:1]
	v_mov_b32_e32 v1, 1.0
	s_cbranch_vccnz .LBB81_58
; %bb.57:
	v_div_scale_f32 v0, s[8:9], v7, v7, 1.0
	v_div_scale_f32 v1, vcc, 1.0, v7, 1.0
	v_rcp_f32_e32 v2, v0
	v_fma_f32 v5, -v0, v2, 1.0
	v_fmac_f32_e32 v2, v5, v2
	v_mul_f32_e32 v5, v1, v2
	v_fma_f32 v6, -v0, v5, v1
	v_fmac_f32_e32 v5, v6, v2
	v_fma_f32 v0, -v0, v5, v1
	v_div_fmas_f32 v0, v0, v2, v5
	v_div_fixup_f32 v1, v0, v7, 1.0
.LBB81_58:
	v_add_u32_e32 v0, s10, v17
	v_mul_lo_u32 v0, v0, s3
	v_cvt_f32_f16_e32 v2, v39
	v_cvt_f32_f16_sdwa v7, v39 dst_sel:DWORD dst_unused:UNUSED_PAD src0_sel:WORD_1
	v_cvt_f32_f16_e32 v9, v40
	v_add_u32_e32 v0, s28, v0
	v_mul_lo_u32 v0, s6, v0
	v_cvt_f32_f16_sdwa v10, v40 dst_sel:DWORD dst_unused:UNUSED_PAD src0_sel:WORD_1
	v_mov_b32_e32 v6, 0
	v_mul_f32_e32 v20, v1, v2
	v_add_u32_e32 v0, s7, v0
	v_lshl_add_u32 v5, v0, 7, v19
	v_mul_f32_e32 v21, v1, v7
	v_mul_f32_e32 v22, v1, v9
	;; [unrolled: 1-line block ×3, first 2 shown]
	v_lshlrev_b64 v[1:2], 2, v[5:6]
	v_mov_b32_e32 v5, s21
	v_add_co_u32_e32 v1, vcc, s20, v1
	v_addc_co_u32_e32 v2, vcc, v5, v2, vcc
	global_store_dwordx4 v[1:2], v[20:23], off
	s_and_saveexec_b64 s[8:9], s[4:5]
	s_cbranch_execz .LBB81_60
; %bb.59:
	v_ashrrev_i32_e32 v1, 31, v0
	v_lshlrev_b64 v[0:1], 3, v[0:1]
	v_mov_b32_e32 v2, s23
	v_add_co_u32_e32 v0, vcc, s22, v0
	v_addc_co_u32_e32 v1, vcc, v2, v1, vcc
	v_mov_b32_e32 v10, v3
	global_store_dwordx2 v[0:1], v[10:11], off
.LBB81_60:
	s_or_b64 exec, exec, s[8:9]
	v_cmp_gt_i32_e32 vcc, s2, v16
	s_and_b64 exec, exec, vcc
	s_cbranch_execz .LBB81_9
; %bb.61:
	s_and_b64 vcc, exec, s[0:1]
	v_mov_b32_e32 v1, 1.0
	s_cbranch_vccnz .LBB81_63
; %bb.62:
	v_div_scale_f32 v0, s[0:1], v8, v8, 1.0
	v_div_scale_f32 v1, vcc, 1.0, v8, 1.0
	v_rcp_f32_e32 v2, v0
	v_fma_f32 v3, -v0, v2, 1.0
	v_fmac_f32_e32 v2, v3, v2
	v_mul_f32_e32 v3, v1, v2
	v_fma_f32 v5, -v0, v3, v1
	v_fmac_f32_e32 v3, v5, v2
	v_fma_f32 v0, -v0, v3, v1
	v_div_fmas_f32 v0, v0, v2, v3
	v_div_fixup_f32 v1, v0, v8, 1.0
.LBB81_63:
	v_add_u32_e32 v0, s10, v15
	v_mul_lo_u32 v0, v0, s3
	v_cvt_f32_f16_e32 v2, v38
	v_cvt_f32_f16_sdwa v6, v38 dst_sel:DWORD dst_unused:UNUSED_PAD src0_sel:WORD_1
	v_cvt_f32_f16_e32 v7, v37
	v_add_u32_e32 v0, s11, v0
	v_mul_lo_u32 v0, s6, v0
	v_cvt_f32_f16_sdwa v8, v37 dst_sel:DWORD dst_unused:UNUSED_PAD src0_sel:WORD_1
	v_mov_b32_e32 v3, 0
	v_mul_f32_e32 v5, v1, v2
	v_add_u32_e32 v0, s7, v0
	v_lshl_add_u32 v2, v0, 7, v19
	v_mul_f32_e32 v6, v1, v6
	v_mul_f32_e32 v7, v1, v7
	;; [unrolled: 1-line block ×3, first 2 shown]
	v_lshlrev_b64 v[1:2], 2, v[2:3]
	v_mov_b32_e32 v3, s21
	v_add_co_u32_e32 v1, vcc, s20, v1
	v_addc_co_u32_e32 v2, vcc, v3, v2, vcc
	global_store_dwordx4 v[1:2], v[5:8], off
	s_and_b64 exec, exec, s[4:5]
	s_cbranch_execz .LBB81_9
; %bb.64:
	v_ashrrev_i32_e32 v1, 31, v0
	v_lshlrev_b64 v[0:1], 3, v[0:1]
	v_mov_b32_e32 v2, s23
	v_add_co_u32_e32 v0, vcc, s22, v0
	v_addc_co_u32_e32 v1, vcc, v2, v1, vcc
	v_mov_b32_e32 v11, v4
	global_store_dwordx2 v[0:1], v[11:12], off
	s_endpgm
	.section	.rodata,"a",@progbits
	.p2align	6, 0x0
	.amdhsa_kernel _ZL15flash_attn_tileILi128ELi128ELi16ELi2ELb1EEvPKcS1_S1_S1_S1_PKiPfP15HIP_vector_typeIfLj2EEffffjfiS5_IjLj3EEiiiiiiiiiiiliiliiiiil
		.amdhsa_group_segment_fixed_size 21504
		.amdhsa_private_segment_fixed_size 0
		.amdhsa_kernarg_size 464
		.amdhsa_user_sgpr_count 6
		.amdhsa_user_sgpr_private_segment_buffer 1
		.amdhsa_user_sgpr_dispatch_ptr 0
		.amdhsa_user_sgpr_queue_ptr 0
		.amdhsa_user_sgpr_kernarg_segment_ptr 1
		.amdhsa_user_sgpr_dispatch_id 0
		.amdhsa_user_sgpr_flat_scratch_init 0
		.amdhsa_user_sgpr_private_segment_size 0
		.amdhsa_uses_dynamic_stack 0
		.amdhsa_system_sgpr_private_segment_wavefront_offset 0
		.amdhsa_system_sgpr_workgroup_id_x 1
		.amdhsa_system_sgpr_workgroup_id_y 1
		.amdhsa_system_sgpr_workgroup_id_z 1
		.amdhsa_system_sgpr_workgroup_info 0
		.amdhsa_system_vgpr_workitem_id 1
		.amdhsa_next_free_vgpr 100
		.amdhsa_next_free_sgpr 98
		.amdhsa_reserve_vcc 1
		.amdhsa_reserve_flat_scratch 0
		.amdhsa_float_round_mode_32 0
		.amdhsa_float_round_mode_16_64 0
		.amdhsa_float_denorm_mode_32 3
		.amdhsa_float_denorm_mode_16_64 3
		.amdhsa_dx10_clamp 1
		.amdhsa_ieee_mode 1
		.amdhsa_fp16_overflow 0
		.amdhsa_exception_fp_ieee_invalid_op 0
		.amdhsa_exception_fp_denorm_src 0
		.amdhsa_exception_fp_ieee_div_zero 0
		.amdhsa_exception_fp_ieee_overflow 0
		.amdhsa_exception_fp_ieee_underflow 0
		.amdhsa_exception_fp_ieee_inexact 0
		.amdhsa_exception_int_div_zero 0
	.end_amdhsa_kernel
	.section	.text._ZL15flash_attn_tileILi128ELi128ELi16ELi2ELb1EEvPKcS1_S1_S1_S1_PKiPfP15HIP_vector_typeIfLj2EEffffjfiS5_IjLj3EEiiiiiiiiiiiliiliiiiil,"axG",@progbits,_ZL15flash_attn_tileILi128ELi128ELi16ELi2ELb1EEvPKcS1_S1_S1_S1_PKiPfP15HIP_vector_typeIfLj2EEffffjfiS5_IjLj3EEiiiiiiiiiiiliiliiiiil,comdat
.Lfunc_end81:
	.size	_ZL15flash_attn_tileILi128ELi128ELi16ELi2ELb1EEvPKcS1_S1_S1_S1_PKiPfP15HIP_vector_typeIfLj2EEffffjfiS5_IjLj3EEiiiiiiiiiiiliiliiiiil, .Lfunc_end81-_ZL15flash_attn_tileILi128ELi128ELi16ELi2ELb1EEvPKcS1_S1_S1_S1_PKiPfP15HIP_vector_typeIfLj2EEffffjfiS5_IjLj3EEiiiiiiiiiiiliiliiiiil
                                        ; -- End function
	.set _ZL15flash_attn_tileILi128ELi128ELi16ELi2ELb1EEvPKcS1_S1_S1_S1_PKiPfP15HIP_vector_typeIfLj2EEffffjfiS5_IjLj3EEiiiiiiiiiiiliiliiiiil.num_vgpr, 100
	.set _ZL15flash_attn_tileILi128ELi128ELi16ELi2ELb1EEvPKcS1_S1_S1_S1_PKiPfP15HIP_vector_typeIfLj2EEffffjfiS5_IjLj3EEiiiiiiiiiiiliiliiiiil.num_agpr, 0
	.set _ZL15flash_attn_tileILi128ELi128ELi16ELi2ELb1EEvPKcS1_S1_S1_S1_PKiPfP15HIP_vector_typeIfLj2EEffffjfiS5_IjLj3EEiiiiiiiiiiiliiliiiiil.numbered_sgpr, 43
	.set _ZL15flash_attn_tileILi128ELi128ELi16ELi2ELb1EEvPKcS1_S1_S1_S1_PKiPfP15HIP_vector_typeIfLj2EEffffjfiS5_IjLj3EEiiiiiiiiiiiliiliiiiil.num_named_barrier, 0
	.set _ZL15flash_attn_tileILi128ELi128ELi16ELi2ELb1EEvPKcS1_S1_S1_S1_PKiPfP15HIP_vector_typeIfLj2EEffffjfiS5_IjLj3EEiiiiiiiiiiiliiliiiiil.private_seg_size, 0
	.set _ZL15flash_attn_tileILi128ELi128ELi16ELi2ELb1EEvPKcS1_S1_S1_S1_PKiPfP15HIP_vector_typeIfLj2EEffffjfiS5_IjLj3EEiiiiiiiiiiiliiliiiiil.uses_vcc, 1
	.set _ZL15flash_attn_tileILi128ELi128ELi16ELi2ELb1EEvPKcS1_S1_S1_S1_PKiPfP15HIP_vector_typeIfLj2EEffffjfiS5_IjLj3EEiiiiiiiiiiiliiliiiiil.uses_flat_scratch, 0
	.set _ZL15flash_attn_tileILi128ELi128ELi16ELi2ELb1EEvPKcS1_S1_S1_S1_PKiPfP15HIP_vector_typeIfLj2EEffffjfiS5_IjLj3EEiiiiiiiiiiiliiliiiiil.has_dyn_sized_stack, 0
	.set _ZL15flash_attn_tileILi128ELi128ELi16ELi2ELb1EEvPKcS1_S1_S1_S1_PKiPfP15HIP_vector_typeIfLj2EEffffjfiS5_IjLj3EEiiiiiiiiiiiliiliiiiil.has_recursion, 0
	.set _ZL15flash_attn_tileILi128ELi128ELi16ELi2ELb1EEvPKcS1_S1_S1_S1_PKiPfP15HIP_vector_typeIfLj2EEffffjfiS5_IjLj3EEiiiiiiiiiiiliiliiiiil.has_indirect_call, 0
	.section	.AMDGPU.csdata,"",@progbits
; Kernel info:
; codeLenInByte = 20308
; TotalNumSgprs: 47
; NumVgprs: 100
; ScratchSize: 0
; MemoryBound: 0
; FloatMode: 240
; IeeeMode: 1
; LDSByteSize: 21504 bytes/workgroup (compile time only)
; SGPRBlocks: 12
; VGPRBlocks: 24
; NumSGPRsForWavesPerEU: 102
; NumVGPRsForWavesPerEU: 100
; Occupancy: 2
; WaveLimiterHint : 1
; COMPUTE_PGM_RSRC2:SCRATCH_EN: 0
; COMPUTE_PGM_RSRC2:USER_SGPR: 6
; COMPUTE_PGM_RSRC2:TRAP_HANDLER: 0
; COMPUTE_PGM_RSRC2:TGID_X_EN: 1
; COMPUTE_PGM_RSRC2:TGID_Y_EN: 1
; COMPUTE_PGM_RSRC2:TGID_Z_EN: 1
; COMPUTE_PGM_RSRC2:TIDIG_COMP_CNT: 1
	.section	.text._ZL15flash_attn_tileILi128ELi128ELi8ELi2ELb1EEvPKcS1_S1_S1_S1_PKiPfP15HIP_vector_typeIfLj2EEffffjfiS5_IjLj3EEiiiiiiiiiiiliiliiiiil,"axG",@progbits,_ZL15flash_attn_tileILi128ELi128ELi8ELi2ELb1EEvPKcS1_S1_S1_S1_PKiPfP15HIP_vector_typeIfLj2EEffffjfiS5_IjLj3EEiiiiiiiiiiiliiliiiiil,comdat
	.globl	_ZL15flash_attn_tileILi128ELi128ELi8ELi2ELb1EEvPKcS1_S1_S1_S1_PKiPfP15HIP_vector_typeIfLj2EEffffjfiS5_IjLj3EEiiiiiiiiiiiliiliiiiil ; -- Begin function _ZL15flash_attn_tileILi128ELi128ELi8ELi2ELb1EEvPKcS1_S1_S1_S1_PKiPfP15HIP_vector_typeIfLj2EEffffjfiS5_IjLj3EEiiiiiiiiiiiliiliiiiil
	.p2align	8
	.type	_ZL15flash_attn_tileILi128ELi128ELi8ELi2ELb1EEvPKcS1_S1_S1_S1_PKiPfP15HIP_vector_typeIfLj2EEffffjfiS5_IjLj3EEiiiiiiiiiiiliiliiiiil,@function
_ZL15flash_attn_tileILi128ELi128ELi8ELi2ELb1EEvPKcS1_S1_S1_S1_PKiPfP15HIP_vector_typeIfLj2EEffffjfiS5_IjLj3EEiiiiiiiiiiiliiliiiiil: ; @_ZL15flash_attn_tileILi128ELi128ELi8ELi2ELb1EEvPKcS1_S1_S1_S1_PKiPfP15HIP_vector_typeIfLj2EEffffjfiS5_IjLj3EEiiiiiiiiiiiliiliiiiil
; %bb.0:
	s_load_dwordx4 s[0:3], s[4:5], 0x5c
	s_load_dwordx2 s[30:31], s[4:5], 0x80
	s_load_dwordx2 s[36:37], s[4:5], 0xb8
	s_mov_b64 s[34:35], 0
	s_waitcnt lgkmcnt(0)
	s_lshr_b32 s9, s3, 31
	s_add_i32 s9, s3, s9
	s_ashr_i32 s9, s9, 1
	v_cvt_f32_u32_e32 v2, s9
	s_sub_i32 s10, 0, s9
	v_rcp_iflag_f32_e32 v2, v2
	v_mul_f32_e32 v2, 0x4f7ffffe, v2
	v_cvt_u32_f32_e32 v2, v2
	v_readfirstlane_b32 s11, v2
	s_mul_i32 s10, s10, s11
	s_mul_hi_u32 s10, s11, s10
	s_add_i32 s11, s11, s10
	s_mul_hi_u32 s10, s8, s11
	s_mul_i32 s11, s10, s9
	s_sub_i32 s11, s8, s11
	s_add_i32 s12, s10, 1
	s_sub_i32 s13, s11, s9
	s_cmp_ge_u32 s11, s9
	s_cselect_b32 s10, s12, s10
	s_cselect_b32 s11, s13, s11
	s_add_i32 s12, s10, 1
	s_cmp_ge_u32 s11, s9
	s_cselect_b32 s33, s12, s10
	s_abs_i32 s9, s31
	v_cvt_f32_u32_e32 v2, s9
	s_lshl_b32 s8, s8, 1
	s_mul_i32 s12, s33, s3
	s_sub_i32 s13, 0, s9
	v_rcp_iflag_f32_e32 v2, v2
	s_sub_i32 s28, s8, s12
	s_abs_i32 s11, s3
	s_xor_b32 s10, s3, s31
	v_mul_f32_e32 v2, 0x4f7ffffe, v2
	v_cvt_u32_f32_e32 v2, v2
	s_ashr_i32 s10, s10, 31
	v_readfirstlane_b32 s8, v2
	s_mul_i32 s13, s13, s8
	s_mul_hi_u32 s12, s8, s13
	s_add_i32 s8, s8, s12
	s_mul_hi_u32 s8, s11, s8
	s_mul_i32 s12, s8, s9
	s_sub_i32 s11, s11, s12
	s_add_i32 s13, s8, 1
	s_sub_i32 s12, s11, s9
	s_cmp_ge_u32 s11, s9
	s_cselect_b32 s8, s13, s8
	s_cselect_b32 s11, s12, s11
	s_add_i32 s12, s8, 1
	s_cmp_ge_u32 s11, s9
	s_cselect_b32 s8, s12, s8
	s_xor_b32 s8, s8, s10
	s_sub_i32 s31, s8, s10
	s_abs_i32 s29, s31
	v_cvt_f32_u32_e32 v2, s29
	s_load_dwordx16 s[8:23], s[4:5], 0x0
	v_rcp_iflag_f32_e32 v2, v2
	s_waitcnt lgkmcnt(0)
	s_cmp_eq_u64 s[14:15], 0
	v_mul_f32_e32 v2, 0x4f7ffffe, v2
	v_cvt_u32_f32_e32 v2, v2
	v_readfirstlane_b32 s38, v2
	s_cbranch_scc1 .LBB82_2
; %bb.1:
	s_abs_i32 s26, s36
	v_cvt_f32_u32_e32 v2, s26
	s_sub_i32 s35, 0, s26
	s_abs_i32 s34, s33
	s_ashr_i32 s27, s33, 31
	v_rcp_iflag_f32_e32 v2, v2
	s_load_dwordx2 s[24:25], s[4:5], 0xc8
	v_mul_f32_e32 v2, 0x4f7ffffe, v2
	v_cvt_u32_f32_e32 v2, v2
	v_readfirstlane_b32 s36, v2
	s_mul_i32 s35, s35, s36
	s_mul_hi_u32 s35, s36, s35
	s_add_i32 s36, s36, s35
	s_mul_hi_u32 s35, s34, s36
	s_mul_i32 s35, s35, s26
	s_sub_i32 s34, s34, s35
	s_sub_i32 s35, s34, s26
	s_cmp_ge_u32 s34, s26
	s_cselect_b32 s34, s35, s34
	s_sub_i32 s35, s34, s26
	s_cmp_ge_u32 s34, s26
	s_cselect_b32 s26, s35, s34
	s_xor_b32 s26, s26, s27
	s_sub_i32 s26, s26, s27
	s_ashr_i32 s27, s26, 31
	s_waitcnt lgkmcnt(0)
	s_mul_hi_u32 s34, s24, s26
	s_mul_i32 s27, s24, s27
	s_mul_i32 s25, s25, s26
	s_add_i32 s27, s34, s27
	s_add_i32 s27, s27, s25
	s_mul_i32 s24, s24, s26
	s_add_u32 s34, s14, s24
	s_addc_u32 s35, s15, s27
.LBB82_2:
	s_load_dwordx4 s[24:27], s[4:5], 0x70
	v_lshl_add_u32 v21, s6, 3, v1
	v_mul_hi_u32 v2, s0, v21
	v_mov_b32_e32 v11, 0x4400
	v_lshlrev_b32_e32 v23, 3, v0
	s_waitcnt lgkmcnt(0)
	s_mul_i32 s0, s33, s26
	v_add_u32_e32 v2, v21, v2
	s_ashr_i32 s15, s0, 31
	v_lshrrev_b32_e32 v2, s1, v2
	s_mul_i32 s14, s28, s25
	s_add_u32 s0, s8, s0
	v_mul_lo_u32 v2, v2, s2
	s_addc_u32 s8, s9, s15
	s_ashr_i32 s1, s14, 31
	s_add_u32 s14, s0, s14
	s_addc_u32 s15, s8, s1
	s_ashr_i32 s1, s24, 31
	s_mov_b32 s0, s24
	v_sub_u32_e32 v2, v21, v2
	s_lshr_b64 s[8:9], s[0:1], 2
	v_mad_u64_u32 v[3:4], s[8:9], s8, v2, 0
	s_lshr_b32 s0, s1, 2
	v_lshl_add_u32 v24, v1, 9, v11
	v_mad_u64_u32 v[4:5], s[0:1], s0, v2, v[4:5]
	v_mov_b32_e32 v5, s15
	s_ashr_i32 s0, s25, 31
	v_lshlrev_b64 v[3:4], 2, v[3:4]
	s_and_b32 s1, s25, -4
	v_add_co_u32_e32 v3, vcc, s14, v3
	v_addc_co_u32_e32 v4, vcc, v5, v4, vcc
	v_lshlrev_b32_e32 v5, 4, v0
	v_add_co_u32_e32 v7, vcc, v3, v5
	v_addc_co_u32_e32 v8, vcc, 0, v4, vcc
	global_load_dwordx4 v[3:6], v[7:8], off
	v_mov_b32_e32 v9, s0
	v_add_co_u32_e32 v7, vcc, s1, v7
	v_addc_co_u32_e32 v8, vcc, v8, v9, vcc
	global_load_dwordx4 v[7:10], v[7:8], off
	s_load_dword s0, s[4:5], 0x40
	v_add_u32_e32 v11, v24, v23
	s_cmp_eq_u64 s[18:19], 0
	s_waitcnt vmcnt(1) lgkmcnt(0)
	v_fma_mixlo_f16 v3, s0, v3, 0
	v_fma_mixlo_f16 v4, s0, v4, 0
	v_fma_mixlo_f16 v5, s0, v5, 0
	v_fma_mixlo_f16 v6, s0, v6, 0
	v_lshlrev_b32_e32 v4, 16, v4
	v_and_b32_e32 v3, 0xffff, v3
	v_lshlrev_b32_e32 v6, 16, v6
	v_and_b32_e32 v5, 0xffff, v5
	s_waitcnt vmcnt(0)
	v_fma_mixlo_f16 v7, s0, v7, 0
	v_fma_mixlo_f16 v8, s0, v8, 0
	;; [unrolled: 1-line block ×4, first 2 shown]
	v_or_b32_e32 v3, v4, v3
	v_or3_b32 v4, v6, v5, 0
	v_lshlrev_b32_e32 v5, 16, v8
	v_and_b32_e32 v6, 0xffff, v7
	v_lshlrev_b32_e32 v7, 16, v10
	v_and_b32_e32 v8, 0xffff, v9
	v_or_b32_e32 v5, v5, v6
	v_or3_b32 v3, 0, 0, v3
	v_or3_b32 v6, v7, v8, 0
	;; [unrolled: 1-line block ×3, first 2 shown]
	ds_write2_b64 v11, v[3:4], v[5:6] offset1:32
	s_waitcnt lgkmcnt(0)
	s_barrier
	s_cbranch_scc1 .LBB82_4
; %bb.3:
	s_load_dword s0, s[4:5], 0xd0
	s_mov_b32 s1, 0
	s_waitcnt lgkmcnt(0)
	s_mul_i32 s0, s0, s33
	s_add_i32 s0, s0, s6
	s_lshl_b64 s[0:1], s[0:1], 2
	s_add_u32 s0, s18, s0
	s_addc_u32 s1, s19, s1
	s_load_dword s30, s[0:1], 0x0
.LBB82_4:
	s_lshl_b32 s6, s7, 6
	s_waitcnt lgkmcnt(0)
	s_cmp_lt_i32 s6, s30
	v_mbcnt_lo_u32_b32 v19, -1, 0
	s_cbranch_scc1 .LBB82_10
; %bb.5:
	v_mbcnt_hi_u32_b32 v25, -1, v19
	v_and_b32_e32 v3, 0x60, v25
	v_add_u32_e32 v50, 32, v3
	v_xor_b32_e32 v55, 16, v25
	v_xor_b32_e32 v51, 8, v25
	v_xor_b32_e32 v52, 4, v25
	v_xor_b32_e32 v53, 2, v25
	v_xor_b32_e32 v54, 1, v25
	v_lshlrev_b32_e32 v22, 2, v0
	s_cbranch_execz .LBB82_11
; %bb.6:
	v_mov_b32_e32 v42, 0
	v_mov_b32_e32 v49, 0
	;; [unrolled: 1-line block ×8, first 2 shown]
.LBB82_7:
	v_cmp_lt_i32_e32 vcc, v55, v50
	v_cndmask_b32_e32 v1, v25, v55, vcc
	v_lshlrev_b32_e32 v1, 2, v1
	ds_bpermute_b32 v2, v1, v48
	ds_bpermute_b32 v1, v1, v49
	v_cmp_lt_i32_e32 vcc, v51, v50
	v_cndmask_b32_e32 v3, v25, v51, vcc
	v_lshlrev_b32_e32 v3, 2, v3
	s_waitcnt lgkmcnt(1)
	v_add_f32_e32 v2, v48, v2
	s_waitcnt lgkmcnt(0)
	v_add_f32_e32 v1, v49, v1
	ds_bpermute_b32 v4, v3, v2
	ds_bpermute_b32 v3, v3, v1
	v_cmp_lt_i32_e32 vcc, v52, v50
	v_cndmask_b32_e32 v5, v25, v52, vcc
	v_lshlrev_b32_e32 v5, 2, v5
	s_waitcnt lgkmcnt(1)
	v_add_f32_e32 v2, v2, v4
	s_waitcnt lgkmcnt(0)
	v_add_f32_e32 v1, v1, v3
	;; [unrolled: 9-line block ×4, first 2 shown]
	ds_bpermute_b32 v4, v5, v2
	ds_bpermute_b32 v5, v5, v3
	s_cmp_lg_u64 s[16:17], 0
	s_cselect_b64 s[0:1], -1, 0
	s_cmp_eq_u32 s7, 0
	s_cselect_b64 s[8:9], -1, 0
	s_and_b64 s[0:1], s[8:9], s[0:1]
	s_waitcnt lgkmcnt(1)
	v_add_f32_e32 v1, v2, v4
	s_waitcnt lgkmcnt(0)
	v_add_f32_e32 v2, v3, v5
	s_and_b64 vcc, exec, s[0:1]
	s_cbranch_vccz .LBB82_30
; %bb.8:
	s_ashr_i32 s29, s28, 31
	s_lshl_b64 s[0:1], s[28:29], 2
	s_add_u32 s0, s16, s0
	s_addc_u32 s1, s17, s1
	v_mov_b32_e32 v3, 0
	global_load_dwordx2 v[3:4], v3, s[0:1]
	v_max_f32_e32 v5, v19, v19
	v_max_f32_e32 v6, v20, v20
	s_mov_b32 s0, 0x3fb8aa3b
	s_mov_b32 s1, 0xc2ce8ed0
	;; [unrolled: 1-line block ×3, first 2 shown]
	v_mov_b32_e32 v7, 0x7f800000
	s_waitcnt vmcnt(0)
	v_max_f32_e32 v8, v3, v3
	v_max_f32_e32 v9, v4, v4
	;; [unrolled: 1-line block ×4, first 2 shown]
	v_sub_f32_e32 v8, v19, v5
	v_sub_f32_e32 v9, v20, v6
	v_mov_b32_e32 v20, v6
	v_sub_f32_e32 v3, v3, v5
	v_mov_b32_e32 v19, v5
	v_mul_f32_e32 v5, 0x3fb8aa3b, v8
	v_sub_f32_e32 v4, v4, v6
	v_mul_f32_e32 v6, 0x3fb8aa3b, v3
	v_fma_f32 v12, v8, s0, -v5
	v_rndne_f32_e32 v13, v5
	v_mul_f32_e32 v10, 0x3fb8aa3b, v9
	v_fma_f32 v14, v3, s0, -v6
	v_rndne_f32_e32 v15, v6
	v_fmac_f32_e32 v12, 0x32a5705f, v8
	v_sub_f32_e32 v5, v5, v13
	v_mul_f32_e32 v11, 0x3fb8aa3b, v4
	v_fma_f32 v16, v9, s0, -v10
	v_rndne_f32_e32 v17, v10
	v_fmac_f32_e32 v14, 0x32a5705f, v3
	v_sub_f32_e32 v6, v6, v15
	v_add_f32_e32 v5, v5, v12
	v_fma_f32 v18, v4, s0, -v11
	v_rndne_f32_e32 v23, v11
	v_cvt_i32_f32_e32 v13, v13
	v_fmac_f32_e32 v16, 0x32a5705f, v9
	v_sub_f32_e32 v10, v10, v17
	v_add_f32_e32 v6, v6, v14
	v_exp_f32_e32 v5, v5
	v_cvt_i32_f32_e32 v15, v15
	v_fmac_f32_e32 v18, 0x32a5705f, v4
	v_sub_f32_e32 v11, v11, v23
	v_add_f32_e32 v10, v10, v16
	v_exp_f32_e32 v6, v6
	v_cvt_i32_f32_e32 v17, v17
	v_add_f32_e32 v11, v11, v18
	v_exp_f32_e32 v10, v10
	v_cvt_i32_f32_e32 v23, v23
	v_exp_f32_e32 v11, v11
	v_ldexp_f32 v5, v5, v13
	v_cmp_ngt_f32_e32 vcc, s1, v8
	v_ldexp_f32 v6, v6, v15
	v_cndmask_b32_e32 v5, 0, v5, vcc
	v_cmp_ngt_f32_e32 vcc, s1, v3
	v_ldexp_f32 v10, v10, v17
	v_cndmask_b32_e32 v6, 0, v6, vcc
	;; [unrolled: 3-line block ×3, first 2 shown]
	v_cmp_ngt_f32_e32 vcc, s1, v4
	v_cndmask_b32_e32 v11, 0, v11, vcc
	v_cmp_nlt_f32_e32 vcc, s6, v8
	v_cndmask_b32_e32 v5, v7, v5, vcc
	v_cmp_nlt_f32_e32 vcc, s6, v3
	;; [unrolled: 2-line block ×4, first 2 shown]
	v_cndmask_b32_e32 v4, v7, v11, vcc
	v_fmac_f32_e32 v3, v1, v5
	v_cvt_f16_f32_e32 v5, v5
	v_cvt_f16_f32_e32 v7, v6
	v_fmac_f32_e32 v4, v2, v6
	v_mov_b32_e32 v1, v3
	v_mul_u32_u24_e32 v2, 0x10001, v5
	v_mul_u32_u24_e32 v5, 0x10001, v7
	v_pk_mul_f16 v42, v42, v2
	v_pk_mul_f16 v43, v43, v2
	;; [unrolled: 1-line block ×4, first 2 shown]
	v_mov_b32_e32 v2, v4
	v_cmp_gt_i32_e32 vcc, s2, v21
	s_and_saveexec_b64 s[0:1], vcc
	s_cbranch_execnz .LBB82_31
.LBB82_9:
	s_endpgm
.LBB82_10:
                                        ; implicit-def: $vgpr25
                                        ; implicit-def: $vgpr50
                                        ; implicit-def: $vgpr55
                                        ; implicit-def: $vgpr51
                                        ; implicit-def: $vgpr52
                                        ; implicit-def: $vgpr53
                                        ; implicit-def: $vgpr54
	v_lshlrev_b32_e32 v22, 2, v0
.LBB82_11:
	s_sub_i32 s0, 0, s29
	s_mul_i32 s0, s0, s38
	s_mul_hi_u32 s0, s38, s0
	s_add_i32 s38, s38, s0
	s_load_dwordx4 s[24:27], s[4:5], 0x98
	s_load_dword s14, s[4:5], 0x54
	s_load_dwordx2 s[0:1], s[4:5], 0x8c
	s_abs_i32 s19, s28
	s_mul_hi_u32 s36, s19, s38
	s_waitcnt lgkmcnt(0)
	s_ashr_i32 s15, s26, 2
	s_ashr_i32 s26, s37, 1
	;; [unrolled: 1-line block ×4, first 2 shown]
	s_mul_hi_u32 s37, s24, s33
	s_mul_i32 s39, s24, s0
	s_add_i32 s37, s37, s39
	s_mul_i32 s25, s25, s33
	s_ashr_i32 s38, s28, 31
	s_ashr_i32 s31, s31, 31
	s_add_i32 s37, s37, s25
	s_mul_i32 s24, s24, s33
	s_add_u32 s10, s10, s24
	s_mul_i32 s25, s36, s29
	s_addc_u32 s11, s11, s37
	s_sub_i32 s19, s19, s25
	s_xor_b32 s24, s38, s31
	s_add_i32 s25, s36, 1
	s_sub_i32 s31, s19, s29
	s_cmp_ge_u32 s19, s29
	s_cselect_b32 s25, s25, s36
	s_cselect_b32 s19, s31, s19
	s_add_i32 s31, s25, 1
	s_cmp_ge_u32 s19, s29
	s_load_dwordx2 s[8:9], s[4:5], 0xa8
	s_cselect_b32 s19, s31, s25
	s_xor_b32 s19, s19, s24
	s_sub_i32 s19, s19, s24
	s_mul_i32 s1, s19, s1
	s_ashr_i32 s24, s1, 31
	s_add_u32 s10, s10, s1
	s_waitcnt lgkmcnt(0)
	s_mul_hi_u32 s1, s8, s33
	s_mul_i32 s0, s8, s0
	s_addc_u32 s11, s11, s24
	s_add_i32 s0, s1, s0
	s_mul_i32 s1, s9, s33
	s_add_i32 s0, s0, s1
	s_mul_i32 s1, s8, s33
	v_lshrrev_b32_e32 v3, 4, v0
	s_add_u32 s1, s12, s1
	s_mul_i32 s19, s19, s27
	v_lshl_add_u32 v13, v1, 1, v3
	s_addc_u32 s0, s13, s0
	s_ashr_i32 s8, s19, 31
	v_mul_lo_u32 v4, s18, v13
	s_add_u32 s12, s1, s19
	v_and_b32_e32 v18, 60, v22
	s_addc_u32 s13, s0, s8
	v_lshlrev_b32_e32 v14, 2, v18
	s_movk_i32 s0, 0x110
	v_mad_u32_u24 v26, v13, s0, v14
	s_lshl_b32 s0, s18, 4
	v_add_u32_e32 v6, s0, v4
	v_mul_lo_u32 v12, s15, v13
	v_add_u32_e32 v8, s0, v6
	v_add_u32_e32 v10, s0, v8
	v_mad_u64_u32 v[2:3], s[0:1], v2, s26, v[0:1]
	s_lshl_b32 s0, s15, 4
	v_lshl_or_b32 v31, v13, 8, v14
	v_add_u32_e32 v14, s0, v12
	v_add_u32_e32 v16, s0, v14
	;; [unrolled: 1-line block ×3, first 2 shown]
	v_ashrrev_i32_e32 v5, 31, v4
	v_ashrrev_i32_e32 v7, 31, v6
	;; [unrolled: 1-line block ×4, first 2 shown]
	v_mov_b32_e32 v3, 0x5400
	v_ashrrev_i32_e32 v13, 31, v12
	v_ashrrev_i32_e32 v15, 31, v14
	;; [unrolled: 1-line block ×4, first 2 shown]
	v_lshl_add_u32 v1, v1, 8, v3
	s_add_u32 s0, s4, 0xd0
	v_lshlrev_b64 v[3:4], 2, v[4:5]
	v_lshlrev_b32_e32 v35, 2, v18
	v_lshlrev_b64 v[5:6], 2, v[6:7]
	v_lshlrev_b64 v[7:8], 2, v[8:9]
	;; [unrolled: 1-line block ×7, first 2 shown]
	v_mov_b32_e32 v40, 0
	v_add_u32_e32 v27, 0x1100, v26
	v_add_u32_e32 v28, 0x2200, v26
	v_add_u32_e32 v29, 0x3300, v26
	v_mul_u32_u24_e32 v30, 0x110, v0
	v_add_u32_e32 v32, 0x1000, v31
	v_add_u32_e32 v33, 0x2000, v31
	;; [unrolled: 1-line block ×3, first 2 shown]
	s_addc_u32 s1, s5, 0
	v_mov_b32_e32 v47, 0xfeffffff
	s_mov_b32 s19, 0x3f200000
	s_mov_b32 s24, 0x3fb8aa3b
	;; [unrolled: 1-line block ×4, first 2 shown]
	v_mov_b32_e32 v36, 0xbd5c1c4e
	v_mov_b32_e32 v37, 0x3e088382
	v_mov_b32_e32 v38, 0xbeaaaa99
	s_brev_b32 s27, -2
	s_mov_b32 s29, 0x10001
	v_mov_b32_e32 v39, 0x7f800000
	v_mbcnt_hi_u32_b32 v25, -1, v19
	v_mov_b32_e32 v41, 0
	v_mov_b32_e32 v43, 0
	;; [unrolled: 1-line block ×6, first 2 shown]
.LBB82_12:                              ; =>This Inner Loop Header: Depth=1
	s_mul_hi_i32 s9, s6, s18
	s_mul_i32 s8, s6, s18
	s_lshl_b64 s[8:9], s[8:9], 2
	s_add_u32 s8, s10, s8
	s_addc_u32 s9, s11, s9
	v_mov_b32_e32 v19, s9
	v_add_co_u32_e32 v20, vcc, s8, v3
	v_addc_co_u32_e32 v48, vcc, v19, v4, vcc
	v_add_co_u32_e32 v19, vcc, v20, v35
	v_addc_co_u32_e32 v20, vcc, 0, v48, vcc
	v_mov_b32_e32 v48, s9
	v_add_co_u32_e32 v49, vcc, s8, v5
	v_addc_co_u32_e32 v50, vcc, v48, v6, vcc
	v_add_co_u32_e32 v48, vcc, v49, v35
	v_addc_co_u32_e32 v49, vcc, 0, v50, vcc
	global_load_dwordx4 v[51:54], v[19:20], off
	global_load_dwordx4 v[55:58], v[48:49], off
	v_mov_b32_e32 v19, s9
	v_add_co_u32_e32 v20, vcc, s8, v7
	v_addc_co_u32_e32 v48, vcc, v19, v8, vcc
	v_add_co_u32_e32 v19, vcc, v20, v35
	v_addc_co_u32_e32 v20, vcc, 0, v48, vcc
	v_mov_b32_e32 v48, s9
	v_add_co_u32_e32 v49, vcc, s8, v9
	v_addc_co_u32_e32 v50, vcc, v48, v10, vcc
	v_add_co_u32_e32 v48, vcc, v49, v35
	v_addc_co_u32_e32 v49, vcc, 0, v50, vcc
	global_load_dwordx4 v[59:62], v[19:20], off
	global_load_dwordx4 v[63:66], v[48:49], off
	v_mov_b32_e32 v50, 0
	v_mov_b32_e32 v48, 0
	;; [unrolled: 1-line block ×3, first 2 shown]
	s_waitcnt vmcnt(3)
	ds_write_b128 v26, v[51:54]
	s_waitcnt vmcnt(2)
	ds_write_b128 v27, v[55:58]
	;; [unrolled: 2-line block ×4, first 2 shown]
	s_waitcnt lgkmcnt(0)
	s_barrier
	ds_read_b128 v[52:55], v30
	ds_read_b128 v[56:59], v24
	ds_read_b128 v[60:63], v30 offset:8704
	ds_read_b128 v[64:67], v24 offset:256
	s_waitcnt lgkmcnt(2)
	;;#ASMSTART
	v_dot2_f32_f16 v50, v52, v56, v50
	;;#ASMEND
	;;#ASMSTART
	v_dot2_f32_f16 v50, v53, v57, v50
	;;#ASMEND
	;; [unrolled: 3-line block ×4, first 2 shown]
	s_waitcnt lgkmcnt(0)
	;;#ASMSTART
	v_dot2_f32_f16 v48, v52, v64, v48
	;;#ASMEND
	;;#ASMSTART
	v_dot2_f32_f16 v48, v53, v65, v48
	;;#ASMEND
	v_mov_b32_e32 v51, 0
	;;#ASMSTART
	v_dot2_f32_f16 v48, v54, v66, v48
	;;#ASMEND
	;;#ASMSTART
	v_dot2_f32_f16 v48, v55, v67, v48
	;;#ASMEND
	;;#ASMSTART
	v_dot2_f32_f16 v51, v60, v56, v51
	;;#ASMEND
	;;#ASMSTART
	v_dot2_f32_f16 v51, v61, v57, v51
	;;#ASMEND
	;;#ASMSTART
	v_dot2_f32_f16 v51, v62, v58, v51
	;;#ASMEND
	;;#ASMSTART
	v_dot2_f32_f16 v51, v63, v59, v51
	;;#ASMEND
	;;#ASMSTART
	v_dot2_f32_f16 v49, v60, v64, v49
	;;#ASMEND
	;;#ASMSTART
	v_dot2_f32_f16 v49, v61, v65, v49
	;;#ASMEND
	;;#ASMSTART
	v_dot2_f32_f16 v49, v62, v66, v49
	;;#ASMEND
	;;#ASMSTART
	v_dot2_f32_f16 v49, v63, v67, v49
	;;#ASMEND
	ds_read_b128 v[52:55], v24 offset:16
	ds_read_b128 v[56:59], v30 offset:16
	ds_read_b128 v[60:63], v30 offset:8720
	ds_read_b128 v[64:67], v24 offset:272
	s_waitcnt lgkmcnt(2)
	;;#ASMSTART
	v_dot2_f32_f16 v50, v56, v52, v50
	;;#ASMEND
	;;#ASMSTART
	v_dot2_f32_f16 v50, v57, v53, v50
	;;#ASMEND
	;;#ASMSTART
	v_dot2_f32_f16 v50, v58, v54, v50
	;;#ASMEND
	;;#ASMSTART
	v_dot2_f32_f16 v50, v59, v55, v50
	;;#ASMEND
	s_waitcnt lgkmcnt(0)
	;;#ASMSTART
	v_dot2_f32_f16 v48, v56, v64, v48
	;;#ASMEND
	;;#ASMSTART
	v_dot2_f32_f16 v48, v57, v65, v48
	;;#ASMEND
	;;#ASMSTART
	v_dot2_f32_f16 v48, v58, v66, v48
	;;#ASMEND
	;;#ASMSTART
	v_dot2_f32_f16 v48, v59, v67, v48
	;;#ASMEND
	;;#ASMSTART
	v_dot2_f32_f16 v51, v60, v52, v51
	;;#ASMEND
	;;#ASMSTART
	v_dot2_f32_f16 v51, v61, v53, v51
	;;#ASMEND
	;;#ASMSTART
	v_dot2_f32_f16 v51, v62, v54, v51
	;;#ASMEND
	;;#ASMSTART
	v_dot2_f32_f16 v51, v63, v55, v51
	;;#ASMEND
	;;#ASMSTART
	v_dot2_f32_f16 v49, v60, v64, v49
	;;#ASMEND
	;;#ASMSTART
	v_dot2_f32_f16 v49, v61, v65, v49
	;;#ASMEND
	;;#ASMSTART
	v_dot2_f32_f16 v49, v62, v66, v49
	;;#ASMEND
	;;#ASMSTART
	v_dot2_f32_f16 v49, v63, v67, v49
	;;#ASMEND
	ds_read_b128 v[52:55], v24 offset:32
	ds_read_b128 v[56:59], v30 offset:32
	ds_read_b128 v[60:63], v30 offset:8736
	ds_read_b128 v[64:67], v24 offset:288
	s_waitcnt lgkmcnt(2)
	;;#ASMSTART
	v_dot2_f32_f16 v50, v56, v52, v50
	;;#ASMEND
	;;#ASMSTART
	v_dot2_f32_f16 v50, v57, v53, v50
	;;#ASMEND
	;;#ASMSTART
	v_dot2_f32_f16 v50, v58, v54, v50
	;;#ASMEND
	;;#ASMSTART
	v_dot2_f32_f16 v50, v59, v55, v50
	;;#ASMEND
	s_waitcnt lgkmcnt(0)
	;;#ASMSTART
	v_dot2_f32_f16 v48, v56, v64, v48
	;;#ASMEND
	;;#ASMSTART
	v_dot2_f32_f16 v48, v57, v65, v48
	;;#ASMEND
	;; [unrolled: 54-line block ×15, first 2 shown]
	;;#ASMSTART
	v_dot2_f32_f16 v48, v58, v66, v48
	;;#ASMEND
	;;#ASMSTART
	v_dot2_f32_f16 v48, v59, v67, v48
	;;#ASMEND
	;; [unrolled: 3-line block ×9, first 2 shown]
	v_cmp_nlt_f32_e64 s[8:9], |v50|, s19
	;;#ASMSTART
	v_dot2_f32_f16 v49, v63, v67, v49
	;;#ASMEND
                                        ; implicit-def: $vgpr52
	s_and_saveexec_b64 s[36:37], s[8:9]
	s_xor_b64 s[8:9], exec, s[36:37]
	s_cbranch_execz .LBB82_14
; %bb.13:                               ;   in Loop: Header=BB82_12 Depth=1
	v_add_f32_e64 v19, |v50|, |v50|
	v_mul_f32_e32 v20, 0x3fb8aa3b, v19
	v_rndne_f32_e32 v52, v20
	v_sub_f32_e32 v53, v20, v52
	v_fma_f32 v20, v19, s24, -v20
	v_fmac_f32_e32 v20, 0x32a5705f, v19
	v_add_f32_e32 v20, v53, v20
	v_cvt_i32_f32_e32 v52, v52
	v_exp_f32_e32 v20, v20
	v_cmp_ngt_f32_e32 vcc, s25, v19
	v_ldexp_f32 v20, v20, v52
	v_cndmask_b32_e32 v20, 0, v20, vcc
	v_cmp_nlt_f32_e32 vcc, s26, v19
	v_cndmask_b32_e32 v19, v39, v20, vcc
	v_add_f32_e32 v19, 1.0, v19
	v_rcp_f32_e32 v19, v19
	v_fma_f32 v52, v19, -2.0, 1.0
.LBB82_14:                              ;   in Loop: Header=BB82_12 Depth=1
	s_andn2_saveexec_b64 s[8:9], s[8:9]
; %bb.15:                               ;   in Loop: Header=BB82_12 Depth=1
	v_mul_f32_e32 v19, v50, v50
	v_mov_b32_e32 v20, 0x3ca908c9
	v_fmac_f32_e32 v20, 0xbbbac73d, v19
	v_fma_f32 v20, v19, v20, v36
	v_fma_f32 v20, v19, v20, v37
	;; [unrolled: 1-line block ×3, first 2 shown]
	v_mul_f32_e64 v20, |v50|, v20
	v_fma_f32 v52, v19, v20, |v50|
; %bb.16:                               ;   in Loop: Header=BB82_12 Depth=1
	s_or_b64 exec, exec, s[8:9]
	v_add_u32_e32 v19, s6, v2
	v_ashrrev_i32_e32 v20, 31, v19
	v_lshlrev_b64 v[19:20], 1, v[19:20]
	v_mov_b32_e32 v53, s35
	v_add_co_u32_e32 v19, vcc, s34, v19
	v_addc_co_u32_e32 v20, vcc, v53, v20, vcc
	global_load_ushort v56, v[19:20], off
	v_cmp_nlt_f32_e64 s[8:9], |v51|, s19
                                        ; implicit-def: $vgpr53
	s_and_saveexec_b64 s[36:37], s[8:9]
	s_xor_b64 s[8:9], exec, s[36:37]
	s_cbranch_execz .LBB82_18
; %bb.17:                               ;   in Loop: Header=BB82_12 Depth=1
	v_add_f32_e64 v53, |v51|, |v51|
	v_mul_f32_e32 v54, 0x3fb8aa3b, v53
	v_rndne_f32_e32 v55, v54
	v_sub_f32_e32 v57, v54, v55
	v_fma_f32 v54, v53, s24, -v54
	v_fmac_f32_e32 v54, 0x32a5705f, v53
	v_add_f32_e32 v54, v57, v54
	v_cvt_i32_f32_e32 v55, v55
	v_exp_f32_e32 v54, v54
	v_cmp_ngt_f32_e32 vcc, s25, v53
	v_ldexp_f32 v54, v54, v55
	v_cndmask_b32_e32 v54, 0, v54, vcc
	v_cmp_nlt_f32_e32 vcc, s26, v53
	v_cndmask_b32_e32 v53, v39, v54, vcc
	v_add_f32_e32 v53, 1.0, v53
	v_rcp_f32_e32 v53, v53
	v_fma_f32 v53, v53, -2.0, 1.0
.LBB82_18:                              ;   in Loop: Header=BB82_12 Depth=1
	s_andn2_saveexec_b64 s[8:9], s[8:9]
; %bb.19:                               ;   in Loop: Header=BB82_12 Depth=1
	v_mul_f32_e32 v53, v51, v51
	v_mov_b32_e32 v54, 0x3ca908c9
	v_fmac_f32_e32 v54, 0xbbbac73d, v53
	v_fma_f32 v54, v53, v54, v36
	v_fma_f32 v54, v53, v54, v37
	;; [unrolled: 1-line block ×3, first 2 shown]
	v_mul_f32_e64 v54, |v51|, v54
	v_fma_f32 v53, v53, v54, |v51|
; %bb.20:                               ;   in Loop: Header=BB82_12 Depth=1
	s_or_b64 exec, exec, s[8:9]
	global_load_ushort v62, v[19:20], off offset:64
	v_bfi_b32 v19, s27, v52, v50
	s_waitcnt vmcnt(1)
	v_fma_mix_f32 v20, s14, v19, v56 op_sel_hi:[0,0,1]
	v_and_b32_e32 v19, 0x60, v25
	v_add_u32_e32 v50, 32, v19
	v_xor_b32_e32 v55, 16, v25
	v_bfi_b32 v51, s27, v53, v51
	v_cmp_lt_i32_e32 vcc, v55, v50
	v_add_f32_e32 v52, 0x40051340, v20
	v_cndmask_b32_e32 v19, v25, v55, vcc
	v_lshlrev_b32_e32 v19, 2, v19
	v_cmp_nlt_f32_e64 s[8:9], |v48|, s19
                                        ; implicit-def: $vgpr65
	s_waitcnt vmcnt(0)
	v_fma_mix_f32 v57, s14, v51, v62 op_sel_hi:[0,0,1]
	v_add_f32_e32 v51, 0x40051340, v57
	v_max3_f32 v52, v47, v52, v51
	ds_bpermute_b32 v53, v19, v52
	v_xor_b32_e32 v51, 8, v25
	v_cmp_lt_i32_e32 vcc, v51, v50
	v_cndmask_b32_e32 v54, v25, v51, vcc
	v_lshlrev_b32_e32 v61, 2, v54
	s_waitcnt lgkmcnt(0)
	v_max_f32_e32 v53, v53, v53
	v_max_f32_e32 v53, v52, v53
	ds_bpermute_b32 v54, v61, v53
	v_xor_b32_e32 v52, 4, v25
	v_cmp_lt_i32_e32 vcc, v52, v50
	v_cndmask_b32_e32 v58, v25, v52, vcc
	v_lshlrev_b32_e32 v60, 2, v58
	s_waitcnt lgkmcnt(0)
	v_max_f32_e32 v54, v54, v54
	v_max_f32_e32 v54, v53, v54
	;; [unrolled: 8-line block ×4, first 2 shown]
	ds_bpermute_b32 v64, v58, v63
	s_and_saveexec_b64 s[36:37], s[8:9]
	s_xor_b64 s[8:9], exec, s[36:37]
	s_cbranch_execz .LBB82_22
; %bb.21:                               ;   in Loop: Header=BB82_12 Depth=1
	v_add_f32_e64 v65, |v48|, |v48|
	v_mul_f32_e32 v66, 0x3fb8aa3b, v65
	v_rndne_f32_e32 v67, v66
	v_sub_f32_e32 v68, v66, v67
	v_fma_f32 v66, v65, s24, -v66
	v_fmac_f32_e32 v66, 0x32a5705f, v65
	v_add_f32_e32 v66, v68, v66
	v_cvt_i32_f32_e32 v67, v67
	v_exp_f32_e32 v66, v66
	v_cmp_ngt_f32_e32 vcc, s25, v65
	v_ldexp_f32 v66, v66, v67
	v_cndmask_b32_e32 v66, 0, v66, vcc
	v_cmp_nlt_f32_e32 vcc, s26, v65
	v_cndmask_b32_e32 v65, v39, v66, vcc
	v_add_f32_e32 v65, 1.0, v65
	v_rcp_f32_e32 v65, v65
	v_fma_f32 v65, v65, -2.0, 1.0
.LBB82_22:                              ;   in Loop: Header=BB82_12 Depth=1
	s_andn2_saveexec_b64 s[8:9], s[8:9]
; %bb.23:                               ;   in Loop: Header=BB82_12 Depth=1
	v_mul_f32_e32 v65, v48, v48
	v_mov_b32_e32 v66, 0x3ca908c9
	v_fmac_f32_e32 v66, 0xbbbac73d, v65
	v_fma_f32 v66, v65, v66, v36
	v_fma_f32 v66, v65, v66, v37
	;; [unrolled: 1-line block ×3, first 2 shown]
	v_mul_f32_e64 v66, |v48|, v66
	v_fma_f32 v65, v65, v66, |v48|
; %bb.24:                               ;   in Loop: Header=BB82_12 Depth=1
	s_or_b64 exec, exec, s[8:9]
	v_cmp_nlt_f32_e64 s[8:9], |v49|, s19
                                        ; implicit-def: $vgpr66
	s_and_saveexec_b64 s[36:37], s[8:9]
	s_xor_b64 s[8:9], exec, s[36:37]
	s_cbranch_execz .LBB82_26
; %bb.25:                               ;   in Loop: Header=BB82_12 Depth=1
	v_add_f32_e64 v66, |v49|, |v49|
	v_mul_f32_e32 v67, 0x3fb8aa3b, v66
	v_rndne_f32_e32 v68, v67
	v_sub_f32_e32 v69, v67, v68
	v_fma_f32 v67, v66, s24, -v67
	v_fmac_f32_e32 v67, 0x32a5705f, v66
	v_add_f32_e32 v67, v69, v67
	v_cvt_i32_f32_e32 v68, v68
	v_exp_f32_e32 v67, v67
	v_cmp_ngt_f32_e32 vcc, s25, v66
	v_ldexp_f32 v67, v67, v68
	v_cndmask_b32_e32 v67, 0, v67, vcc
	v_cmp_nlt_f32_e32 vcc, s26, v66
	v_cndmask_b32_e32 v66, v39, v67, vcc
	v_add_f32_e32 v66, 1.0, v66
	v_rcp_f32_e32 v66, v66
	v_fma_f32 v66, v66, -2.0, 1.0
.LBB82_26:                              ;   in Loop: Header=BB82_12 Depth=1
	s_andn2_saveexec_b64 s[8:9], s[8:9]
; %bb.27:                               ;   in Loop: Header=BB82_12 Depth=1
	v_mul_f32_e32 v66, v49, v49
	v_mov_b32_e32 v67, 0x3ca908c9
	v_fmac_f32_e32 v67, 0xbbbac73d, v66
	v_fma_f32 v67, v66, v67, v36
	v_fma_f32 v67, v66, v67, v37
	;; [unrolled: 1-line block ×3, first 2 shown]
	v_mul_f32_e64 v67, |v49|, v67
	v_fma_f32 v66, v66, v67, |v49|
; %bb.28:                               ;   in Loop: Header=BB82_12 Depth=1
	s_or_b64 exec, exec, s[8:9]
	v_cvt_f32_f16_e32 v72, v56
	v_cvt_f32_f16_e32 v73, v62
	v_bfi_b32 v48, s27, v65, v48
	v_bfi_b32 v49, s27, v66, v49
	v_fmac_f32_e32 v72, s14, v48
	v_fmac_f32_e32 v73, s14, v49
	v_add_f32_e32 v48, 0x40051340, v72
	v_add_f32_e32 v49, 0x40051340, v73
	v_max3_f32 v48, v45, v48, v49
	ds_bpermute_b32 v19, v19, v48
	s_waitcnt lgkmcnt(1)
	v_max_f32_e32 v49, v64, v64
	s_mul_hi_i32 s9, s6, s15
	s_mul_i32 s8, s6, s15
	s_lshl_b64 s[8:9], s[8:9], 2
	s_waitcnt lgkmcnt(0)
	v_max_f32_e32 v19, v19, v19
	v_max_f32_e32 v48, v48, v19
	ds_bpermute_b32 v56, v61, v48
	v_max_f32_e32 v19, v63, v63
	v_max_f32_e32 v19, v19, v49
	v_sub_f32_e32 v49, v20, v19
	v_sub_f32_e32 v75, v57, v19
	s_waitcnt lgkmcnt(0)
	v_max_f32_e32 v20, v56, v56
	v_max_f32_e32 v20, v48, v20
	ds_bpermute_b32 v48, v60, v20
	v_mul_f32_e32 v56, 0x3fb8aa3b, v49
	v_fma_f32 v60, v49, s24, -v56
	v_rndne_f32_e32 v61, v56
	v_fmac_f32_e32 v60, 0x32a5705f, v49
	s_waitcnt lgkmcnt(0)
	v_max_f32_e32 v48, v48, v48
	v_max_f32_e32 v20, v20, v48
	ds_bpermute_b32 v48, v59, v20
	v_sub_f32_e32 v56, v56, v61
	v_add_f32_e32 v56, v56, v60
	v_cvt_i32_f32_e32 v59, v61
	v_exp_f32_e32 v56, v56
	s_waitcnt lgkmcnt(0)
	v_max_f32_e32 v48, v48, v48
	v_max_f32_e32 v20, v20, v48
	ds_bpermute_b32 v48, v58, v20
	v_sub_f32_e32 v74, v47, v19
	v_ldexp_f32 v47, v56, v59
	v_cmp_ngt_f32_e32 vcc, s25, v49
	s_add_u32 s8, s12, s8
	s_waitcnt lgkmcnt(0)
	v_max_f32_e32 v48, v48, v48
	v_max_f32_e32 v20, v20, v48
	v_mul_f32_e32 v48, 0x3fb8aa3b, v75
	v_fma_f32 v56, v75, s24, -v48
	v_rndne_f32_e32 v57, v48
	v_fmac_f32_e32 v56, 0x32a5705f, v75
	v_sub_f32_e32 v48, v48, v57
	v_add_f32_e32 v48, v48, v56
	v_exp_f32_e32 v48, v48
	v_cvt_i32_f32_e32 v56, v57
	v_cndmask_b32_e32 v47, 0, v47, vcc
	v_cmp_nlt_f32_e32 vcc, s26, v49
	s_addc_u32 s9, s13, s9
	v_cndmask_b32_e32 v49, v39, v47, vcc
	v_ldexp_f32 v77, v48, v56
	v_mov_b32_e32 v47, s9
	v_add_co_u32_e32 v48, vcc, s8, v11
	v_addc_co_u32_e32 v56, vcc, v47, v12, vcc
	v_add_co_u32_e32 v47, vcc, v48, v35
	v_addc_co_u32_e32 v48, vcc, 0, v56, vcc
	v_mov_b32_e32 v56, s9
	v_add_co_u32_e32 v57, vcc, s8, v13
	v_addc_co_u32_e32 v56, vcc, v56, v14, vcc
	v_add_co_u32_e32 v60, vcc, v57, v35
	v_addc_co_u32_e32 v61, vcc, 0, v56, vcc
	v_mov_b32_e32 v56, s9
	v_add_co_u32_e32 v57, vcc, s8, v15
	v_addc_co_u32_e32 v56, vcc, v56, v16, vcc
	v_add_co_u32_e32 v64, vcc, v57, v35
	v_addc_co_u32_e32 v65, vcc, 0, v56, vcc
	v_mov_b32_e32 v56, s9
	v_add_co_u32_e32 v57, vcc, s8, v17
	v_addc_co_u32_e32 v56, vcc, v56, v18, vcc
	v_add_co_u32_e32 v68, vcc, v57, v35
	v_addc_co_u32_e32 v69, vcc, 0, v56, vcc
	s_barrier
	global_load_dwordx4 v[56:59], v[47:48], off
	s_nop 0
	global_load_dwordx4 v[60:63], v[60:61], off
	s_nop 0
	;; [unrolled: 2-line block ×3, first 2 shown]
	global_load_dwordx4 v[68:71], v[68:69], off
	v_cmp_ngt_f32_e32 vcc, s25, v75
	v_mul_f32_e32 v48, 0x3fb8aa3b, v74
	v_cndmask_b32_e32 v47, 0, v77, vcc
	v_fma_f32 v77, v74, s24, -v48
	v_rndne_f32_e32 v78, v48
	v_fmac_f32_e32 v77, 0x32a5705f, v74
	v_sub_f32_e32 v48, v48, v78
	v_add_f32_e32 v48, v48, v77
	v_exp_f32_e32 v77, v48
	v_cvt_i32_f32_e32 v78, v78
	v_cmp_nlt_f32_e32 vcc, s26, v75
	v_cndmask_b32_e32 v47, v39, v47, vcc
	v_cvt_f16_f32_e32 v76, v49
	v_add_f32_e32 v48, v49, v47
	v_ldexp_f32 v49, v77, v78
	v_cmp_ngt_f32_e32 vcc, s25, v74
	v_cndmask_b32_e32 v49, 0, v49, vcc
	v_cmp_nlt_f32_e32 vcc, s26, v74
	v_cndmask_b32_e32 v49, v39, v49, vcc
	v_fmac_f32_e32 v48, v46, v49
	v_cvt_f16_f32_e32 v46, v49
	v_sub_f32_e32 v49, v72, v20
	v_mul_f32_e32 v72, 0x3fb8aa3b, v49
	v_fma_f32 v74, v49, s24, -v72
	v_rndne_f32_e32 v75, v72
	v_fmac_f32_e32 v74, 0x32a5705f, v49
	v_sub_f32_e32 v72, v72, v75
	v_add_f32_e32 v72, v72, v74
	v_exp_f32_e32 v72, v72
	v_cvt_i32_f32_e32 v74, v75
	v_mul_u32_u24_e32 v75, 0x10001, v46
	v_sub_f32_e32 v46, v73, v20
	v_pk_mul_f16 v77, v43, v75
	v_sub_f32_e32 v43, v45, v20
	v_ldexp_f32 v45, v72, v74
	v_mul_f32_e32 v72, 0x3fb8aa3b, v46
	v_fma_f32 v73, v46, s24, -v72
	v_rndne_f32_e32 v74, v72
	v_fmac_f32_e32 v73, 0x32a5705f, v46
	v_sub_f32_e32 v72, v72, v74
	v_add_f32_e32 v72, v72, v73
	v_exp_f32_e32 v72, v72
	v_cvt_i32_f32_e32 v73, v74
	v_cmp_ngt_f32_e32 vcc, s25, v49
	v_cndmask_b32_e32 v45, 0, v45, vcc
	v_cmp_nlt_f32_e32 vcc, s26, v49
	v_ldexp_f32 v49, v72, v73
	v_mul_f32_e32 v72, 0x3fb8aa3b, v43
	v_fma_f32 v73, v43, s24, -v72
	v_rndne_f32_e32 v78, v72
	v_fmac_f32_e32 v73, 0x32a5705f, v43
	v_sub_f32_e32 v72, v72, v78
	v_add_f32_e32 v72, v72, v73
	v_exp_f32_e32 v72, v72
	v_cvt_i32_f32_e32 v73, v78
	v_cndmask_b32_e32 v45, v39, v45, vcc
	v_cmp_ngt_f32_e32 vcc, s25, v46
	v_cndmask_b32_e32 v49, 0, v49, vcc
	v_cmp_nlt_f32_e32 vcc, s26, v46
	v_cndmask_b32_e32 v46, v39, v49, vcc
	v_ldexp_f32 v49, v72, v73
	v_cmp_ngt_f32_e32 vcc, s25, v43
	v_cndmask_b32_e32 v49, 0, v49, vcc
	v_cmp_nlt_f32_e32 vcc, s26, v43
	v_cvt_f16_f32_e32 v47, v47
	v_cvt_f16_f32_e32 v74, v45
	v_cndmask_b32_e32 v43, v39, v49, vcc
	v_add_f32_e32 v49, v45, v46
	v_cvt_f16_f32_e32 v45, v46
	v_cvt_f16_f32_e32 v72, v43
	v_fmac_f32_e32 v49, v44, v43
	v_add_u32_e32 v43, v1, v22
	v_pack_b32_f16 v44, v76, v74
	v_pack_b32_f16 v45, v47, v45
	ds_write2_b32 v43, v44, v45 offset1:32
	s_waitcnt vmcnt(3)
	ds_write_b128 v31, v[56:59]
	s_waitcnt vmcnt(2)
	ds_write_b128 v32, v[60:63]
	;; [unrolled: 2-line block ×4, first 2 shown]
	s_waitcnt lgkmcnt(0)
	s_barrier
	ds_read_b128 v[43:46], v1
	ds_read2_b64 v[56:59], v23 offset1:32
	ds_read_b128 v[60:63], v1 offset:16
	ds_read_b128 v[64:67], v1 offset:32
	;; [unrolled: 1-line block ×3, first 2 shown]
	v_mul_u32_u24_e32 v72, 0x10001, v72
	s_waitcnt lgkmcnt(4)
	v_mul_u32_u24_sdwa v47, v43, s29 dst_sel:DWORD dst_unused:UNUSED_PAD src0_sel:WORD_0 src1_sel:DWORD
	v_mul_u32_u24_sdwa v43, v43, s29 dst_sel:DWORD dst_unused:UNUSED_PAD src0_sel:WORD_1 src1_sel:DWORD
	v_pk_mul_f16 v40, v40, v72
	s_waitcnt lgkmcnt(3)
	v_pk_mul_f16 v73, v56, v47
	v_pk_mul_f16 v56, v56, v43
	v_pk_fma_f16 v42, v42, v75, v73
	v_pk_fma_f16 v41, v41, v72, v56
	;; [unrolled: 1-line block ×4, first 2 shown]
	v_mul_u32_u24_sdwa v57, v44, s29 dst_sel:DWORD dst_unused:UNUSED_PAD src0_sel:WORD_0 src1_sel:DWORD
	v_mul_u32_u24_sdwa v44, v44, s29 dst_sel:DWORD dst_unused:UNUSED_PAD src0_sel:WORD_1 src1_sel:DWORD
	v_pk_fma_f16 v72, v58, v57, v42
	v_pk_fma_f16 v58, v58, v44, v41
	ds_read2_b64 v[40:43], v23 offset0:64 offset1:96
	v_pk_fma_f16 v47, v59, v57, v47
	v_pk_fma_f16 v44, v59, v44, v56
	v_mul_u32_u24_sdwa v56, v45, s29 dst_sel:DWORD dst_unused:UNUSED_PAD src0_sel:WORD_0 src1_sel:DWORD
	v_mul_u32_u24_sdwa v45, v45, s29 dst_sel:DWORD dst_unused:UNUSED_PAD src0_sel:WORD_1 src1_sel:DWORD
	s_waitcnt lgkmcnt(0)
	v_pk_fma_f16 v57, v40, v56, v72
	v_pk_fma_f16 v40, v40, v45, v58
	;; [unrolled: 1-line block ×4, first 2 shown]
	v_mul_u32_u24_sdwa v58, v46, s29 dst_sel:DWORD dst_unused:UNUSED_PAD src0_sel:WORD_0 src1_sel:DWORD
	v_mul_u32_u24_sdwa v59, v46, s29 dst_sel:DWORD dst_unused:UNUSED_PAD src0_sel:WORD_1 src1_sel:DWORD
	ds_read2_b64 v[44:47], v23 offset0:128 offset1:160
	v_pk_fma_f16 v57, v42, v58, v57
	v_pk_fma_f16 v40, v42, v59, v40
	;; [unrolled: 1-line block ×4, first 2 shown]
	v_mul_u32_u24_sdwa v43, v60, s29 dst_sel:DWORD dst_unused:UNUSED_PAD src0_sel:WORD_0 src1_sel:DWORD
	v_mul_u32_u24_sdwa v56, v60, s29 dst_sel:DWORD dst_unused:UNUSED_PAD src0_sel:WORD_1 src1_sel:DWORD
	s_waitcnt lgkmcnt(0)
	v_pk_fma_f16 v57, v44, v43, v57
	v_pk_fma_f16 v40, v44, v56, v40
	;; [unrolled: 1-line block ×4, first 2 shown]
	v_mul_u32_u24_sdwa v56, v61, s29 dst_sel:DWORD dst_unused:UNUSED_PAD src0_sel:WORD_0 src1_sel:DWORD
	v_mul_u32_u24_sdwa v58, v61, s29 dst_sel:DWORD dst_unused:UNUSED_PAD src0_sel:WORD_1 src1_sel:DWORD
	v_pk_fma_f16 v57, v46, v56, v57
	v_pk_fma_f16 v46, v46, v58, v40
	ds_read2_b64 v[40:43], v23 offset0:192 offset1:224
	v_pk_fma_f16 v44, v47, v56, v44
	v_pk_fma_f16 v45, v47, v58, v45
	v_mul_u32_u24_sdwa v47, v62, s29 dst_sel:DWORD dst_unused:UNUSED_PAD src0_sel:WORD_0 src1_sel:DWORD
	v_mul_u32_u24_sdwa v56, v62, s29 dst_sel:DWORD dst_unused:UNUSED_PAD src0_sel:WORD_1 src1_sel:DWORD
	v_add_u32_e32 v60, 0x800, v23
	s_waitcnt lgkmcnt(0)
	v_pk_fma_f16 v57, v40, v47, v57
	v_pk_fma_f16 v40, v40, v56, v46
	;; [unrolled: 1-line block ×4, first 2 shown]
	ds_read2_b64 v[44:47], v60 offset1:32
	v_mul_u32_u24_sdwa v56, v63, s29 dst_sel:DWORD dst_unused:UNUSED_PAD src0_sel:WORD_0 src1_sel:DWORD
	v_mul_u32_u24_sdwa v59, v63, s29 dst_sel:DWORD dst_unused:UNUSED_PAD src0_sel:WORD_1 src1_sel:DWORD
	v_pk_fma_f16 v57, v42, v56, v57
	v_pk_fma_f16 v40, v42, v59, v40
	;; [unrolled: 1-line block ×4, first 2 shown]
	v_mul_u32_u24_sdwa v43, v64, s29 dst_sel:DWORD dst_unused:UNUSED_PAD src0_sel:WORD_0 src1_sel:DWORD
	v_mul_u32_u24_sdwa v56, v64, s29 dst_sel:DWORD dst_unused:UNUSED_PAD src0_sel:WORD_1 src1_sel:DWORD
	s_waitcnt lgkmcnt(0)
	v_pk_fma_f16 v57, v44, v43, v57
	v_pk_fma_f16 v40, v44, v56, v40
	;; [unrolled: 1-line block ×4, first 2 shown]
	v_mul_u32_u24_sdwa v56, v65, s29 dst_sel:DWORD dst_unused:UNUSED_PAD src0_sel:WORD_0 src1_sel:DWORD
	v_mul_u32_u24_sdwa v58, v65, s29 dst_sel:DWORD dst_unused:UNUSED_PAD src0_sel:WORD_1 src1_sel:DWORD
	v_pk_fma_f16 v57, v46, v56, v57
	v_pk_fma_f16 v46, v46, v58, v40
	ds_read2_b64 v[40:43], v60 offset0:64 offset1:96
	v_pk_fma_f16 v44, v47, v56, v44
	v_pk_fma_f16 v45, v47, v58, v45
	v_mul_u32_u24_sdwa v47, v66, s29 dst_sel:DWORD dst_unused:UNUSED_PAD src0_sel:WORD_0 src1_sel:DWORD
	v_mul_u32_u24_sdwa v56, v66, s29 dst_sel:DWORD dst_unused:UNUSED_PAD src0_sel:WORD_1 src1_sel:DWORD
	s_waitcnt lgkmcnt(0)
	v_pk_fma_f16 v57, v40, v47, v57
	v_pk_fma_f16 v40, v40, v56, v46
	v_pk_fma_f16 v58, v41, v47, v44
	v_pk_fma_f16 v41, v41, v56, v45
	ds_read2_b64 v[44:47], v60 offset0:128 offset1:160
	v_mul_u32_u24_sdwa v56, v67, s29 dst_sel:DWORD dst_unused:UNUSED_PAD src0_sel:WORD_0 src1_sel:DWORD
	v_mul_u32_u24_sdwa v59, v67, s29 dst_sel:DWORD dst_unused:UNUSED_PAD src0_sel:WORD_1 src1_sel:DWORD
	v_pk_fma_f16 v57, v42, v56, v57
	v_pk_fma_f16 v40, v42, v59, v40
	;; [unrolled: 1-line block ×4, first 2 shown]
	v_mul_u32_u24_sdwa v43, v68, s29 dst_sel:DWORD dst_unused:UNUSED_PAD src0_sel:WORD_0 src1_sel:DWORD
	v_mul_u32_u24_sdwa v56, v68, s29 dst_sel:DWORD dst_unused:UNUSED_PAD src0_sel:WORD_1 src1_sel:DWORD
	s_waitcnt lgkmcnt(0)
	v_pk_fma_f16 v57, v44, v43, v57
	v_pk_fma_f16 v40, v44, v56, v40
	;; [unrolled: 1-line block ×4, first 2 shown]
	v_mul_u32_u24_sdwa v56, v69, s29 dst_sel:DWORD dst_unused:UNUSED_PAD src0_sel:WORD_0 src1_sel:DWORD
	v_mul_u32_u24_sdwa v58, v69, s29 dst_sel:DWORD dst_unused:UNUSED_PAD src0_sel:WORD_1 src1_sel:DWORD
	v_pk_fma_f16 v57, v46, v56, v57
	v_pk_fma_f16 v46, v46, v58, v40
	ds_read2_b64 v[40:43], v60 offset0:192 offset1:224
	v_pk_fma_f16 v44, v47, v56, v44
	v_pk_fma_f16 v45, v47, v58, v45
	v_mul_u32_u24_sdwa v47, v70, s29 dst_sel:DWORD dst_unused:UNUSED_PAD src0_sel:WORD_0 src1_sel:DWORD
	v_mul_u32_u24_sdwa v56, v70, s29 dst_sel:DWORD dst_unused:UNUSED_PAD src0_sel:WORD_1 src1_sel:DWORD
	s_waitcnt lgkmcnt(0)
	v_pk_fma_f16 v57, v40, v47, v57
	v_pk_fma_f16 v44, v41, v47, v44
	;; [unrolled: 1-line block ×3, first 2 shown]
	v_mul_u32_u24_sdwa v45, v71, s29 dst_sel:DWORD dst_unused:UNUSED_PAD src0_sel:WORD_0 src1_sel:DWORD
	v_pk_fma_f16 v40, v40, v56, v46
	v_pk_fma_f16 v61, v42, v45, v57
	;; [unrolled: 1-line block ×3, first 2 shown]
	ds_read_b128 v[44:47], v1 offset:64
	v_add_u32_e32 v64, 0x1000, v23
	ds_read2_b64 v[56:59], v64 offset1:32
	v_mul_u32_u24_sdwa v60, v71, s29 dst_sel:DWORD dst_unused:UNUSED_PAD src0_sel:WORD_1 src1_sel:DWORD
	v_pk_fma_f16 v62, v42, v60, v40
	v_pk_fma_f16 v60, v43, v60, v41
	ds_read_b128 v[40:43], v1 offset:80
	s_waitcnt lgkmcnt(2)
	v_mul_u32_u24_sdwa v65, v44, s29 dst_sel:DWORD dst_unused:UNUSED_PAD src0_sel:WORD_0 src1_sel:DWORD
	v_mul_u32_u24_sdwa v44, v44, s29 dst_sel:DWORD dst_unused:UNUSED_PAD src0_sel:WORD_1 src1_sel:DWORD
	s_waitcnt lgkmcnt(1)
	v_pk_fma_f16 v61, v56, v65, v61
	v_pk_fma_f16 v56, v56, v44, v62
	;; [unrolled: 1-line block ×4, first 2 shown]
	v_mul_u32_u24_sdwa v57, v45, s29 dst_sel:DWORD dst_unused:UNUSED_PAD src0_sel:WORD_0 src1_sel:DWORD
	v_pk_fma_f16 v66, v58, v57, v61
	ds_read2_b64 v[60:63], v64 offset0:64 offset1:96
	v_mul_u32_u24_sdwa v45, v45, s29 dst_sel:DWORD dst_unused:UNUSED_PAD src0_sel:WORD_1 src1_sel:DWORD
	v_pk_fma_f16 v56, v58, v45, v56
	v_pk_fma_f16 v57, v59, v57, v65
	;; [unrolled: 1-line block ×3, first 2 shown]
	v_mul_u32_u24_sdwa v45, v46, s29 dst_sel:DWORD dst_unused:UNUSED_PAD src0_sel:WORD_0 src1_sel:DWORD
	v_mul_u32_u24_sdwa v46, v46, s29 dst_sel:DWORD dst_unused:UNUSED_PAD src0_sel:WORD_1 src1_sel:DWORD
	s_waitcnt lgkmcnt(0)
	v_pk_fma_f16 v58, v60, v45, v66
	v_pk_fma_f16 v56, v60, v46, v56
	v_pk_fma_f16 v57, v61, v45, v57
	v_pk_fma_f16 v59, v61, v46, v44
	v_mul_u32_u24_sdwa v60, v47, s29 dst_sel:DWORD dst_unused:UNUSED_PAD src0_sel:WORD_0 src1_sel:DWORD
	v_mul_u32_u24_sdwa v61, v47, s29 dst_sel:DWORD dst_unused:UNUSED_PAD src0_sel:WORD_1 src1_sel:DWORD
	ds_read2_b64 v[44:47], v64 offset0:128 offset1:160
	v_pk_fma_f16 v58, v62, v60, v58
	v_pk_fma_f16 v56, v62, v61, v56
	;; [unrolled: 1-line block ×4, first 2 shown]
	v_mul_u32_u24_sdwa v60, v40, s29 dst_sel:DWORD dst_unused:UNUSED_PAD src0_sel:WORD_0 src1_sel:DWORD
	v_mul_u32_u24_sdwa v40, v40, s29 dst_sel:DWORD dst_unused:UNUSED_PAD src0_sel:WORD_1 src1_sel:DWORD
	s_waitcnt lgkmcnt(0)
	v_pk_fma_f16 v58, v44, v60, v58
	v_pk_fma_f16 v44, v44, v40, v56
	;; [unrolled: 1-line block ×4, first 2 shown]
	v_mul_u32_u24_sdwa v45, v41, s29 dst_sel:DWORD dst_unused:UNUSED_PAD src0_sel:WORD_0 src1_sel:DWORD
	v_pk_fma_f16 v61, v46, v45, v58
	ds_read2_b64 v[56:59], v64 offset0:192 offset1:224
	v_mul_u32_u24_sdwa v41, v41, s29 dst_sel:DWORD dst_unused:UNUSED_PAD src0_sel:WORD_1 src1_sel:DWORD
	v_pk_fma_f16 v44, v46, v41, v44
	v_pk_fma_f16 v45, v47, v45, v60
	;; [unrolled: 1-line block ×3, first 2 shown]
	v_mul_u32_u24_sdwa v41, v42, s29 dst_sel:DWORD dst_unused:UNUSED_PAD src0_sel:WORD_0 src1_sel:DWORD
	v_mul_u32_u24_sdwa v42, v42, s29 dst_sel:DWORD dst_unused:UNUSED_PAD src0_sel:WORD_1 src1_sel:DWORD
	s_waitcnt lgkmcnt(0)
	v_pk_fma_f16 v46, v56, v41, v61
	v_pk_fma_f16 v44, v56, v42, v44
	;; [unrolled: 1-line block ×4, first 2 shown]
	v_mul_u32_u24_sdwa v40, v43, s29 dst_sel:DWORD dst_unused:UNUSED_PAD src0_sel:WORD_0 src1_sel:DWORD
	v_mul_u32_u24_sdwa v57, v43, s29 dst_sel:DWORD dst_unused:UNUSED_PAD src0_sel:WORD_1 src1_sel:DWORD
	v_pk_fma_f16 v60, v58, v40, v46
	v_pk_fma_f16 v62, v59, v40, v41
	ds_read_b128 v[40:43], v1 offset:96
	v_add_u32_e32 v64, 0x1800, v23
	v_pk_fma_f16 v61, v58, v57, v44
	ds_read2_b64 v[44:47], v64 offset1:32
	v_pk_fma_f16 v63, v59, v57, v56
	ds_read_b128 v[56:59], v1 offset:112
	s_waitcnt lgkmcnt(2)
	v_mul_u32_u24_sdwa v65, v40, s29 dst_sel:DWORD dst_unused:UNUSED_PAD src0_sel:WORD_0 src1_sel:DWORD
	v_mul_u32_u24_sdwa v40, v40, s29 dst_sel:DWORD dst_unused:UNUSED_PAD src0_sel:WORD_1 src1_sel:DWORD
	s_waitcnt lgkmcnt(1)
	v_pk_fma_f16 v60, v44, v65, v60
	v_pk_fma_f16 v44, v44, v40, v61
	v_pk_fma_f16 v65, v45, v65, v62
	v_pk_fma_f16 v40, v45, v40, v63
	v_mul_u32_u24_sdwa v45, v41, s29 dst_sel:DWORD dst_unused:UNUSED_PAD src0_sel:WORD_0 src1_sel:DWORD
	v_pk_fma_f16 v66, v46, v45, v60
	ds_read2_b64 v[60:63], v64 offset0:64 offset1:96
	v_mul_u32_u24_sdwa v41, v41, s29 dst_sel:DWORD dst_unused:UNUSED_PAD src0_sel:WORD_1 src1_sel:DWORD
	v_pk_fma_f16 v44, v46, v41, v44
	v_pk_fma_f16 v45, v47, v45, v65
	v_pk_fma_f16 v40, v47, v41, v40
	v_mul_u32_u24_sdwa v41, v42, s29 dst_sel:DWORD dst_unused:UNUSED_PAD src0_sel:WORD_0 src1_sel:DWORD
	v_mul_u32_u24_sdwa v42, v42, s29 dst_sel:DWORD dst_unused:UNUSED_PAD src0_sel:WORD_1 src1_sel:DWORD
	s_waitcnt lgkmcnt(0)
	v_pk_fma_f16 v46, v60, v41, v66
	v_pk_fma_f16 v44, v60, v42, v44
	v_pk_fma_f16 v45, v61, v41, v45
	v_pk_fma_f16 v47, v61, v42, v40
	v_mul_u32_u24_sdwa v60, v43, s29 dst_sel:DWORD dst_unused:UNUSED_PAD src0_sel:WORD_0 src1_sel:DWORD
	v_mul_u32_u24_sdwa v61, v43, s29 dst_sel:DWORD dst_unused:UNUSED_PAD src0_sel:WORD_1 src1_sel:DWORD
	ds_read2_b64 v[40:43], v64 offset0:128 offset1:160
	v_pk_fma_f16 v46, v62, v60, v46
	v_pk_fma_f16 v44, v62, v61, v44
	v_pk_fma_f16 v45, v63, v60, v45
	v_pk_fma_f16 v47, v63, v61, v47
	v_mul_u32_u24_sdwa v60, v56, s29 dst_sel:DWORD dst_unused:UNUSED_PAD src0_sel:WORD_0 src1_sel:DWORD
	v_mul_u32_u24_sdwa v56, v56, s29 dst_sel:DWORD dst_unused:UNUSED_PAD src0_sel:WORD_1 src1_sel:DWORD
	s_waitcnt lgkmcnt(0)
	v_pk_fma_f16 v46, v40, v60, v46
	v_pk_fma_f16 v40, v40, v56, v44
	v_pk_fma_f16 v60, v41, v60, v45
	v_pk_fma_f16 v41, v41, v56, v47
	v_mul_u32_u24_sdwa v56, v57, s29 dst_sel:DWORD dst_unused:UNUSED_PAD src0_sel:WORD_0 src1_sel:DWORD
	v_pk_fma_f16 v61, v42, v56, v46
	ds_read2_b64 v[44:47], v64 offset0:192 offset1:224
	v_mul_u32_u24_sdwa v57, v57, s29 dst_sel:DWORD dst_unused:UNUSED_PAD src0_sel:WORD_1 src1_sel:DWORD
	v_pk_fma_f16 v40, v42, v57, v40
	v_pk_fma_f16 v42, v43, v56, v60
	v_pk_fma_f16 v41, v43, v57, v41
	v_mul_u32_u24_sdwa v43, v58, s29 dst_sel:DWORD dst_unused:UNUSED_PAD src0_sel:WORD_0 src1_sel:DWORD
	v_mul_u32_u24_sdwa v56, v58, s29 dst_sel:DWORD dst_unused:UNUSED_PAD src0_sel:WORD_1 src1_sel:DWORD
	s_waitcnt lgkmcnt(0)
	v_pk_fma_f16 v57, v44, v43, v61
	v_pk_fma_f16 v40, v44, v56, v40
	v_pk_fma_f16 v42, v45, v43, v42
	v_pk_fma_f16 v44, v45, v56, v41
	v_mul_u32_u24_sdwa v41, v59, s29 dst_sel:DWORD dst_unused:UNUSED_PAD src0_sel:WORD_0 src1_sel:DWORD
	v_mul_u32_u24_sdwa v45, v59, s29 dst_sel:DWORD dst_unused:UNUSED_PAD src0_sel:WORD_1 src1_sel:DWORD
	v_pk_fma_f16 v60, v46, v41, v57
	v_pk_fma_f16 v61, v46, v45, v40
	v_pk_fma_f16 v62, v47, v41, v42
	ds_read_b128 v[40:43], v1 offset:128
	v_add_u32_e32 v64, 0x2000, v23
	ds_read2_b64 v[56:59], v64 offset1:32
	v_pk_fma_f16 v63, v47, v45, v44
	ds_read_b128 v[44:47], v1 offset:144
	s_waitcnt lgkmcnt(2)
	v_mul_u32_u24_sdwa v65, v40, s29 dst_sel:DWORD dst_unused:UNUSED_PAD src0_sel:WORD_0 src1_sel:DWORD
	v_mul_u32_u24_sdwa v40, v40, s29 dst_sel:DWORD dst_unused:UNUSED_PAD src0_sel:WORD_1 src1_sel:DWORD
	s_waitcnt lgkmcnt(1)
	v_pk_fma_f16 v60, v56, v65, v60
	v_pk_fma_f16 v56, v56, v40, v61
	v_pk_fma_f16 v65, v57, v65, v62
	v_pk_fma_f16 v40, v57, v40, v63
	v_mul_u32_u24_sdwa v57, v41, s29 dst_sel:DWORD dst_unused:UNUSED_PAD src0_sel:WORD_0 src1_sel:DWORD
	v_pk_fma_f16 v66, v58, v57, v60
	ds_read2_b64 v[60:63], v64 offset0:64 offset1:96
	v_mul_u32_u24_sdwa v41, v41, s29 dst_sel:DWORD dst_unused:UNUSED_PAD src0_sel:WORD_1 src1_sel:DWORD
	v_pk_fma_f16 v56, v58, v41, v56
	v_pk_fma_f16 v57, v59, v57, v65
	v_pk_fma_f16 v40, v59, v41, v40
	v_mul_u32_u24_sdwa v41, v42, s29 dst_sel:DWORD dst_unused:UNUSED_PAD src0_sel:WORD_0 src1_sel:DWORD
	v_mul_u32_u24_sdwa v42, v42, s29 dst_sel:DWORD dst_unused:UNUSED_PAD src0_sel:WORD_1 src1_sel:DWORD
	s_waitcnt lgkmcnt(0)
	v_pk_fma_f16 v58, v60, v41, v66
	v_pk_fma_f16 v56, v60, v42, v56
	v_pk_fma_f16 v57, v61, v41, v57
	v_pk_fma_f16 v59, v61, v42, v40
	v_mul_u32_u24_sdwa v60, v43, s29 dst_sel:DWORD dst_unused:UNUSED_PAD src0_sel:WORD_0 src1_sel:DWORD
	v_mul_u32_u24_sdwa v61, v43, s29 dst_sel:DWORD dst_unused:UNUSED_PAD src0_sel:WORD_1 src1_sel:DWORD
	ds_read2_b64 v[40:43], v64 offset0:128 offset1:160
	v_pk_fma_f16 v58, v62, v60, v58
	v_pk_fma_f16 v56, v62, v61, v56
	v_pk_fma_f16 v57, v63, v60, v57
	v_pk_fma_f16 v59, v63, v61, v59
	v_mul_u32_u24_sdwa v60, v44, s29 dst_sel:DWORD dst_unused:UNUSED_PAD src0_sel:WORD_0 src1_sel:DWORD
	v_mul_u32_u24_sdwa v44, v44, s29 dst_sel:DWORD dst_unused:UNUSED_PAD src0_sel:WORD_1 src1_sel:DWORD
	s_waitcnt lgkmcnt(0)
	v_pk_fma_f16 v58, v40, v60, v58
	v_pk_fma_f16 v40, v40, v44, v56
	v_pk_fma_f16 v60, v41, v60, v57
	v_pk_fma_f16 v41, v41, v44, v59
	v_mul_u32_u24_sdwa v44, v45, s29 dst_sel:DWORD dst_unused:UNUSED_PAD src0_sel:WORD_0 src1_sel:DWORD
	v_pk_fma_f16 v61, v42, v44, v58
	ds_read2_b64 v[56:59], v64 offset0:192 offset1:224
	v_mul_u32_u24_sdwa v45, v45, s29 dst_sel:DWORD dst_unused:UNUSED_PAD src0_sel:WORD_1 src1_sel:DWORD
	v_pk_fma_f16 v40, v42, v45, v40
	v_pk_fma_f16 v42, v43, v44, v60
	v_pk_fma_f16 v41, v43, v45, v41
	v_mul_u32_u24_sdwa v43, v46, s29 dst_sel:DWORD dst_unused:UNUSED_PAD src0_sel:WORD_0 src1_sel:DWORD
	v_mul_u32_u24_sdwa v44, v46, s29 dst_sel:DWORD dst_unused:UNUSED_PAD src0_sel:WORD_1 src1_sel:DWORD
	s_waitcnt lgkmcnt(0)
	v_pk_fma_f16 v45, v56, v43, v61
	v_pk_fma_f16 v40, v56, v44, v40
	v_pk_fma_f16 v42, v57, v43, v42
	v_pk_fma_f16 v56, v57, v44, v41
	v_mul_u32_u24_sdwa v41, v47, s29 dst_sel:DWORD dst_unused:UNUSED_PAD src0_sel:WORD_0 src1_sel:DWORD
	v_mul_u32_u24_sdwa v57, v47, s29 dst_sel:DWORD dst_unused:UNUSED_PAD src0_sel:WORD_1 src1_sel:DWORD
	v_pk_fma_f16 v60, v58, v41, v45
	v_pk_fma_f16 v61, v58, v57, v40
	v_pk_fma_f16 v62, v59, v41, v42
	ds_read_b128 v[40:43], v1 offset:160
	v_add_u32_e32 v64, 0x2800, v23
	;; [unrolled: 60-line block ×4, first 2 shown]
	ds_read2_b64 v[44:47], v64 offset1:32
	v_pk_fma_f16 v63, v59, v57, v56
	ds_read_b128 v[56:59], v1 offset:240
	s_waitcnt lgkmcnt(2)
	v_mul_u32_u24_sdwa v65, v40, s29 dst_sel:DWORD dst_unused:UNUSED_PAD src0_sel:WORD_0 src1_sel:DWORD
	v_mul_u32_u24_sdwa v40, v40, s29 dst_sel:DWORD dst_unused:UNUSED_PAD src0_sel:WORD_1 src1_sel:DWORD
	s_waitcnt lgkmcnt(1)
	v_pk_fma_f16 v60, v44, v65, v60
	v_pk_fma_f16 v44, v44, v40, v61
	;; [unrolled: 1-line block ×4, first 2 shown]
	v_mul_u32_u24_sdwa v45, v41, s29 dst_sel:DWORD dst_unused:UNUSED_PAD src0_sel:WORD_0 src1_sel:DWORD
	v_pk_fma_f16 v66, v46, v45, v60
	ds_read2_b64 v[60:63], v64 offset0:64 offset1:96
	v_mul_u32_u24_sdwa v41, v41, s29 dst_sel:DWORD dst_unused:UNUSED_PAD src0_sel:WORD_1 src1_sel:DWORD
	v_pk_fma_f16 v44, v46, v41, v44
	v_pk_fma_f16 v45, v47, v45, v65
	;; [unrolled: 1-line block ×3, first 2 shown]
	v_mul_u32_u24_sdwa v41, v42, s29 dst_sel:DWORD dst_unused:UNUSED_PAD src0_sel:WORD_0 src1_sel:DWORD
	v_mul_u32_u24_sdwa v42, v42, s29 dst_sel:DWORD dst_unused:UNUSED_PAD src0_sel:WORD_1 src1_sel:DWORD
	s_waitcnt lgkmcnt(0)
	v_pk_fma_f16 v46, v60, v41, v66
	v_pk_fma_f16 v44, v60, v42, v44
	;; [unrolled: 1-line block ×4, first 2 shown]
	v_mul_u32_u24_sdwa v60, v43, s29 dst_sel:DWORD dst_unused:UNUSED_PAD src0_sel:WORD_0 src1_sel:DWORD
	v_mul_u32_u24_sdwa v61, v43, s29 dst_sel:DWORD dst_unused:UNUSED_PAD src0_sel:WORD_1 src1_sel:DWORD
	ds_read2_b64 v[40:43], v64 offset0:128 offset1:160
	v_pk_fma_f16 v46, v62, v60, v46
	v_pk_fma_f16 v44, v62, v61, v44
	;; [unrolled: 1-line block ×4, first 2 shown]
	v_mul_u32_u24_sdwa v60, v56, s29 dst_sel:DWORD dst_unused:UNUSED_PAD src0_sel:WORD_0 src1_sel:DWORD
	v_mul_u32_u24_sdwa v56, v56, s29 dst_sel:DWORD dst_unused:UNUSED_PAD src0_sel:WORD_1 src1_sel:DWORD
	s_waitcnt lgkmcnt(0)
	v_pk_fma_f16 v46, v40, v60, v46
	v_pk_fma_f16 v40, v40, v56, v44
	;; [unrolled: 1-line block ×4, first 2 shown]
	v_mul_u32_u24_sdwa v56, v57, s29 dst_sel:DWORD dst_unused:UNUSED_PAD src0_sel:WORD_0 src1_sel:DWORD
	v_pk_fma_f16 v61, v42, v56, v46
	ds_read2_b64 v[44:47], v64 offset0:192 offset1:224
	s_waitcnt lgkmcnt(0)
	s_barrier
	s_load_dword s8, s[0:1], 0x4
	v_mul_u32_u24_sdwa v57, v57, s29 dst_sel:DWORD dst_unused:UNUSED_PAD src0_sel:WORD_1 src1_sel:DWORD
	v_pk_fma_f16 v40, v42, v57, v40
	v_pk_fma_f16 v42, v43, v56, v60
	;; [unrolled: 1-line block ×3, first 2 shown]
	v_mul_u32_u24_sdwa v43, v58, s29 dst_sel:DWORD dst_unused:UNUSED_PAD src0_sel:WORD_0 src1_sel:DWORD
	v_mul_u32_u24_sdwa v56, v58, s29 dst_sel:DWORD dst_unused:UNUSED_PAD src0_sel:WORD_1 src1_sel:DWORD
	s_waitcnt lgkmcnt(0)
	s_lshl_b32 s8, s8, 6
	v_pk_fma_f16 v57, v44, v43, v61
	v_pk_fma_f16 v40, v44, v56, v40
	;; [unrolled: 1-line block ×4, first 2 shown]
	v_mul_u32_u24_sdwa v45, v59, s29 dst_sel:DWORD dst_unused:UNUSED_PAD src0_sel:WORD_0 src1_sel:DWORD
	v_mul_u32_u24_sdwa v56, v59, s29 dst_sel:DWORD dst_unused:UNUSED_PAD src0_sel:WORD_1 src1_sel:DWORD
	s_add_i32 s6, s8, s6
	v_pk_fma_f16 v42, v46, v45, v57
	v_pk_fma_f16 v41, v46, v56, v40
	;; [unrolled: 1-line block ×3, first 2 shown]
	s_cmp_ge_i32 s6, s30
	v_pk_fma_f16 v40, v47, v56, v44
	s_cbranch_scc1 .LBB82_7
; %bb.29:                               ;   in Loop: Header=BB82_12 Depth=1
	v_mov_b32_e32 v47, v19
	v_mov_b32_e32 v45, v20
	;; [unrolled: 1-line block ×4, first 2 shown]
	s_branch .LBB82_12
.LBB82_30:
	v_mov_b32_e32 v4, v2
	v_mov_b32_e32 v3, v1
	v_cmp_gt_i32_e32 vcc, s2, v21
	s_and_saveexec_b64 s[0:1], vcc
	s_cbranch_execz .LBB82_9
.LBB82_31:
	s_load_dword s6, s[4:5], 0xd4
	v_mov_b32_e32 v5, 1.0
	s_waitcnt lgkmcnt(0)
	s_cmp_lg_u32 s6, 1
	s_cselect_b64 s[0:1], -1, 0
	s_cmp_eq_u32 s6, 1
	s_cselect_b64 s[4:5], -1, 0
	s_and_b64 vcc, exec, s[0:1]
	s_cbranch_vccnz .LBB82_33
; %bb.32:
	v_div_scale_f32 v5, s[8:9], v1, v1, 1.0
	v_div_scale_f32 v6, vcc, 1.0, v1, 1.0
	v_rcp_f32_e32 v7, v5
	v_fma_f32 v8, -v5, v7, 1.0
	v_fmac_f32_e32 v7, v8, v7
	v_mul_f32_e32 v8, v6, v7
	v_fma_f32 v9, -v5, v8, v6
	v_fmac_f32_e32 v8, v9, v7
	v_fma_f32 v5, -v5, v8, v6
	v_div_fmas_f32 v5, v5, v7, v8
	v_div_fixup_f32 v5, v5, v1, 1.0
.LBB82_33:
	s_mul_i32 s33, s33, s2
	v_add_u32_e32 v1, s33, v21
	v_mul_lo_u32 v1, v1, s3
	v_cmp_eq_u32_e32 vcc, 0, v0
	v_mov_b32_e32 v11, 0
	v_cvt_f32_f16_e32 v6, v42
	v_add_u32_e32 v0, s28, v1
	v_mul_lo_u32 v0, s6, v0
	v_cvt_f32_f16_sdwa v1, v42 dst_sel:DWORD dst_unused:UNUSED_PAD src0_sel:WORD_1
	v_cvt_f32_f16_e32 v8, v43
	v_cvt_f32_f16_sdwa v9, v43 dst_sel:DWORD dst_unused:UNUSED_PAD src0_sel:WORD_1
	v_add_u32_e32 v0, s7, v0
	v_lshl_add_u32 v10, v0, 7, v22
	v_lshlrev_b64 v[10:11], 2, v[10:11]
	s_and_b64 s[0:1], vcc, s[0:1]
	v_mul_f32_e32 v7, v5, v1
	v_mov_b32_e32 v1, s21
	v_add_co_u32_e32 v10, vcc, s20, v10
	v_mul_f32_e32 v6, v5, v6
	v_mul_f32_e32 v8, v5, v8
	;; [unrolled: 1-line block ×3, first 2 shown]
	v_addc_co_u32_e32 v11, vcc, v1, v11, vcc
	global_store_dwordx4 v[10:11], v[6:9], off
	s_and_saveexec_b64 s[2:3], s[0:1]
	s_cbranch_execz .LBB82_35
; %bb.34:
	v_ashrrev_i32_e32 v1, 31, v0
	v_lshlrev_b64 v[5:6], 3, v[0:1]
	v_mov_b32_e32 v1, s23
	v_add_co_u32_e32 v5, vcc, s22, v5
	v_addc_co_u32_e32 v6, vcc, v1, v6, vcc
	v_mov_b32_e32 v7, v19
	v_mov_b32_e32 v8, v3
	global_store_dwordx2 v[5:6], v[7:8], off
.LBB82_35:
	s_or_b64 exec, exec, s[2:3]
	s_andn2_b64 vcc, exec, s[4:5]
	v_mov_b32_e32 v1, 1.0
	s_cbranch_vccnz .LBB82_37
; %bb.36:
	v_div_scale_f32 v1, s[2:3], v2, v2, 1.0
	v_div_scale_f32 v3, vcc, 1.0, v2, 1.0
	v_rcp_f32_e32 v5, v1
	v_fma_f32 v6, -v1, v5, 1.0
	v_fmac_f32_e32 v5, v6, v5
	v_mul_f32_e32 v6, v3, v5
	v_fma_f32 v7, -v1, v6, v3
	v_fmac_f32_e32 v6, v7, v5
	v_fma_f32 v1, -v1, v6, v3
	v_div_fmas_f32 v1, v1, v5, v6
	v_div_fixup_f32 v1, v1, v2, 1.0
.LBB82_37:
	v_cvt_f32_f16_e32 v5, v41
	v_cvt_f32_f16_sdwa v6, v41 dst_sel:DWORD dst_unused:UNUSED_PAD src0_sel:WORD_1
	v_cvt_f32_f16_e32 v7, v40
	v_cvt_f32_f16_sdwa v8, v40 dst_sel:DWORD dst_unused:UNUSED_PAD src0_sel:WORD_1
	v_add_u32_e32 v0, s6, v0
	v_lshl_add_u32 v2, v0, 7, v22
	v_mov_b32_e32 v3, 0
	v_mul_f32_e32 v5, v1, v5
	v_mul_f32_e32 v6, v1, v6
	;; [unrolled: 1-line block ×4, first 2 shown]
	v_lshlrev_b64 v[1:2], 2, v[2:3]
	v_mov_b32_e32 v3, s21
	v_add_co_u32_e32 v1, vcc, s20, v1
	v_addc_co_u32_e32 v2, vcc, v3, v2, vcc
	global_store_dwordx4 v[1:2], v[5:8], off
	s_and_b64 exec, exec, s[0:1]
	s_cbranch_execz .LBB82_9
; %bb.38:
	v_ashrrev_i32_e32 v1, 31, v0
	v_lshlrev_b64 v[0:1], 3, v[0:1]
	v_mov_b32_e32 v2, s23
	v_add_co_u32_e32 v0, vcc, s22, v0
	v_addc_co_u32_e32 v1, vcc, v2, v1, vcc
	v_mov_b32_e32 v3, v20
	global_store_dwordx2 v[0:1], v[3:4], off
	s_endpgm
	.section	.rodata,"a",@progbits
	.p2align	6, 0x0
	.amdhsa_kernel _ZL15flash_attn_tileILi128ELi128ELi8ELi2ELb1EEvPKcS1_S1_S1_S1_PKiPfP15HIP_vector_typeIfLj2EEffffjfiS5_IjLj3EEiiiiiiiiiiiliiliiiiil
		.amdhsa_group_segment_fixed_size 23552
		.amdhsa_private_segment_fixed_size 0
		.amdhsa_kernarg_size 464
		.amdhsa_user_sgpr_count 6
		.amdhsa_user_sgpr_private_segment_buffer 1
		.amdhsa_user_sgpr_dispatch_ptr 0
		.amdhsa_user_sgpr_queue_ptr 0
		.amdhsa_user_sgpr_kernarg_segment_ptr 1
		.amdhsa_user_sgpr_dispatch_id 0
		.amdhsa_user_sgpr_flat_scratch_init 0
		.amdhsa_user_sgpr_private_segment_size 0
		.amdhsa_uses_dynamic_stack 0
		.amdhsa_system_sgpr_private_segment_wavefront_offset 0
		.amdhsa_system_sgpr_workgroup_id_x 1
		.amdhsa_system_sgpr_workgroup_id_y 1
		.amdhsa_system_sgpr_workgroup_id_z 1
		.amdhsa_system_sgpr_workgroup_info 0
		.amdhsa_system_vgpr_workitem_id 1
		.amdhsa_next_free_vgpr 85
		.amdhsa_next_free_sgpr 98
		.amdhsa_reserve_vcc 1
		.amdhsa_reserve_flat_scratch 0
		.amdhsa_float_round_mode_32 0
		.amdhsa_float_round_mode_16_64 0
		.amdhsa_float_denorm_mode_32 3
		.amdhsa_float_denorm_mode_16_64 3
		.amdhsa_dx10_clamp 1
		.amdhsa_ieee_mode 1
		.amdhsa_fp16_overflow 0
		.amdhsa_exception_fp_ieee_invalid_op 0
		.amdhsa_exception_fp_denorm_src 0
		.amdhsa_exception_fp_ieee_div_zero 0
		.amdhsa_exception_fp_ieee_overflow 0
		.amdhsa_exception_fp_ieee_underflow 0
		.amdhsa_exception_fp_ieee_inexact 0
		.amdhsa_exception_int_div_zero 0
	.end_amdhsa_kernel
	.section	.text._ZL15flash_attn_tileILi128ELi128ELi8ELi2ELb1EEvPKcS1_S1_S1_S1_PKiPfP15HIP_vector_typeIfLj2EEffffjfiS5_IjLj3EEiiiiiiiiiiiliiliiiiil,"axG",@progbits,_ZL15flash_attn_tileILi128ELi128ELi8ELi2ELb1EEvPKcS1_S1_S1_S1_PKiPfP15HIP_vector_typeIfLj2EEffffjfiS5_IjLj3EEiiiiiiiiiiiliiliiiiil,comdat
.Lfunc_end82:
	.size	_ZL15flash_attn_tileILi128ELi128ELi8ELi2ELb1EEvPKcS1_S1_S1_S1_PKiPfP15HIP_vector_typeIfLj2EEffffjfiS5_IjLj3EEiiiiiiiiiiiliiliiiiil, .Lfunc_end82-_ZL15flash_attn_tileILi128ELi128ELi8ELi2ELb1EEvPKcS1_S1_S1_S1_PKiPfP15HIP_vector_typeIfLj2EEffffjfiS5_IjLj3EEiiiiiiiiiiiliiliiiiil
                                        ; -- End function
	.set _ZL15flash_attn_tileILi128ELi128ELi8ELi2ELb1EEvPKcS1_S1_S1_S1_PKiPfP15HIP_vector_typeIfLj2EEffffjfiS5_IjLj3EEiiiiiiiiiiiliiliiiiil.num_vgpr, 79
	.set _ZL15flash_attn_tileILi128ELi128ELi8ELi2ELb1EEvPKcS1_S1_S1_S1_PKiPfP15HIP_vector_typeIfLj2EEffffjfiS5_IjLj3EEiiiiiiiiiiiliiliiiiil.num_agpr, 0
	.set _ZL15flash_attn_tileILi128ELi128ELi8ELi2ELb1EEvPKcS1_S1_S1_S1_PKiPfP15HIP_vector_typeIfLj2EEffffjfiS5_IjLj3EEiiiiiiiiiiiliiliiiiil.numbered_sgpr, 40
	.set _ZL15flash_attn_tileILi128ELi128ELi8ELi2ELb1EEvPKcS1_S1_S1_S1_PKiPfP15HIP_vector_typeIfLj2EEffffjfiS5_IjLj3EEiiiiiiiiiiiliiliiiiil.num_named_barrier, 0
	.set _ZL15flash_attn_tileILi128ELi128ELi8ELi2ELb1EEvPKcS1_S1_S1_S1_PKiPfP15HIP_vector_typeIfLj2EEffffjfiS5_IjLj3EEiiiiiiiiiiiliiliiiiil.private_seg_size, 0
	.set _ZL15flash_attn_tileILi128ELi128ELi8ELi2ELb1EEvPKcS1_S1_S1_S1_PKiPfP15HIP_vector_typeIfLj2EEffffjfiS5_IjLj3EEiiiiiiiiiiiliiliiiiil.uses_vcc, 1
	.set _ZL15flash_attn_tileILi128ELi128ELi8ELi2ELb1EEvPKcS1_S1_S1_S1_PKiPfP15HIP_vector_typeIfLj2EEffffjfiS5_IjLj3EEiiiiiiiiiiiliiliiiiil.uses_flat_scratch, 0
	.set _ZL15flash_attn_tileILi128ELi128ELi8ELi2ELb1EEvPKcS1_S1_S1_S1_PKiPfP15HIP_vector_typeIfLj2EEffffjfiS5_IjLj3EEiiiiiiiiiiiliiliiiiil.has_dyn_sized_stack, 0
	.set _ZL15flash_attn_tileILi128ELi128ELi8ELi2ELb1EEvPKcS1_S1_S1_S1_PKiPfP15HIP_vector_typeIfLj2EEffffjfiS5_IjLj3EEiiiiiiiiiiiliiliiiiil.has_recursion, 0
	.set _ZL15flash_attn_tileILi128ELi128ELi8ELi2ELb1EEvPKcS1_S1_S1_S1_PKiPfP15HIP_vector_typeIfLj2EEffffjfiS5_IjLj3EEiiiiiiiiiiiliiliiiiil.has_indirect_call, 0
	.section	.AMDGPU.csdata,"",@progbits
; Kernel info:
; codeLenInByte = 11420
; TotalNumSgprs: 44
; NumVgprs: 79
; ScratchSize: 0
; MemoryBound: 0
; FloatMode: 240
; IeeeMode: 1
; LDSByteSize: 23552 bytes/workgroup (compile time only)
; SGPRBlocks: 12
; VGPRBlocks: 21
; NumSGPRsForWavesPerEU: 102
; NumVGPRsForWavesPerEU: 85
; Occupancy: 2
; WaveLimiterHint : 1
; COMPUTE_PGM_RSRC2:SCRATCH_EN: 0
; COMPUTE_PGM_RSRC2:USER_SGPR: 6
; COMPUTE_PGM_RSRC2:TRAP_HANDLER: 0
; COMPUTE_PGM_RSRC2:TGID_X_EN: 1
; COMPUTE_PGM_RSRC2:TGID_Y_EN: 1
; COMPUTE_PGM_RSRC2:TGID_Z_EN: 1
; COMPUTE_PGM_RSRC2:TIDIG_COMP_CNT: 1
	.section	.text._ZL15flash_attn_tileILi128ELi128ELi4ELi2ELb1EEvPKcS1_S1_S1_S1_PKiPfP15HIP_vector_typeIfLj2EEffffjfiS5_IjLj3EEiiiiiiiiiiiliiliiiiil,"axG",@progbits,_ZL15flash_attn_tileILi128ELi128ELi4ELi2ELb1EEvPKcS1_S1_S1_S1_PKiPfP15HIP_vector_typeIfLj2EEffffjfiS5_IjLj3EEiiiiiiiiiiiliiliiiiil,comdat
	.globl	_ZL15flash_attn_tileILi128ELi128ELi4ELi2ELb1EEvPKcS1_S1_S1_S1_PKiPfP15HIP_vector_typeIfLj2EEffffjfiS5_IjLj3EEiiiiiiiiiiiliiliiiiil ; -- Begin function _ZL15flash_attn_tileILi128ELi128ELi4ELi2ELb1EEvPKcS1_S1_S1_S1_PKiPfP15HIP_vector_typeIfLj2EEffffjfiS5_IjLj3EEiiiiiiiiiiiliiliiiiil
	.p2align	8
	.type	_ZL15flash_attn_tileILi128ELi128ELi4ELi2ELb1EEvPKcS1_S1_S1_S1_PKiPfP15HIP_vector_typeIfLj2EEffffjfiS5_IjLj3EEiiiiiiiiiiiliiliiiiil,@function
_ZL15flash_attn_tileILi128ELi128ELi4ELi2ELb1EEvPKcS1_S1_S1_S1_PKiPfP15HIP_vector_typeIfLj2EEffffjfiS5_IjLj3EEiiiiiiiiiiiliiliiiiil: ; @_ZL15flash_attn_tileILi128ELi128ELi4ELi2ELb1EEvPKcS1_S1_S1_S1_PKiPfP15HIP_vector_typeIfLj2EEffffjfiS5_IjLj3EEiiiiiiiiiiiliiliiiiil
; %bb.0:
	s_load_dwordx4 s[0:3], s[4:5], 0x5c
	s_load_dwordx2 s[28:29], s[4:5], 0x80
	s_load_dwordx2 s[34:35], s[4:5], 0xb8
	s_mov_b64 s[30:31], 0
	s_waitcnt lgkmcnt(0)
	s_lshr_b32 s9, s3, 31
	s_add_i32 s9, s3, s9
	s_ashr_i32 s9, s9, 1
	v_cvt_f32_u32_e32 v2, s9
	s_sub_i32 s10, 0, s9
	v_rcp_iflag_f32_e32 v2, v2
	v_mul_f32_e32 v2, 0x4f7ffffe, v2
	v_cvt_u32_f32_e32 v2, v2
	v_readfirstlane_b32 s11, v2
	s_mul_i32 s10, s10, s11
	s_mul_hi_u32 s10, s11, s10
	s_add_i32 s11, s11, s10
	s_mul_hi_u32 s10, s8, s11
	s_mul_i32 s11, s10, s9
	s_sub_i32 s11, s8, s11
	s_add_i32 s12, s10, 1
	s_sub_i32 s13, s11, s9
	s_cmp_ge_u32 s11, s9
	s_cselect_b32 s10, s12, s10
	s_cselect_b32 s11, s13, s11
	s_add_i32 s12, s10, 1
	s_cmp_ge_u32 s11, s9
	s_cselect_b32 s33, s12, s10
	s_abs_i32 s9, s29
	v_cvt_f32_u32_e32 v2, s9
	s_lshl_b32 s8, s8, 1
	s_mul_i32 s12, s33, s3
	s_xor_b32 s10, s3, s29
	v_rcp_iflag_f32_e32 v2, v2
	s_sub_i32 s13, 0, s9
	s_sub_i32 s29, s8, s12
	s_abs_i32 s11, s3
	v_mul_f32_e32 v2, 0x4f7ffffe, v2
	v_cvt_u32_f32_e32 v2, v2
	s_ashr_i32 s10, s10, 31
	v_readfirstlane_b32 s8, v2
	s_mul_i32 s13, s13, s8
	s_mul_hi_u32 s12, s8, s13
	s_add_i32 s8, s8, s12
	s_mul_hi_u32 s8, s11, s8
	s_mul_i32 s12, s8, s9
	s_sub_i32 s11, s11, s12
	s_add_i32 s13, s8, 1
	s_sub_i32 s12, s11, s9
	s_cmp_ge_u32 s11, s9
	s_cselect_b32 s8, s13, s8
	s_cselect_b32 s11, s12, s11
	s_add_i32 s12, s8, 1
	s_cmp_ge_u32 s11, s9
	s_cselect_b32 s8, s12, s8
	s_xor_b32 s8, s8, s10
	s_sub_i32 s37, s8, s10
	s_abs_i32 s36, s37
	v_cvt_f32_u32_e32 v2, s36
	s_load_dwordx16 s[8:23], s[4:5], 0x0
	v_rcp_iflag_f32_e32 v2, v2
	s_waitcnt lgkmcnt(0)
	s_cmp_eq_u64 s[14:15], 0
	v_mul_f32_e32 v2, 0x4f7ffffe, v2
	v_cvt_u32_f32_e32 v2, v2
	v_readfirstlane_b32 s38, v2
	s_cbranch_scc1 .LBB83_2
; %bb.1:
	s_abs_i32 s26, s34
	v_cvt_f32_u32_e32 v2, s26
	s_sub_i32 s31, 0, s26
	s_abs_i32 s30, s33
	s_ashr_i32 s27, s33, 31
	v_rcp_iflag_f32_e32 v2, v2
	s_load_dwordx2 s[24:25], s[4:5], 0xc8
	v_mul_f32_e32 v2, 0x4f7ffffe, v2
	v_cvt_u32_f32_e32 v2, v2
	v_readfirstlane_b32 s34, v2
	s_mul_i32 s31, s31, s34
	s_mul_hi_u32 s31, s34, s31
	s_add_i32 s34, s34, s31
	s_mul_hi_u32 s31, s30, s34
	s_mul_i32 s31, s31, s26
	s_sub_i32 s30, s30, s31
	s_sub_i32 s31, s30, s26
	s_cmp_ge_u32 s30, s26
	s_cselect_b32 s30, s31, s30
	s_sub_i32 s31, s30, s26
	s_cmp_ge_u32 s30, s26
	s_cselect_b32 s26, s31, s30
	s_xor_b32 s26, s26, s27
	s_sub_i32 s26, s26, s27
	s_ashr_i32 s27, s26, 31
	s_waitcnt lgkmcnt(0)
	s_mul_hi_u32 s30, s24, s26
	s_mul_i32 s27, s24, s27
	s_mul_i32 s25, s25, s26
	s_add_i32 s27, s30, s27
	s_add_i32 s27, s27, s25
	s_mul_i32 s24, s24, s26
	s_add_u32 s30, s14, s24
	s_addc_u32 s31, s15, s27
.LBB83_2:
	v_lshrrev_b32_e32 v2, 1, v1
	s_load_dwordx4 s[24:27], s[4:5], 0x70
	v_lshl_add_u32 v22, s6, 2, v2
	v_mul_hi_u32 v2, s0, v22
	v_and_b32_e32 v21, 1, v1
	v_lshlrev_b32_e32 v24, 3, v0
	s_waitcnt lgkmcnt(0)
	s_mul_i32 s0, s33, s26
	v_add_u32_e32 v2, v22, v2
	s_ashr_i32 s15, s0, 31
	v_lshrrev_b32_e32 v2, s1, v2
	s_mul_i32 s14, s29, s25
	s_add_u32 s0, s8, s0
	v_mul_lo_u32 v2, v2, s2
	s_addc_u32 s8, s9, s15
	s_ashr_i32 s9, s14, 31
	s_add_u32 s14, s0, s14
	s_addc_u32 s15, s8, s9
	s_ashr_i32 s1, s25, 31
	s_mov_b32 s0, s25
	s_ashr_i32 s25, s24, 31
	v_sub_u32_e32 v2, v22, v2
	s_lshr_b64 s[8:9], s[24:25], 2
	v_mad_u64_u32 v[3:4], s[8:9], s8, v2, 0
	s_lshr_b64 s[8:9], s[0:1], 2
	s_lshr_b32 s0, s1, 2
	v_mul_lo_u32 v6, s0, v21
	s_lshr_b32 s0, s25, 2
	v_mad_u64_u32 v[4:5], s[0:1], s0, v2, v[4:5]
	v_mul_lo_u32 v5, s8, v21
	v_mov_b32_e32 v7, s15
	v_lshlrev_b64 v[3:4], 2, v[3:4]
	s_load_dword s0, s[4:5], 0x40
	v_lshlrev_b64 v[5:6], 2, v[5:6]
	s_cmp_eq_u64 s[18:19], 0
	v_add_co_u32_e32 v5, vcc, s14, v5
	v_addc_co_u32_e32 v6, vcc, v7, v6, vcc
	v_add_co_u32_e32 v3, vcc, v5, v3
	v_addc_co_u32_e32 v4, vcc, v6, v4, vcc
	v_lshlrev_b32_e32 v5, 4, v0
	v_add_co_u32_e32 v3, vcc, v3, v5
	v_addc_co_u32_e32 v4, vcc, 0, v4, vcc
	global_load_dwordx4 v[3:6], v[3:4], off
	v_mov_b32_e32 v7, 0x4400
	v_lshl_add_u32 v25, v1, 8, v7
	v_add_u32_e32 v7, v25, v24
	s_waitcnt vmcnt(0) lgkmcnt(0)
	v_fma_mixlo_f16 v3, s0, v3, 0
	v_fma_mixlo_f16 v4, s0, v4, 0
	;; [unrolled: 1-line block ×4, first 2 shown]
	v_lshlrev_b32_e32 v4, 16, v4
	v_and_b32_e32 v3, 0xffff, v3
	v_lshlrev_b32_e32 v6, 16, v6
	v_and_b32_e32 v5, 0xffff, v5
	v_or_b32_e32 v3, v4, v3
	v_or3_b32 v4, v6, v5, 0
	v_or3_b32 v3, 0, 0, v3
	ds_write_b64 v7, v[3:4]
	s_waitcnt lgkmcnt(0)
	s_barrier
	s_cbranch_scc1 .LBB83_4
; %bb.3:
	s_load_dword s0, s[4:5], 0xd0
	s_mov_b32 s1, 0
	s_waitcnt lgkmcnt(0)
	s_mul_i32 s0, s0, s33
	s_add_i32 s0, s0, s6
	s_lshl_b64 s[0:1], s[0:1], 2
	s_add_u32 s0, s18, s0
	s_addc_u32 s1, s19, s1
	s_load_dword s28, s[0:1], 0x0
.LBB83_4:
	s_lshl_b32 s6, s7, 6
	s_waitcnt lgkmcnt(0)
	s_cmp_lt_i32 s6, s28
	v_mbcnt_lo_u32_b32 v44, -1, 0
	s_cbranch_scc1 .LBB83_13
; %bb.5:
	v_mbcnt_hi_u32_b32 v26, -1, v44
	v_and_b32_e32 v3, 0x60, v26
	v_add_u32_e32 v48, 32, v3
	v_xor_b32_e32 v47, 16, v26
	v_xor_b32_e32 v20, 8, v26
	;; [unrolled: 1-line block ×5, first 2 shown]
	v_lshlrev_b32_e32 v23, 2, v0
	s_cbranch_execz .LBB83_14
; %bb.6:
	v_mov_b32_e32 v44, 0
	v_mov_b32_e32 v51, 0
	;; [unrolled: 1-line block ×4, first 2 shown]
.LBB83_7:
	v_cmp_lt_i32_e32 vcc, v47, v48
	v_cndmask_b32_e32 v2, v26, v47, vcc
	v_lshlrev_b32_e32 v2, 2, v2
	ds_bpermute_b32 v2, v2, v51
	v_cmp_lt_i32_e32 vcc, v20, v48
	v_cndmask_b32_e32 v3, v26, v20, vcc
	v_lshlrev_b32_e32 v3, 2, v3
	v_cmp_lt_i32_e32 vcc, v19, v48
	s_waitcnt lgkmcnt(0)
	v_add_f32_e32 v2, v51, v2
	ds_bpermute_b32 v3, v3, v2
	v_cndmask_b32_e32 v4, v26, v19, vcc
	v_lshlrev_b32_e32 v4, 2, v4
	v_cmp_lt_i32_e32 vcc, v49, v48
	s_cmp_lg_u64 s[16:17], 0
	s_waitcnt lgkmcnt(0)
	v_add_f32_e32 v2, v2, v3
	ds_bpermute_b32 v3, v4, v2
	v_cndmask_b32_e32 v4, v26, v49, vcc
	v_lshlrev_b32_e32 v4, 2, v4
	v_cmp_lt_i32_e32 vcc, v50, v48
	s_cselect_b64 s[0:1], -1, 0
	s_waitcnt lgkmcnt(0)
	v_add_f32_e32 v2, v2, v3
	ds_bpermute_b32 v3, v4, v2
	v_cndmask_b32_e32 v4, v26, v50, vcc
	v_lshlrev_b32_e32 v4, 2, v4
	s_cmp_eq_u32 s7, 0
	s_cselect_b64 s[8:9], -1, 0
	s_waitcnt lgkmcnt(0)
	v_add_f32_e32 v2, v2, v3
	ds_bpermute_b32 v3, v4, v2
	s_and_b64 s[0:1], s[8:9], s[0:1]
	s_and_b64 vcc, exec, s[0:1]
	s_waitcnt lgkmcnt(0)
	v_add_f32_e32 v2, v2, v3
	s_cbranch_vccz .LBB83_9
; %bb.8:
	v_add_u32_e32 v3, s29, v21
	v_ashrrev_i32_e32 v4, 31, v3
	v_lshlrev_b64 v[3:4], 2, v[3:4]
	v_mov_b32_e32 v5, s17
	v_add_co_u32_e32 v3, vcc, s16, v3
	v_addc_co_u32_e32 v4, vcc, v5, v4, vcc
	global_load_dword v3, v[3:4], off
	v_max_f32_e32 v4, v1, v1
	s_mov_b32 s0, 0x3fb8aa3b
	s_mov_b32 s1, 0xc2ce8ed0
	s_waitcnt vmcnt(0)
	v_max_f32_e32 v5, v3, v3
	v_max_f32_e32 v4, v4, v5
	v_sub_f32_e32 v1, v1, v4
	v_sub_f32_e32 v3, v3, v4
	v_mul_f32_e32 v5, 0x3fb8aa3b, v1
	v_mul_f32_e32 v6, 0x3fb8aa3b, v3
	v_fma_f32 v7, v1, s0, -v5
	v_rndne_f32_e32 v8, v5
	v_fma_f32 v9, v3, s0, -v6
	v_rndne_f32_e32 v10, v6
	v_fmac_f32_e32 v7, 0x32a5705f, v1
	v_sub_f32_e32 v5, v5, v8
	v_fmac_f32_e32 v9, 0x32a5705f, v3
	v_sub_f32_e32 v6, v6, v10
	v_add_f32_e32 v5, v5, v7
	v_cvt_i32_f32_e32 v8, v8
	v_add_f32_e32 v6, v6, v9
	v_exp_f32_e32 v5, v5
	v_cvt_i32_f32_e32 v10, v10
	v_exp_f32_e32 v6, v6
	v_cmp_ngt_f32_e32 vcc, s1, v1
	v_ldexp_f32 v5, v5, v8
	s_mov_b32 s0, 0x42b17218
	v_ldexp_f32 v6, v6, v10
	v_cndmask_b32_e32 v5, 0, v5, vcc
	v_cmp_ngt_f32_e32 vcc, s1, v3
	v_mov_b32_e32 v7, 0x7f800000
	v_cndmask_b32_e32 v6, 0, v6, vcc
	v_cmp_nlt_f32_e32 vcc, s0, v1
	v_cndmask_b32_e32 v1, v7, v5, vcc
	v_cvt_f16_f32_e32 v5, v1
	v_cmp_nlt_f32_e32 vcc, s0, v3
	v_cndmask_b32_e32 v3, v7, v6, vcc
	v_fmac_f32_e32 v3, v2, v1
	v_mul_u32_u24_e32 v1, 0x10001, v5
	v_mov_b32_e32 v2, v3
	v_pk_mul_f16 v43, v43, v1
	v_pk_mul_f16 v44, v44, v1
	v_mov_b32_e32 v1, v4
.LBB83_9:
	v_cmp_gt_i32_e32 vcc, s2, v22
	s_and_saveexec_b64 s[0:1], vcc
	s_cbranch_execz .LBB83_12
; %bb.10:
	v_div_scale_f32 v3, s[0:1], v2, v2, 1.0
	v_div_scale_f32 v4, vcc, 1.0, v2, 1.0
	s_mul_i32 s33, s33, s2
	v_add_u32_e32 v8, s33, v22
	s_load_dword s0, s[4:5], 0xd4
	v_mul_lo_u32 v8, v8, s3
	v_mov_b32_e32 v5, 0
	v_mov_b32_e32 v7, s21
	v_cvt_f32_f16_e32 v11, v44
	v_cvt_f32_f16_sdwa v12, v44 dst_sel:DWORD dst_unused:UNUSED_PAD src0_sel:WORD_1
	s_waitcnt lgkmcnt(0)
	s_cmp_lg_u32 s0, 1
	v_rcp_f32_e32 v6, v3
	v_fma_f32 v9, -v3, v6, 1.0
	v_fmac_f32_e32 v6, v9, v6
	v_mul_f32_e32 v9, v4, v6
	v_fma_f32 v10, -v3, v9, v4
	v_fmac_f32_e32 v9, v10, v6
	v_fma_f32 v3, -v3, v9, v4
	v_div_fmas_f32 v6, v3, v6, v9
	v_add3_u32 v3, s29, v21, v8
	v_mul_lo_u32 v3, s0, v3
	v_cmp_eq_u32_e32 vcc, 0, v0
	v_cvt_f32_f16_e32 v0, v43
	v_cvt_f32_f16_sdwa v10, v43 dst_sel:DWORD dst_unused:UNUSED_PAD src0_sel:WORD_1
	v_add_u32_e32 v3, s7, v3
	v_lshl_add_u32 v4, v3, 7, v23
	v_lshlrev_b64 v[4:5], 2, v[4:5]
	v_add_co_u32_e64 v8, s[0:1], s20, v4
	v_addc_co_u32_e64 v9, s[0:1], v7, v5, s[0:1]
	s_cselect_b64 s[0:1], -1, 0
	v_div_fixup_f32 v4, v6, v2, 1.0
	v_cndmask_b32_e64 v7, v4, 1.0, s[0:1]
	s_and_b64 s[0:1], vcc, s[0:1]
	v_mul_f32_e32 v4, v7, v0
	v_mul_f32_e32 v5, v7, v10
	;; [unrolled: 1-line block ×4, first 2 shown]
	global_store_dwordx4 v[8:9], v[4:7], off
	s_and_b64 exec, exec, s[0:1]
	s_cbranch_execz .LBB83_12
; %bb.11:
	v_ashrrev_i32_e32 v4, 31, v3
	v_lshlrev_b64 v[3:4], 3, v[3:4]
	v_mov_b32_e32 v0, s23
	v_add_co_u32_e32 v3, vcc, s22, v3
	v_addc_co_u32_e32 v4, vcc, v0, v4, vcc
	global_store_dwordx2 v[3:4], v[1:2], off
.LBB83_12:
	s_endpgm
.LBB83_13:
                                        ; implicit-def: $vgpr26
                                        ; implicit-def: $vgpr48
                                        ; implicit-def: $vgpr47
                                        ; implicit-def: $vgpr20
                                        ; implicit-def: $vgpr19
                                        ; implicit-def: $vgpr49
                                        ; implicit-def: $vgpr50
	v_lshlrev_b32_e32 v23, 2, v0
.LBB83_14:
	s_sub_i32 s0, 0, s36
	s_mul_i32 s0, s0, s38
	s_mul_hi_u32 s0, s38, s0
	s_add_i32 s38, s38, s0
	s_load_dwordx4 s[24:27], s[4:5], 0x98
	s_load_dword s14, s[4:5], 0x54
	s_load_dwordx2 s[0:1], s[4:5], 0x8c
	s_abs_i32 s19, s29
	s_mul_hi_u32 s34, s19, s38
	s_waitcnt lgkmcnt(0)
	s_ashr_i32 s15, s26, 2
	s_ashr_i32 s26, s35, 1
	;; [unrolled: 1-line block ×4, first 2 shown]
	s_mul_hi_u32 s35, s24, s33
	s_mul_i32 s39, s24, s0
	s_add_i32 s35, s35, s39
	s_mul_i32 s25, s25, s33
	s_ashr_i32 s38, s29, 31
	s_ashr_i32 s37, s37, 31
	s_add_i32 s35, s35, s25
	s_mul_i32 s24, s24, s33
	s_add_u32 s10, s10, s24
	s_mul_i32 s25, s34, s36
	s_addc_u32 s11, s11, s35
	s_sub_i32 s19, s19, s25
	s_xor_b32 s24, s38, s37
	s_add_i32 s25, s34, 1
	s_sub_i32 s35, s19, s36
	s_cmp_ge_u32 s19, s36
	s_cselect_b32 s25, s25, s34
	s_cselect_b32 s19, s35, s19
	s_add_i32 s34, s25, 1
	s_cmp_ge_u32 s19, s36
	s_load_dwordx2 s[8:9], s[4:5], 0xa8
	s_cselect_b32 s19, s34, s25
	s_xor_b32 s19, s19, s24
	s_sub_i32 s19, s19, s24
	s_mul_i32 s1, s19, s1
	s_ashr_i32 s24, s1, 31
	s_add_u32 s10, s10, s1
	s_waitcnt lgkmcnt(0)
	s_mul_hi_u32 s1, s8, s33
	s_mul_i32 s0, s8, s0
	s_addc_u32 s11, s11, s24
	s_add_i32 s0, s1, s0
	s_mul_i32 s1, s9, s33
	s_add_i32 s0, s0, s1
	s_mul_i32 s1, s8, s33
	v_lshrrev_b32_e32 v3, 4, v0
	s_add_u32 s1, s12, s1
	s_mul_i32 s19, s19, s27
	v_lshl_add_u32 v13, v1, 1, v3
	s_addc_u32 s0, s13, s0
	s_ashr_i32 s8, s19, 31
	v_mul_lo_u32 v4, s18, v13
	s_add_u32 s12, s1, s19
	v_and_b32_e32 v20, 60, v23
	s_addc_u32 s13, s0, s8
	v_lshlrev_b32_e32 v14, 2, v20
	s_movk_i32 s0, 0x110
	v_mad_u32_u24 v27, v13, s0, v14
	s_lshl_b32 s0, s18, 4
	v_add_u32_e32 v6, s0, v4
	v_mul_lo_u32 v12, s15, v13
	v_add_u32_e32 v8, s0, v6
	v_add_u32_e32 v10, s0, v8
	v_mad_u64_u32 v[2:3], s[0:1], v2, s26, v[0:1]
	s_lshl_b32 s0, s15, 4
	v_lshl_or_b32 v34, v13, 8, v14
	v_add_u32_e32 v14, s0, v12
	v_add_u32_e32 v16, s0, v14
	;; [unrolled: 1-line block ×3, first 2 shown]
	v_ashrrev_i32_e32 v5, 31, v4
	v_ashrrev_i32_e32 v7, 31, v6
	;; [unrolled: 1-line block ×4, first 2 shown]
	v_mov_b32_e32 v3, 0x4c00
	v_ashrrev_i32_e32 v13, 31, v12
	v_ashrrev_i32_e32 v15, 31, v14
	;; [unrolled: 1-line block ×4, first 2 shown]
	v_lshl_add_u32 v32, v1, 7, v3
	s_add_u32 s0, s4, 0xd0
	v_lshlrev_b64 v[3:4], 2, v[4:5]
	v_lshlrev_b64 v[5:6], 2, v[6:7]
	;; [unrolled: 1-line block ×8, first 2 shown]
	v_mov_b32_e32 v43, 0
	v_add_u32_e32 v28, 0x1100, v27
	v_add_u32_e32 v29, 0x2200, v27
	;; [unrolled: 1-line block ×3, first 2 shown]
	v_mul_u32_u24_e32 v31, 0x110, v0
	v_lshl_add_u32 v33, v0, 1, v32
	v_add_u32_e32 v35, 0x1000, v34
	v_add_u32_e32 v36, 0x2000, v34
	;; [unrolled: 1-line block ×3, first 2 shown]
	s_addc_u32 s1, s5, 0
	v_mov_b32_e32 v46, 0xfeffffff
	v_lshlrev_b32_e32 v38, 2, v20
	s_mov_b32 s19, 0x3f200000
	s_mov_b32 s24, 0x3fb8aa3b
	;; [unrolled: 1-line block ×4, first 2 shown]
	v_mov_b32_e32 v39, 0xbd5c1c4e
	v_mov_b32_e32 v40, 0x3e088382
	;; [unrolled: 1-line block ×3, first 2 shown]
	s_brev_b32 s27, -2
	s_mov_b32 s34, 0x10001
	v_mov_b32_e32 v42, 0x7f800000
	v_mbcnt_hi_u32_b32 v26, -1, v44
	v_mov_b32_e32 v44, 0
	v_mov_b32_e32 v45, 0
.LBB83_15:                              ; =>This Inner Loop Header: Depth=1
	s_mul_hi_i32 s9, s6, s18
	s_mul_i32 s8, s6, s18
	s_lshl_b64 s[8:9], s[8:9], 2
	s_add_u32 s8, s10, s8
	s_addc_u32 s9, s11, s9
	v_mov_b32_e32 v1, s9
	v_add_co_u32_e32 v19, vcc, s8, v3
	v_addc_co_u32_e32 v1, vcc, v1, v4, vcc
	v_add_co_u32_e32 v19, vcc, v19, v38
	v_addc_co_u32_e32 v20, vcc, 0, v1, vcc
	v_mov_b32_e32 v1, s9
	v_add_co_u32_e32 v47, vcc, s8, v5
	v_addc_co_u32_e32 v1, vcc, v1, v6, vcc
	v_add_co_u32_e32 v55, vcc, v47, v38
	v_addc_co_u32_e32 v56, vcc, 0, v1, vcc
	global_load_dwordx4 v[47:50], v[19:20], off
	global_load_dwordx4 v[51:54], v[55:56], off
	v_mov_b32_e32 v1, s9
	v_add_co_u32_e32 v19, vcc, s8, v7
	v_addc_co_u32_e32 v1, vcc, v1, v8, vcc
	v_add_co_u32_e32 v19, vcc, v19, v38
	v_addc_co_u32_e32 v20, vcc, 0, v1, vcc
	v_mov_b32_e32 v1, s9
	v_add_co_u32_e32 v55, vcc, s8, v9
	v_addc_co_u32_e32 v1, vcc, v1, v10, vcc
	v_add_co_u32_e32 v63, vcc, v55, v38
	v_addc_co_u32_e32 v64, vcc, 0, v1, vcc
	global_load_dwordx4 v[55:58], v[19:20], off
	global_load_dwordx4 v[59:62], v[63:64], off
	v_mov_b32_e32 v1, 0
	s_waitcnt vmcnt(3)
	ds_write_b128 v27, v[47:50]
	s_waitcnt vmcnt(2)
	ds_write_b128 v28, v[51:54]
	;; [unrolled: 2-line block ×4, first 2 shown]
	s_waitcnt lgkmcnt(0)
	s_barrier
	ds_read_b128 v[49:52], v31
	ds_read_b128 v[53:56], v25
	ds_read_b128 v[57:60], v31 offset:8704
	s_waitcnt lgkmcnt(1)
	;;#ASMSTART
	v_dot2_f32_f16 v1, v49, v53, v1
	;;#ASMEND
	;;#ASMSTART
	v_dot2_f32_f16 v1, v50, v54, v1
	;;#ASMEND
	v_mov_b32_e32 v48, 0
	;;#ASMSTART
	v_dot2_f32_f16 v1, v51, v55, v1
	;;#ASMEND
	;;#ASMSTART
	v_dot2_f32_f16 v1, v52, v56, v1
	;;#ASMEND
	s_waitcnt lgkmcnt(0)
	;;#ASMSTART
	v_dot2_f32_f16 v48, v57, v53, v48
	;;#ASMEND
	;;#ASMSTART
	v_dot2_f32_f16 v48, v58, v54, v48
	;;#ASMEND
	;;#ASMSTART
	v_dot2_f32_f16 v48, v59, v55, v48
	;;#ASMEND
	;;#ASMSTART
	v_dot2_f32_f16 v48, v60, v56, v48
	;;#ASMEND
	ds_read_b128 v[49:52], v31 offset:16
	ds_read_b128 v[53:56], v25 offset:16
	ds_read_b128 v[57:60], v31 offset:8720
	s_waitcnt lgkmcnt(1)
	;;#ASMSTART
	v_dot2_f32_f16 v1, v49, v53, v1
	;;#ASMEND
	;;#ASMSTART
	v_dot2_f32_f16 v1, v50, v54, v1
	;;#ASMEND
	;;#ASMSTART
	v_dot2_f32_f16 v1, v51, v55, v1
	;;#ASMEND
	;;#ASMSTART
	v_dot2_f32_f16 v1, v52, v56, v1
	;;#ASMEND
	s_waitcnt lgkmcnt(0)
	;;#ASMSTART
	v_dot2_f32_f16 v48, v57, v53, v48
	;;#ASMEND
	;;#ASMSTART
	v_dot2_f32_f16 v48, v58, v54, v48
	;;#ASMEND
	;;#ASMSTART
	v_dot2_f32_f16 v48, v59, v55, v48
	;;#ASMEND
	;;#ASMSTART
	v_dot2_f32_f16 v48, v60, v56, v48
	;;#ASMEND
	ds_read_b128 v[49:52], v31 offset:32
	ds_read_b128 v[53:56], v25 offset:32
	ds_read_b128 v[57:60], v31 offset:8736
	s_waitcnt lgkmcnt(1)
	;;#ASMSTART
	v_dot2_f32_f16 v1, v49, v53, v1
	;;#ASMEND
	;;#ASMSTART
	v_dot2_f32_f16 v1, v50, v54, v1
	;;#ASMEND
	;; [unrolled: 29-line block ×15, first 2 shown]
	;;#ASMSTART
	v_dot2_f32_f16 v1, v51, v55, v1
	;;#ASMEND
	;;#ASMSTART
	v_dot2_f32_f16 v1, v52, v56, v1
	;;#ASMEND
	s_waitcnt lgkmcnt(0)
	;;#ASMSTART
	v_dot2_f32_f16 v48, v57, v53, v48
	;;#ASMEND
	;;#ASMSTART
	v_dot2_f32_f16 v48, v58, v54, v48
	;;#ASMEND
	;; [unrolled: 3-line block ×3, first 2 shown]
	v_cmp_nlt_f32_e64 s[8:9], |v1|, s19
	;;#ASMSTART
	v_dot2_f32_f16 v48, v60, v56, v48
	;;#ASMEND
                                        ; implicit-def: $vgpr47
	s_and_saveexec_b64 s[36:37], s[8:9]
	s_xor_b64 s[8:9], exec, s[36:37]
	s_cbranch_execz .LBB83_17
; %bb.16:                               ;   in Loop: Header=BB83_15 Depth=1
	v_add_f32_e64 v19, |v1|, |v1|
	v_mul_f32_e32 v20, 0x3fb8aa3b, v19
	v_rndne_f32_e32 v47, v20
	v_sub_f32_e32 v49, v20, v47
	v_fma_f32 v20, v19, s24, -v20
	v_fmac_f32_e32 v20, 0x32a5705f, v19
	v_add_f32_e32 v20, v49, v20
	v_cvt_i32_f32_e32 v47, v47
	v_exp_f32_e32 v20, v20
	v_cmp_ngt_f32_e32 vcc, s25, v19
	v_ldexp_f32 v20, v20, v47
	v_cndmask_b32_e32 v20, 0, v20, vcc
	v_cmp_nlt_f32_e32 vcc, s26, v19
	v_cndmask_b32_e32 v19, v42, v20, vcc
	v_add_f32_e32 v19, 1.0, v19
	v_rcp_f32_e32 v19, v19
	v_fma_f32 v47, v19, -2.0, 1.0
.LBB83_17:                              ;   in Loop: Header=BB83_15 Depth=1
	s_andn2_saveexec_b64 s[8:9], s[8:9]
; %bb.18:                               ;   in Loop: Header=BB83_15 Depth=1
	v_mul_f32_e32 v19, v1, v1
	v_mov_b32_e32 v20, 0x3ca908c9
	v_fmac_f32_e32 v20, 0xbbbac73d, v19
	v_fma_f32 v20, v19, v20, v39
	v_fma_f32 v20, v19, v20, v40
	;; [unrolled: 1-line block ×3, first 2 shown]
	v_mul_f32_e64 v20, |v1|, v20
	v_fma_f32 v47, v19, v20, |v1|
; %bb.19:                               ;   in Loop: Header=BB83_15 Depth=1
	s_or_b64 exec, exec, s[8:9]
	v_add_u32_e32 v19, s6, v2
	v_ashrrev_i32_e32 v20, 31, v19
	v_lshlrev_b64 v[19:20], 1, v[19:20]
	v_mov_b32_e32 v49, s31
	v_add_co_u32_e32 v19, vcc, s30, v19
	v_addc_co_u32_e32 v20, vcc, v49, v20, vcc
	global_load_ushort v49, v[19:20], off
	v_cmp_nlt_f32_e64 s[8:9], |v48|, s19
                                        ; implicit-def: $vgpr50
	s_and_saveexec_b64 s[36:37], s[8:9]
	s_xor_b64 s[8:9], exec, s[36:37]
	s_cbranch_execz .LBB83_21
; %bb.20:                               ;   in Loop: Header=BB83_15 Depth=1
	v_add_f32_e64 v50, |v48|, |v48|
	v_mul_f32_e32 v51, 0x3fb8aa3b, v50
	v_rndne_f32_e32 v52, v51
	v_sub_f32_e32 v53, v51, v52
	v_fma_f32 v51, v50, s24, -v51
	v_fmac_f32_e32 v51, 0x32a5705f, v50
	v_add_f32_e32 v51, v53, v51
	v_cvt_i32_f32_e32 v52, v52
	v_exp_f32_e32 v51, v51
	v_cmp_ngt_f32_e32 vcc, s25, v50
	v_ldexp_f32 v51, v51, v52
	v_cndmask_b32_e32 v51, 0, v51, vcc
	v_cmp_nlt_f32_e32 vcc, s26, v50
	v_cndmask_b32_e32 v50, v42, v51, vcc
	v_add_f32_e32 v50, 1.0, v50
	v_rcp_f32_e32 v50, v50
	v_fma_f32 v50, v50, -2.0, 1.0
.LBB83_21:                              ;   in Loop: Header=BB83_15 Depth=1
	s_andn2_saveexec_b64 s[8:9], s[8:9]
; %bb.22:                               ;   in Loop: Header=BB83_15 Depth=1
	v_mul_f32_e32 v50, v48, v48
	v_mov_b32_e32 v51, 0x3ca908c9
	v_fmac_f32_e32 v51, 0xbbbac73d, v50
	v_fma_f32 v51, v50, v51, v39
	v_fma_f32 v51, v50, v51, v40
	;; [unrolled: 1-line block ×3, first 2 shown]
	v_mul_f32_e64 v51, |v48|, v51
	v_fma_f32 v50, v50, v51, |v48|
; %bb.23:                               ;   in Loop: Header=BB83_15 Depth=1
	s_or_b64 exec, exec, s[8:9]
	global_load_ushort v51, v[19:20], off offset:64
	v_and_b32_e32 v52, 0x60, v26
	s_mul_hi_i32 s9, s6, s15
	s_mul_i32 s8, s6, s15
	v_xor_b32_e32 v20, 8, v26
	v_bfi_b32 v53, s27, v50, v48
	v_add_u32_e32 v48, 32, v52
	s_lshl_b64 s[8:9], s[8:9], 2
	v_bfi_b32 v1, s27, v47, v1
	v_xor_b32_e32 v47, 16, v26
	v_cmp_lt_i32_e32 vcc, v20, v48
	s_add_u32 s8, s12, s8
	s_waitcnt vmcnt(1)
	v_fma_mix_f32 v68, s14, v1, v49 op_sel_hi:[0,0,1]
	v_cndmask_b32_e32 v49, v26, v20, vcc
	v_cmp_lt_i32_e32 vcc, v47, v48
	s_addc_u32 s9, s13, s9
	v_cndmask_b32_e32 v50, v26, v47, vcc
	v_lshlrev_b32_e32 v62, 2, v49
	v_mov_b32_e32 v49, s9
	v_add_co_u32_e32 v56, vcc, s8, v11
	v_addc_co_u32_e32 v57, vcc, v49, v12, vcc
	v_lshlrev_b32_e32 v52, 2, v50
	v_mov_b32_e32 v50, s9
	v_add_co_u32_e32 v58, vcc, s8, v13
	v_addc_co_u32_e32 v59, vcc, v50, v14, vcc
	v_mov_b32_e32 v54, s9
	v_add_co_u32_e32 v60, vcc, s8, v15
	v_addc_co_u32_e32 v54, vcc, v54, v16, vcc
	;; [unrolled: 3-line block ×3, first 2 shown]
	v_add_f32_e32 v1, 0x40051340, v68
	v_add_co_u32_e32 v49, vcc, v56, v38
	v_addc_co_u32_e32 v50, vcc, 0, v57, vcc
	v_add_co_u32_e32 v56, vcc, v58, v38
	v_addc_co_u32_e32 v57, vcc, 0, v59, vcc
	;; [unrolled: 2-line block ×3, first 2 shown]
	v_add_co_u32_e32 v64, vcc, v63, v38
	s_waitcnt vmcnt(0)
	s_barrier
	v_addc_co_u32_e32 v65, vcc, 0, v55, vcc
	v_xor_b32_e32 v19, 4, v26
	v_cmp_lt_i32_e32 vcc, v19, v48
	v_fma_mix_f32 v51, s14, v53, v51 op_sel_hi:[0,0,1]
	v_add_f32_e32 v53, 0x40051340, v51
	v_max3_f32 v1, v46, v1, v53
	ds_bpermute_b32 v66, v52, v1
	global_load_dwordx4 v[52:55], v[49:50], off
	s_nop 0
	global_load_dwordx4 v[56:59], v[56:57], off
	v_cndmask_b32_e32 v50, v26, v19, vcc
	v_lshlrev_b32_e32 v50, 2, v50
	s_waitcnt lgkmcnt(0)
	v_max_f32_e32 v49, v66, v66
	v_max_f32_e32 v1, v1, v49
	ds_bpermute_b32 v49, v62, v1
	global_load_dwordx4 v[60:63], v[60:61], off
	s_nop 0
	global_load_dwordx4 v[64:67], v[64:65], off
	s_waitcnt lgkmcnt(0)
	v_max_f32_e32 v49, v49, v49
	v_max_f32_e32 v1, v1, v49
	ds_bpermute_b32 v50, v50, v1
	v_xor_b32_e32 v49, 2, v26
	v_cmp_lt_i32_e32 vcc, v49, v48
	v_cndmask_b32_e32 v69, v26, v49, vcc
	v_lshlrev_b32_e32 v69, 2, v69
	s_waitcnt lgkmcnt(0)
	v_max_f32_e32 v50, v50, v50
	v_max_f32_e32 v1, v1, v50
	ds_bpermute_b32 v69, v69, v1
	v_xor_b32_e32 v50, 1, v26
	v_cmp_lt_i32_e32 vcc, v50, v48
	v_cndmask_b32_e32 v70, v26, v50, vcc
	v_lshlrev_b32_e32 v70, 2, v70
	s_waitcnt lgkmcnt(0)
	v_max_f32_e32 v69, v69, v69
	v_max_f32_e32 v1, v1, v69
	ds_bpermute_b32 v69, v70, v1
	s_waitcnt lgkmcnt(0)
	v_max_f32_e32 v69, v69, v69
	v_max_f32_e32 v1, v1, v69
	v_sub_f32_e32 v68, v68, v1
	v_sub_f32_e32 v51, v51, v1
	v_mul_f32_e32 v69, 0x3fb8aa3b, v68
	v_mul_f32_e32 v70, 0x3fb8aa3b, v51
	v_fma_f32 v72, v68, s24, -v69
	v_rndne_f32_e32 v73, v69
	v_fma_f32 v74, v51, s24, -v70
	v_rndne_f32_e32 v75, v70
	v_fmac_f32_e32 v72, 0x32a5705f, v68
	v_sub_f32_e32 v69, v69, v73
	v_sub_f32_e32 v46, v46, v1
	v_fmac_f32_e32 v74, 0x32a5705f, v51
	v_sub_f32_e32 v70, v70, v75
	v_add_f32_e32 v69, v69, v72
	v_mul_f32_e32 v71, 0x3fb8aa3b, v46
	v_cvt_i32_f32_e32 v73, v73
	v_add_f32_e32 v70, v70, v74
	v_exp_f32_e32 v69, v69
	v_fma_f32 v76, v46, s24, -v71
	v_rndne_f32_e32 v77, v71
	v_cvt_i32_f32_e32 v75, v75
	v_exp_f32_e32 v70, v70
	v_fmac_f32_e32 v76, 0x32a5705f, v46
	v_sub_f32_e32 v71, v71, v77
	v_add_f32_e32 v71, v71, v76
	v_cvt_i32_f32_e32 v77, v77
	v_exp_f32_e32 v71, v71
	v_ldexp_f32 v69, v69, v73
	v_cmp_ngt_f32_e32 vcc, s25, v68
	v_ldexp_f32 v70, v70, v75
	v_cndmask_b32_e32 v69, 0, v69, vcc
	v_cmp_ngt_f32_e32 vcc, s25, v51
	v_cndmask_b32_e32 v70, 0, v70, vcc
	v_cmp_nlt_f32_e32 vcc, s26, v68
	v_cndmask_b32_e32 v68, v42, v69, vcc
	v_cmp_nlt_f32_e32 vcc, s26, v51
	v_cndmask_b32_e32 v69, v42, v70, vcc
	v_ldexp_f32 v51, v71, v77
	v_cmp_ngt_f32_e32 vcc, s25, v46
	v_cndmask_b32_e32 v51, 0, v51, vcc
	v_cmp_nlt_f32_e32 vcc, s26, v46
	v_cndmask_b32_e32 v46, v42, v51, vcc
	v_cvt_f16_f32_e32 v70, v68
	v_cvt_f16_f32_e32 v71, v46
	v_add_f32_e32 v51, v68, v69
	v_cvt_f16_f32_e32 v68, v69
	v_fmac_f32_e32 v51, v45, v46
	v_mul_u32_u24_e32 v45, 0x10001, v71
	v_add_u32_e32 v72, 0x800, v24
	ds_write_b16 v33, v70
	ds_write_b16 v33, v68 offset:64
	s_waitcnt vmcnt(3)
	ds_write_b128 v34, v[52:55]
	s_waitcnt vmcnt(2)
	ds_write_b128 v35, v[56:59]
	;; [unrolled: 2-line block ×4, first 2 shown]
	s_waitcnt lgkmcnt(0)
	s_barrier
	ds_read_b128 v[52:55], v32
	ds_read2_b64 v[56:59], v24 offset1:32
	ds_read_b128 v[60:63], v32 offset:16
	ds_read_b128 v[64:67], v32 offset:32
	ds_read_b128 v[68:71], v32 offset:48
	s_waitcnt lgkmcnt(4)
	v_mul_u32_u24_sdwa v46, v52, s34 dst_sel:DWORD dst_unused:UNUSED_PAD src0_sel:WORD_0 src1_sel:DWORD
	s_waitcnt lgkmcnt(3)
	v_pk_mul_f16 v56, v56, v46
	v_pk_fma_f16 v56, v43, v45, v56
	v_pk_mul_f16 v43, v57, v46
	v_pk_fma_f16 v57, v44, v45, v43
	ds_read2_b64 v[43:46], v24 offset0:64 offset1:96
	v_mul_u32_u24_sdwa v52, v52, s34 dst_sel:DWORD dst_unused:UNUSED_PAD src0_sel:WORD_1 src1_sel:DWORD
	v_pk_fma_f16 v56, v58, v52, v56
	v_pk_fma_f16 v52, v59, v52, v57
	v_mul_u32_u24_sdwa v57, v53, s34 dst_sel:DWORD dst_unused:UNUSED_PAD src0_sel:WORD_0 src1_sel:DWORD
	s_waitcnt lgkmcnt(0)
	v_pk_fma_f16 v43, v43, v57, v56
	v_pk_fma_f16 v44, v44, v57, v52
	ds_read2_b64 v[56:59], v24 offset0:128 offset1:160
	v_mul_u32_u24_sdwa v52, v53, s34 dst_sel:DWORD dst_unused:UNUSED_PAD src0_sel:WORD_1 src1_sel:DWORD
	v_pk_fma_f16 v43, v45, v52, v43
	v_pk_fma_f16 v44, v46, v52, v44
	v_mul_u32_u24_sdwa v45, v54, s34 dst_sel:DWORD dst_unused:UNUSED_PAD src0_sel:WORD_0 src1_sel:DWORD
	s_waitcnt lgkmcnt(0)
	v_pk_fma_f16 v52, v56, v45, v43
	v_pk_fma_f16 v53, v57, v45, v44
	ds_read2_b64 v[43:46], v24 offset0:192 offset1:224
	v_mul_u32_u24_sdwa v54, v54, s34 dst_sel:DWORD dst_unused:UNUSED_PAD src0_sel:WORD_1 src1_sel:DWORD
	v_pk_fma_f16 v52, v58, v54, v52
	v_pk_fma_f16 v53, v59, v54, v53
	ds_read2_b64 v[56:59], v72 offset1:32
	v_mul_u32_u24_sdwa v54, v55, s34 dst_sel:DWORD dst_unused:UNUSED_PAD src0_sel:WORD_0 src1_sel:DWORD
	s_waitcnt lgkmcnt(1)
	v_pk_fma_f16 v43, v43, v54, v52
	v_pk_fma_f16 v44, v44, v54, v53
	v_mul_u32_u24_sdwa v52, v55, s34 dst_sel:DWORD dst_unused:UNUSED_PAD src0_sel:WORD_1 src1_sel:DWORD
	v_pk_fma_f16 v43, v45, v52, v43
	v_pk_fma_f16 v44, v46, v52, v44
	v_mul_u32_u24_sdwa v45, v60, s34 dst_sel:DWORD dst_unused:UNUSED_PAD src0_sel:WORD_0 src1_sel:DWORD
	s_waitcnt lgkmcnt(0)
	v_pk_fma_f16 v52, v56, v45, v43
	v_pk_fma_f16 v53, v57, v45, v44
	ds_read2_b64 v[43:46], v72 offset0:64 offset1:96
	v_mul_u32_u24_sdwa v54, v60, s34 dst_sel:DWORD dst_unused:UNUSED_PAD src0_sel:WORD_1 src1_sel:DWORD
	v_pk_fma_f16 v52, v58, v54, v52
	v_pk_fma_f16 v53, v59, v54, v53
	v_mul_u32_u24_sdwa v54, v61, s34 dst_sel:DWORD dst_unused:UNUSED_PAD src0_sel:WORD_0 src1_sel:DWORD
	s_waitcnt lgkmcnt(0)
	v_pk_fma_f16 v43, v43, v54, v52
	v_pk_fma_f16 v44, v44, v54, v53
	ds_read2_b64 v[52:55], v72 offset0:128 offset1:160
	;; [unrolled: 8-line block ×3, first 2 shown]
	v_mul_u32_u24_sdwa v56, v62, s34 dst_sel:DWORD dst_unused:UNUSED_PAD src0_sel:WORD_1 src1_sel:DWORD
	v_pk_fma_f16 v52, v54, v56, v52
	v_pk_fma_f16 v53, v55, v56, v53
	v_mul_u32_u24_sdwa v54, v63, s34 dst_sel:DWORD dst_unused:UNUSED_PAD src0_sel:WORD_0 src1_sel:DWORD
	v_add_u32_e32 v56, 0x1000, v24
	s_waitcnt lgkmcnt(0)
	v_pk_fma_f16 v43, v43, v54, v52
	v_pk_fma_f16 v44, v44, v54, v53
	ds_read2_b64 v[52:55], v56 offset1:32
	v_mul_u32_u24_sdwa v57, v63, s34 dst_sel:DWORD dst_unused:UNUSED_PAD src0_sel:WORD_1 src1_sel:DWORD
	v_pk_fma_f16 v43, v45, v57, v43
	v_pk_fma_f16 v44, v46, v57, v44
	v_mul_u32_u24_sdwa v45, v64, s34 dst_sel:DWORD dst_unused:UNUSED_PAD src0_sel:WORD_0 src1_sel:DWORD
	s_waitcnt lgkmcnt(0)
	v_pk_fma_f16 v52, v52, v45, v43
	v_pk_fma_f16 v53, v53, v45, v44
	ds_read2_b64 v[43:46], v56 offset0:64 offset1:96
	v_mul_u32_u24_sdwa v57, v64, s34 dst_sel:DWORD dst_unused:UNUSED_PAD src0_sel:WORD_1 src1_sel:DWORD
	v_pk_fma_f16 v52, v54, v57, v52
	v_pk_fma_f16 v53, v55, v57, v53
	v_mul_u32_u24_sdwa v54, v65, s34 dst_sel:DWORD dst_unused:UNUSED_PAD src0_sel:WORD_0 src1_sel:DWORD
	s_waitcnt lgkmcnt(0)
	v_pk_fma_f16 v43, v43, v54, v52
	v_pk_fma_f16 v44, v44, v54, v53
	ds_read2_b64 v[52:55], v56 offset0:128 offset1:160
	;; [unrolled: 8-line block ×3, first 2 shown]
	v_mul_u32_u24_sdwa v56, v66, s34 dst_sel:DWORD dst_unused:UNUSED_PAD src0_sel:WORD_1 src1_sel:DWORD
	v_pk_fma_f16 v52, v54, v56, v52
	v_pk_fma_f16 v53, v55, v56, v53
	v_mul_u32_u24_sdwa v54, v67, s34 dst_sel:DWORD dst_unused:UNUSED_PAD src0_sel:WORD_0 src1_sel:DWORD
	v_add_u32_e32 v56, 0x1800, v24
	s_waitcnt lgkmcnt(0)
	v_pk_fma_f16 v43, v43, v54, v52
	v_pk_fma_f16 v44, v44, v54, v53
	ds_read2_b64 v[52:55], v56 offset1:32
	v_mul_u32_u24_sdwa v57, v67, s34 dst_sel:DWORD dst_unused:UNUSED_PAD src0_sel:WORD_1 src1_sel:DWORD
	v_pk_fma_f16 v43, v45, v57, v43
	v_pk_fma_f16 v44, v46, v57, v44
	v_mul_u32_u24_sdwa v45, v68, s34 dst_sel:DWORD dst_unused:UNUSED_PAD src0_sel:WORD_0 src1_sel:DWORD
	s_waitcnt lgkmcnt(0)
	v_pk_fma_f16 v52, v52, v45, v43
	v_pk_fma_f16 v53, v53, v45, v44
	ds_read2_b64 v[43:46], v56 offset0:64 offset1:96
	v_mul_u32_u24_sdwa v57, v68, s34 dst_sel:DWORD dst_unused:UNUSED_PAD src0_sel:WORD_1 src1_sel:DWORD
	v_pk_fma_f16 v52, v54, v57, v52
	v_pk_fma_f16 v53, v55, v57, v53
	v_mul_u32_u24_sdwa v54, v69, s34 dst_sel:DWORD dst_unused:UNUSED_PAD src0_sel:WORD_0 src1_sel:DWORD
	s_waitcnt lgkmcnt(0)
	v_pk_fma_f16 v43, v43, v54, v52
	v_pk_fma_f16 v44, v44, v54, v53
	ds_read2_b64 v[52:55], v56 offset0:128 offset1:160
	;; [unrolled: 8-line block ×3, first 2 shown]
	v_mul_u32_u24_sdwa v56, v70, s34 dst_sel:DWORD dst_unused:UNUSED_PAD src0_sel:WORD_1 src1_sel:DWORD
	v_pk_fma_f16 v52, v54, v56, v52
	v_pk_fma_f16 v53, v55, v56, v53
	v_mul_u32_u24_sdwa v54, v71, s34 dst_sel:DWORD dst_unused:UNUSED_PAD src0_sel:WORD_0 src1_sel:DWORD
	s_waitcnt lgkmcnt(0)
	v_pk_fma_f16 v43, v43, v54, v52
	v_pk_fma_f16 v44, v44, v54, v53
	v_add_u32_e32 v64, 0x2000, v24
	ds_read_b128 v[52:55], v32 offset:64
	ds_read2_b64 v[56:59], v64 offset1:32
	v_mul_u32_u24_sdwa v60, v71, s34 dst_sel:DWORD dst_unused:UNUSED_PAD src0_sel:WORD_1 src1_sel:DWORD
	v_pk_fma_f16 v61, v45, v60, v43
	v_pk_fma_f16 v60, v46, v60, v44
	s_waitcnt lgkmcnt(1)
	v_mul_u32_u24_sdwa v62, v52, s34 dst_sel:DWORD dst_unused:UNUSED_PAD src0_sel:WORD_0 src1_sel:DWORD
	s_waitcnt lgkmcnt(0)
	v_pk_fma_f16 v56, v56, v62, v61
	v_pk_fma_f16 v57, v57, v62, v60
	ds_read2_b64 v[60:63], v64 offset0:64 offset1:96
	v_mul_u32_u24_sdwa v52, v52, s34 dst_sel:DWORD dst_unused:UNUSED_PAD src0_sel:WORD_1 src1_sel:DWORD
	v_pk_fma_f16 v56, v58, v52, v56
	v_pk_fma_f16 v52, v59, v52, v57
	v_mul_u32_u24_sdwa v57, v53, s34 dst_sel:DWORD dst_unused:UNUSED_PAD src0_sel:WORD_0 src1_sel:DWORD
	s_waitcnt lgkmcnt(0)
	v_pk_fma_f16 v60, v60, v57, v56
	v_pk_fma_f16 v52, v61, v57, v52
	ds_read2_b64 v[56:59], v64 offset0:128 offset1:160
	v_mul_u32_u24_sdwa v53, v53, s34 dst_sel:DWORD dst_unused:UNUSED_PAD src0_sel:WORD_1 src1_sel:DWORD
	v_pk_fma_f16 v60, v62, v53, v60
	v_pk_fma_f16 v52, v63, v53, v52
	v_mul_u32_u24_sdwa v53, v54, s34 dst_sel:DWORD dst_unused:UNUSED_PAD src0_sel:WORD_0 src1_sel:DWORD
	s_waitcnt lgkmcnt(0)
	v_pk_fma_f16 v56, v56, v53, v60
	ds_read2_b64 v[60:63], v64 offset0:192 offset1:224
	v_pk_fma_f16 v52, v57, v53, v52
	v_mul_u32_u24_sdwa v53, v54, s34 dst_sel:DWORD dst_unused:UNUSED_PAD src0_sel:WORD_1 src1_sel:DWORD
	v_pk_fma_f16 v54, v58, v53, v56
	v_pk_fma_f16 v52, v59, v53, v52
	v_mul_u32_u24_sdwa v53, v55, s34 dst_sel:DWORD dst_unused:UNUSED_PAD src0_sel:WORD_0 src1_sel:DWORD
	ds_read_b128 v[43:46], v32 offset:80
	s_waitcnt lgkmcnt(1)
	v_pk_fma_f16 v54, v60, v53, v54
	v_add_u32_e32 v60, 0x2800, v24
	ds_read2_b64 v[56:59], v60 offset1:32
	v_pk_fma_f16 v52, v61, v53, v52
	v_mul_u32_u24_sdwa v53, v55, s34 dst_sel:DWORD dst_unused:UNUSED_PAD src0_sel:WORD_1 src1_sel:DWORD
	v_pk_fma_f16 v54, v62, v53, v54
	v_pk_fma_f16 v52, v63, v53, v52
	s_waitcnt lgkmcnt(1)
	v_mul_u32_u24_sdwa v53, v43, s34 dst_sel:DWORD dst_unused:UNUSED_PAD src0_sel:WORD_0 src1_sel:DWORD
	s_waitcnt lgkmcnt(0)
	v_pk_fma_f16 v56, v56, v53, v54
	v_pk_fma_f16 v57, v57, v53, v52
	ds_read2_b64 v[52:55], v60 offset0:64 offset1:96
	v_mul_u32_u24_sdwa v43, v43, s34 dst_sel:DWORD dst_unused:UNUSED_PAD src0_sel:WORD_1 src1_sel:DWORD
	v_pk_fma_f16 v56, v58, v43, v56
	v_pk_fma_f16 v43, v59, v43, v57
	v_mul_u32_u24_sdwa v57, v44, s34 dst_sel:DWORD dst_unused:UNUSED_PAD src0_sel:WORD_0 src1_sel:DWORD
	s_waitcnt lgkmcnt(0)
	v_pk_fma_f16 v52, v52, v57, v56
	v_pk_fma_f16 v43, v53, v57, v43
	ds_read2_b64 v[56:59], v60 offset0:128 offset1:160
	v_mul_u32_u24_sdwa v44, v44, s34 dst_sel:DWORD dst_unused:UNUSED_PAD src0_sel:WORD_1 src1_sel:DWORD
	v_pk_fma_f16 v52, v54, v44, v52
	v_pk_fma_f16 v43, v55, v44, v43
	v_mul_u32_u24_sdwa v44, v45, s34 dst_sel:DWORD dst_unused:UNUSED_PAD src0_sel:WORD_0 src1_sel:DWORD
	s_waitcnt lgkmcnt(0)
	v_pk_fma_f16 v56, v56, v44, v52
	ds_read2_b64 v[52:55], v60 offset0:192 offset1:224
	v_pk_fma_f16 v43, v57, v44, v43
	v_mul_u32_u24_sdwa v44, v45, s34 dst_sel:DWORD dst_unused:UNUSED_PAD src0_sel:WORD_1 src1_sel:DWORD
	v_pk_fma_f16 v45, v58, v44, v56
	v_pk_fma_f16 v43, v59, v44, v43
	v_mul_u32_u24_sdwa v44, v46, s34 dst_sel:DWORD dst_unused:UNUSED_PAD src0_sel:WORD_0 src1_sel:DWORD
	s_waitcnt lgkmcnt(0)
	v_pk_fma_f16 v52, v52, v44, v45
	v_pk_fma_f16 v53, v53, v44, v43
	v_mul_u32_u24_sdwa v60, v46, s34 dst_sel:DWORD dst_unused:UNUSED_PAD src0_sel:WORD_1 src1_sel:DWORD
	v_add_u32_e32 v64, 0x3000, v24
	ds_read_b128 v[43:46], v32 offset:96
	ds_read2_b64 v[56:59], v64 offset1:32
	v_pk_fma_f16 v61, v54, v60, v52
	v_pk_fma_f16 v60, v55, v60, v53
	ds_read_b128 v[52:55], v32 offset:112
	s_waitcnt lgkmcnt(2)
	v_mul_u32_u24_sdwa v62, v43, s34 dst_sel:DWORD dst_unused:UNUSED_PAD src0_sel:WORD_0 src1_sel:DWORD
	s_waitcnt lgkmcnt(1)
	v_pk_fma_f16 v56, v56, v62, v61
	v_pk_fma_f16 v57, v57, v62, v60
	ds_read2_b64 v[60:63], v64 offset0:64 offset1:96
	v_mul_u32_u24_sdwa v43, v43, s34 dst_sel:DWORD dst_unused:UNUSED_PAD src0_sel:WORD_1 src1_sel:DWORD
	v_pk_fma_f16 v56, v58, v43, v56
	v_pk_fma_f16 v43, v59, v43, v57
	v_mul_u32_u24_sdwa v57, v44, s34 dst_sel:DWORD dst_unused:UNUSED_PAD src0_sel:WORD_0 src1_sel:DWORD
	s_waitcnt lgkmcnt(0)
	v_pk_fma_f16 v60, v60, v57, v56
	v_pk_fma_f16 v43, v61, v57, v43
	ds_read2_b64 v[56:59], v64 offset0:128 offset1:160
	v_mul_u32_u24_sdwa v44, v44, s34 dst_sel:DWORD dst_unused:UNUSED_PAD src0_sel:WORD_1 src1_sel:DWORD
	v_pk_fma_f16 v60, v62, v44, v60
	v_pk_fma_f16 v43, v63, v44, v43
	v_mul_u32_u24_sdwa v44, v45, s34 dst_sel:DWORD dst_unused:UNUSED_PAD src0_sel:WORD_0 src1_sel:DWORD
	s_waitcnt lgkmcnt(0)
	v_pk_fma_f16 v56, v56, v44, v60
	ds_read2_b64 v[60:63], v64 offset0:192 offset1:224
	v_pk_fma_f16 v43, v57, v44, v43
	v_mul_u32_u24_sdwa v44, v45, s34 dst_sel:DWORD dst_unused:UNUSED_PAD src0_sel:WORD_1 src1_sel:DWORD
	v_pk_fma_f16 v45, v58, v44, v56
	v_pk_fma_f16 v43, v59, v44, v43
	v_mul_u32_u24_sdwa v44, v46, s34 dst_sel:DWORD dst_unused:UNUSED_PAD src0_sel:WORD_0 src1_sel:DWORD
	s_waitcnt lgkmcnt(0)
	v_pk_fma_f16 v45, v60, v44, v45
	v_add_u32_e32 v60, 0x3800, v24
	ds_read2_b64 v[56:59], v60 offset1:32
	v_pk_fma_f16 v43, v61, v44, v43
	v_mul_u32_u24_sdwa v44, v46, s34 dst_sel:DWORD dst_unused:UNUSED_PAD src0_sel:WORD_1 src1_sel:DWORD
	v_pk_fma_f16 v45, v62, v44, v45
	v_pk_fma_f16 v43, v63, v44, v43
	v_mul_u32_u24_sdwa v44, v52, s34 dst_sel:DWORD dst_unused:UNUSED_PAD src0_sel:WORD_0 src1_sel:DWORD
	s_waitcnt lgkmcnt(0)
	v_pk_fma_f16 v56, v56, v44, v45
	v_pk_fma_f16 v57, v57, v44, v43
	ds_read2_b64 v[43:46], v60 offset0:64 offset1:96
	v_mul_u32_u24_sdwa v52, v52, s34 dst_sel:DWORD dst_unused:UNUSED_PAD src0_sel:WORD_1 src1_sel:DWORD
	v_pk_fma_f16 v56, v58, v52, v56
	v_pk_fma_f16 v52, v59, v52, v57
	v_mul_u32_u24_sdwa v57, v53, s34 dst_sel:DWORD dst_unused:UNUSED_PAD src0_sel:WORD_0 src1_sel:DWORD
	s_waitcnt lgkmcnt(0)
	v_pk_fma_f16 v43, v43, v57, v56
	v_pk_fma_f16 v44, v44, v57, v52
	ds_read2_b64 v[56:59], v60 offset0:128 offset1:160
	v_mul_u32_u24_sdwa v52, v53, s34 dst_sel:DWORD dst_unused:UNUSED_PAD src0_sel:WORD_1 src1_sel:DWORD
	v_pk_fma_f16 v43, v45, v52, v43
	v_pk_fma_f16 v44, v46, v52, v44
	v_mul_u32_u24_sdwa v45, v54, s34 dst_sel:DWORD dst_unused:UNUSED_PAD src0_sel:WORD_0 src1_sel:DWORD
	s_waitcnt lgkmcnt(0)
	v_pk_fma_f16 v43, v56, v45, v43
	v_pk_fma_f16 v44, v57, v45, v44
	v_mul_u32_u24_sdwa v45, v54, s34 dst_sel:DWORD dst_unused:UNUSED_PAD src0_sel:WORD_1 src1_sel:DWORD
	v_pk_fma_f16 v52, v58, v45, v43
	v_pk_fma_f16 v53, v59, v45, v44
	ds_read2_b64 v[43:46], v60 offset0:192 offset1:224
	s_waitcnt lgkmcnt(0)
	s_barrier
	s_load_dword s8, s[0:1], 0x4
	v_mul_u32_u24_sdwa v54, v55, s34 dst_sel:DWORD dst_unused:UNUSED_PAD src0_sel:WORD_0 src1_sel:DWORD
	v_pk_fma_f16 v43, v43, v54, v52
	v_pk_fma_f16 v44, v44, v54, v53
	v_mul_u32_u24_sdwa v52, v55, s34 dst_sel:DWORD dst_unused:UNUSED_PAD src0_sel:WORD_1 src1_sel:DWORD
	s_waitcnt lgkmcnt(0)
	s_lshl_b32 s8, s8, 6
	s_add_i32 s6, s8, s6
	v_pk_fma_f16 v43, v45, v52, v43
	s_cmp_ge_i32 s6, s28
	v_pk_fma_f16 v44, v46, v52, v44
	s_cbranch_scc1 .LBB83_7
; %bb.24:                               ;   in Loop: Header=BB83_15 Depth=1
	v_mov_b32_e32 v46, v1
	v_mov_b32_e32 v45, v51
	s_branch .LBB83_15
	.section	.rodata,"a",@progbits
	.p2align	6, 0x0
	.amdhsa_kernel _ZL15flash_attn_tileILi128ELi128ELi4ELi2ELb1EEvPKcS1_S1_S1_S1_PKiPfP15HIP_vector_typeIfLj2EEffffjfiS5_IjLj3EEiiiiiiiiiiiliiliiiiil
		.amdhsa_group_segment_fixed_size 20480
		.amdhsa_private_segment_fixed_size 0
		.amdhsa_kernarg_size 464
		.amdhsa_user_sgpr_count 6
		.amdhsa_user_sgpr_private_segment_buffer 1
		.amdhsa_user_sgpr_dispatch_ptr 0
		.amdhsa_user_sgpr_queue_ptr 0
		.amdhsa_user_sgpr_kernarg_segment_ptr 1
		.amdhsa_user_sgpr_dispatch_id 0
		.amdhsa_user_sgpr_flat_scratch_init 0
		.amdhsa_user_sgpr_private_segment_size 0
		.amdhsa_uses_dynamic_stack 0
		.amdhsa_system_sgpr_private_segment_wavefront_offset 0
		.amdhsa_system_sgpr_workgroup_id_x 1
		.amdhsa_system_sgpr_workgroup_id_y 1
		.amdhsa_system_sgpr_workgroup_id_z 1
		.amdhsa_system_sgpr_workgroup_info 0
		.amdhsa_system_vgpr_workitem_id 1
		.amdhsa_next_free_vgpr 78
		.amdhsa_next_free_sgpr 98
		.amdhsa_reserve_vcc 1
		.amdhsa_reserve_flat_scratch 0
		.amdhsa_float_round_mode_32 0
		.amdhsa_float_round_mode_16_64 0
		.amdhsa_float_denorm_mode_32 3
		.amdhsa_float_denorm_mode_16_64 3
		.amdhsa_dx10_clamp 1
		.amdhsa_ieee_mode 1
		.amdhsa_fp16_overflow 0
		.amdhsa_exception_fp_ieee_invalid_op 0
		.amdhsa_exception_fp_denorm_src 0
		.amdhsa_exception_fp_ieee_div_zero 0
		.amdhsa_exception_fp_ieee_overflow 0
		.amdhsa_exception_fp_ieee_underflow 0
		.amdhsa_exception_fp_ieee_inexact 0
		.amdhsa_exception_int_div_zero 0
	.end_amdhsa_kernel
	.section	.text._ZL15flash_attn_tileILi128ELi128ELi4ELi2ELb1EEvPKcS1_S1_S1_S1_PKiPfP15HIP_vector_typeIfLj2EEffffjfiS5_IjLj3EEiiiiiiiiiiiliiliiiiil,"axG",@progbits,_ZL15flash_attn_tileILi128ELi128ELi4ELi2ELb1EEvPKcS1_S1_S1_S1_PKiPfP15HIP_vector_typeIfLj2EEffffjfiS5_IjLj3EEiiiiiiiiiiiliiliiiiil,comdat
.Lfunc_end83:
	.size	_ZL15flash_attn_tileILi128ELi128ELi4ELi2ELb1EEvPKcS1_S1_S1_S1_PKiPfP15HIP_vector_typeIfLj2EEffffjfiS5_IjLj3EEiiiiiiiiiiiliiliiiiil, .Lfunc_end83-_ZL15flash_attn_tileILi128ELi128ELi4ELi2ELb1EEvPKcS1_S1_S1_S1_PKiPfP15HIP_vector_typeIfLj2EEffffjfiS5_IjLj3EEiiiiiiiiiiiliiliiiiil
                                        ; -- End function
	.set _ZL15flash_attn_tileILi128ELi128ELi4ELi2ELb1EEvPKcS1_S1_S1_S1_PKiPfP15HIP_vector_typeIfLj2EEffffjfiS5_IjLj3EEiiiiiiiiiiiliiliiiiil.num_vgpr, 78
	.set _ZL15flash_attn_tileILi128ELi128ELi4ELi2ELb1EEvPKcS1_S1_S1_S1_PKiPfP15HIP_vector_typeIfLj2EEffffjfiS5_IjLj3EEiiiiiiiiiiiliiliiiiil.num_agpr, 0
	.set _ZL15flash_attn_tileILi128ELi128ELi4ELi2ELb1EEvPKcS1_S1_S1_S1_PKiPfP15HIP_vector_typeIfLj2EEffffjfiS5_IjLj3EEiiiiiiiiiiiliiliiiiil.numbered_sgpr, 40
	.set _ZL15flash_attn_tileILi128ELi128ELi4ELi2ELb1EEvPKcS1_S1_S1_S1_PKiPfP15HIP_vector_typeIfLj2EEffffjfiS5_IjLj3EEiiiiiiiiiiiliiliiiiil.num_named_barrier, 0
	.set _ZL15flash_attn_tileILi128ELi128ELi4ELi2ELb1EEvPKcS1_S1_S1_S1_PKiPfP15HIP_vector_typeIfLj2EEffffjfiS5_IjLj3EEiiiiiiiiiiiliiliiiiil.private_seg_size, 0
	.set _ZL15flash_attn_tileILi128ELi128ELi4ELi2ELb1EEvPKcS1_S1_S1_S1_PKiPfP15HIP_vector_typeIfLj2EEffffjfiS5_IjLj3EEiiiiiiiiiiiliiliiiiil.uses_vcc, 1
	.set _ZL15flash_attn_tileILi128ELi128ELi4ELi2ELb1EEvPKcS1_S1_S1_S1_PKiPfP15HIP_vector_typeIfLj2EEffffjfiS5_IjLj3EEiiiiiiiiiiiliiliiiiil.uses_flat_scratch, 0
	.set _ZL15flash_attn_tileILi128ELi128ELi4ELi2ELb1EEvPKcS1_S1_S1_S1_PKiPfP15HIP_vector_typeIfLj2EEffffjfiS5_IjLj3EEiiiiiiiiiiiliiliiiiil.has_dyn_sized_stack, 0
	.set _ZL15flash_attn_tileILi128ELi128ELi4ELi2ELb1EEvPKcS1_S1_S1_S1_PKiPfP15HIP_vector_typeIfLj2EEffffjfiS5_IjLj3EEiiiiiiiiiiiliiliiiiil.has_recursion, 0
	.set _ZL15flash_attn_tileILi128ELi128ELi4ELi2ELb1EEvPKcS1_S1_S1_S1_PKiPfP15HIP_vector_typeIfLj2EEffffjfiS5_IjLj3EEiiiiiiiiiiiliiliiiiil.has_indirect_call, 0
	.section	.AMDGPU.csdata,"",@progbits
; Kernel info:
; codeLenInByte = 7240
; TotalNumSgprs: 44
; NumVgprs: 78
; ScratchSize: 0
; MemoryBound: 0
; FloatMode: 240
; IeeeMode: 1
; LDSByteSize: 20480 bytes/workgroup (compile time only)
; SGPRBlocks: 12
; VGPRBlocks: 19
; NumSGPRsForWavesPerEU: 102
; NumVGPRsForWavesPerEU: 78
; Occupancy: 3
; WaveLimiterHint : 1
; COMPUTE_PGM_RSRC2:SCRATCH_EN: 0
; COMPUTE_PGM_RSRC2:USER_SGPR: 6
; COMPUTE_PGM_RSRC2:TRAP_HANDLER: 0
; COMPUTE_PGM_RSRC2:TGID_X_EN: 1
; COMPUTE_PGM_RSRC2:TGID_Y_EN: 1
; COMPUTE_PGM_RSRC2:TGID_Z_EN: 1
; COMPUTE_PGM_RSRC2:TIDIG_COMP_CNT: 1
	.section	.text._ZL15flash_attn_tileILi128ELi128ELi2ELi2ELb1EEvPKcS1_S1_S1_S1_PKiPfP15HIP_vector_typeIfLj2EEffffjfiS5_IjLj3EEiiiiiiiiiiiliiliiiiil,"axG",@progbits,_ZL15flash_attn_tileILi128ELi128ELi2ELi2ELb1EEvPKcS1_S1_S1_S1_PKiPfP15HIP_vector_typeIfLj2EEffffjfiS5_IjLj3EEiiiiiiiiiiiliiliiiiil,comdat
	.globl	_ZL15flash_attn_tileILi128ELi128ELi2ELi2ELb1EEvPKcS1_S1_S1_S1_PKiPfP15HIP_vector_typeIfLj2EEffffjfiS5_IjLj3EEiiiiiiiiiiiliiliiiiil ; -- Begin function _ZL15flash_attn_tileILi128ELi128ELi2ELi2ELb1EEvPKcS1_S1_S1_S1_PKiPfP15HIP_vector_typeIfLj2EEffffjfiS5_IjLj3EEiiiiiiiiiiiliiliiiiil
	.p2align	8
	.type	_ZL15flash_attn_tileILi128ELi128ELi2ELi2ELb1EEvPKcS1_S1_S1_S1_PKiPfP15HIP_vector_typeIfLj2EEffffjfiS5_IjLj3EEiiiiiiiiiiiliiliiiiil,@function
_ZL15flash_attn_tileILi128ELi128ELi2ELi2ELb1EEvPKcS1_S1_S1_S1_PKiPfP15HIP_vector_typeIfLj2EEffffjfiS5_IjLj3EEiiiiiiiiiiiliiliiiiil: ; @_ZL15flash_attn_tileILi128ELi128ELi2ELi2ELb1EEvPKcS1_S1_S1_S1_PKiPfP15HIP_vector_typeIfLj2EEffffjfiS5_IjLj3EEiiiiiiiiiiiliiliiiiil
; %bb.0:
	s_load_dwordx4 s[0:3], s[4:5], 0x5c
	s_load_dwordx2 s[28:29], s[4:5], 0x80
	s_load_dwordx2 s[34:35], s[4:5], 0xb8
	s_mov_b64 s[30:31], 0
	s_waitcnt lgkmcnt(0)
	s_lshr_b32 s9, s3, 31
	s_add_i32 s9, s3, s9
	s_ashr_i32 s9, s9, 1
	v_cvt_f32_u32_e32 v2, s9
	s_sub_i32 s10, 0, s9
	v_rcp_iflag_f32_e32 v2, v2
	v_mul_f32_e32 v2, 0x4f7ffffe, v2
	v_cvt_u32_f32_e32 v2, v2
	v_readfirstlane_b32 s11, v2
	s_mul_i32 s10, s10, s11
	s_mul_hi_u32 s10, s11, s10
	s_add_i32 s11, s11, s10
	s_mul_hi_u32 s10, s8, s11
	s_mul_i32 s11, s10, s9
	s_sub_i32 s11, s8, s11
	s_add_i32 s12, s10, 1
	s_sub_i32 s13, s11, s9
	s_cmp_ge_u32 s11, s9
	s_cselect_b32 s10, s12, s10
	s_cselect_b32 s11, s13, s11
	s_add_i32 s12, s10, 1
	s_cmp_ge_u32 s11, s9
	s_cselect_b32 s33, s12, s10
	s_abs_i32 s9, s29
	v_cvt_f32_u32_e32 v2, s9
	s_lshl_b32 s8, s8, 1
	s_mul_i32 s12, s33, s3
	s_xor_b32 s10, s3, s29
	v_rcp_iflag_f32_e32 v2, v2
	s_sub_i32 s13, 0, s9
	s_sub_i32 s29, s8, s12
	s_abs_i32 s11, s3
	v_mul_f32_e32 v2, 0x4f7ffffe, v2
	v_cvt_u32_f32_e32 v2, v2
	s_ashr_i32 s10, s10, 31
	v_readfirstlane_b32 s8, v2
	s_mul_i32 s13, s13, s8
	s_mul_hi_u32 s12, s8, s13
	s_add_i32 s8, s8, s12
	s_mul_hi_u32 s8, s11, s8
	s_mul_i32 s12, s8, s9
	s_sub_i32 s11, s11, s12
	s_add_i32 s13, s8, 1
	s_sub_i32 s12, s11, s9
	s_cmp_ge_u32 s11, s9
	s_cselect_b32 s8, s13, s8
	s_cselect_b32 s11, s12, s11
	s_add_i32 s12, s8, 1
	s_cmp_ge_u32 s11, s9
	s_cselect_b32 s8, s12, s8
	s_xor_b32 s8, s8, s10
	s_sub_i32 s37, s8, s10
	s_abs_i32 s36, s37
	v_cvt_f32_u32_e32 v2, s36
	s_load_dwordx16 s[8:23], s[4:5], 0x0
	v_rcp_iflag_f32_e32 v2, v2
	s_waitcnt lgkmcnt(0)
	s_cmp_eq_u64 s[14:15], 0
	v_mul_f32_e32 v2, 0x4f7ffffe, v2
	v_cvt_u32_f32_e32 v2, v2
	v_readfirstlane_b32 s38, v2
	s_cbranch_scc1 .LBB84_2
; %bb.1:
	s_abs_i32 s26, s34
	v_cvt_f32_u32_e32 v2, s26
	s_sub_i32 s31, 0, s26
	s_abs_i32 s30, s33
	s_ashr_i32 s27, s33, 31
	v_rcp_iflag_f32_e32 v2, v2
	s_load_dwordx2 s[24:25], s[4:5], 0xc8
	v_mul_f32_e32 v2, 0x4f7ffffe, v2
	v_cvt_u32_f32_e32 v2, v2
	v_readfirstlane_b32 s34, v2
	s_mul_i32 s31, s31, s34
	s_mul_hi_u32 s31, s34, s31
	s_add_i32 s34, s34, s31
	s_mul_hi_u32 s31, s30, s34
	s_mul_i32 s31, s31, s26
	s_sub_i32 s30, s30, s31
	s_sub_i32 s31, s30, s26
	s_cmp_ge_u32 s30, s26
	s_cselect_b32 s30, s31, s30
	s_sub_i32 s31, s30, s26
	s_cmp_ge_u32 s30, s26
	s_cselect_b32 s26, s31, s30
	s_xor_b32 s26, s26, s27
	s_sub_i32 s26, s26, s27
	s_ashr_i32 s27, s26, 31
	s_waitcnt lgkmcnt(0)
	s_mul_hi_u32 s30, s24, s26
	s_mul_i32 s27, s24, s27
	s_mul_i32 s25, s25, s26
	s_add_i32 s27, s30, s27
	s_add_i32 s27, s27, s25
	s_mul_i32 s24, s24, s26
	s_add_u32 s30, s14, s24
	s_addc_u32 s31, s15, s27
.LBB84_2:
	v_lshrrev_b32_e32 v2, 1, v1
	s_load_dwordx4 s[24:27], s[4:5], 0x70
	v_lshl_add_u32 v38, s6, 1, v2
	v_mul_hi_u32 v2, s0, v38
	v_and_b32_e32 v37, 1, v1
	v_lshlrev_b32_e32 v40, 3, v0
	s_waitcnt lgkmcnt(0)
	s_mul_i32 s0, s33, s26
	v_add_u32_e32 v2, v38, v2
	s_ashr_i32 s15, s0, 31
	v_lshrrev_b32_e32 v2, s1, v2
	s_mul_i32 s14, s29, s25
	s_add_u32 s0, s8, s0
	v_mul_lo_u32 v2, v2, s2
	s_addc_u32 s8, s9, s15
	s_ashr_i32 s9, s14, 31
	s_add_u32 s14, s0, s14
	s_addc_u32 s15, s8, s9
	s_ashr_i32 s1, s25, 31
	s_mov_b32 s0, s25
	s_ashr_i32 s25, s24, 31
	v_sub_u32_e32 v2, v38, v2
	s_lshr_b64 s[8:9], s[24:25], 2
	v_mad_u64_u32 v[3:4], s[8:9], s8, v2, 0
	s_lshr_b64 s[8:9], s[0:1], 2
	s_lshr_b32 s0, s1, 2
	v_mul_lo_u32 v6, s0, v37
	s_lshr_b32 s0, s25, 2
	v_mad_u64_u32 v[4:5], s[0:1], s0, v2, v[4:5]
	v_mul_lo_u32 v5, s8, v37
	v_mov_b32_e32 v7, s15
	v_lshlrev_b64 v[3:4], 2, v[3:4]
	s_load_dword s0, s[4:5], 0x40
	v_lshlrev_b64 v[5:6], 2, v[5:6]
	s_cmp_eq_u64 s[18:19], 0
	v_add_co_u32_e32 v5, vcc, s14, v5
	v_addc_co_u32_e32 v6, vcc, v7, v6, vcc
	v_add_co_u32_e32 v3, vcc, v5, v3
	v_addc_co_u32_e32 v4, vcc, v6, v4, vcc
	v_lshlrev_b32_e32 v5, 4, v0
	v_add_co_u32_e32 v3, vcc, v3, v5
	v_addc_co_u32_e32 v4, vcc, 0, v4, vcc
	global_load_dwordx4 v[3:6], v[3:4], off
	v_mov_b32_e32 v7, 0x4400
	v_lshl_add_u32 v41, v1, 8, v7
	v_add_u32_e32 v7, v41, v40
	s_waitcnt vmcnt(0) lgkmcnt(0)
	v_fma_mixlo_f16 v3, s0, v3, 0
	v_fma_mixlo_f16 v4, s0, v4, 0
	;; [unrolled: 1-line block ×4, first 2 shown]
	v_lshlrev_b32_e32 v4, 16, v4
	v_and_b32_e32 v3, 0xffff, v3
	v_lshlrev_b32_e32 v6, 16, v6
	v_and_b32_e32 v5, 0xffff, v5
	v_or_b32_e32 v3, v4, v3
	v_or3_b32 v4, v6, v5, 0
	v_or3_b32 v3, 0, 0, v3
	ds_write_b64 v7, v[3:4]
	s_waitcnt lgkmcnt(0)
	s_barrier
	s_cbranch_scc1 .LBB84_4
; %bb.3:
	s_load_dword s0, s[4:5], 0xd0
	s_mov_b32 s1, 0
	s_waitcnt lgkmcnt(0)
	s_mul_i32 s0, s0, s33
	s_add_i32 s0, s0, s6
	s_lshl_b64 s[0:1], s[0:1], 2
	s_add_u32 s0, s18, s0
	s_addc_u32 s1, s19, s1
	s_load_dword s28, s[0:1], 0x0
.LBB84_4:
	s_lshl_b32 s6, s7, 6
	s_waitcnt lgkmcnt(0)
	s_cmp_lt_i32 s6, s28
	v_mbcnt_lo_u32_b32 v68, -1, 0
	s_cbranch_scc1 .LBB84_13
; %bb.5:
	v_mbcnt_hi_u32_b32 v44, -1, v68
	v_and_b32_e32 v3, 0x60, v44
	v_add_u32_e32 v72, 32, v3
	v_xor_b32_e32 v71, 16, v44
	v_xor_b32_e32 v36, 8, v44
	;; [unrolled: 1-line block ×5, first 2 shown]
	v_lshlrev_b32_e32 v39, 2, v0
	s_cbranch_execz .LBB84_14
; %bb.6:
	v_mov_b32_e32 v68, 0
	v_mov_b32_e32 v75, 0
	;; [unrolled: 1-line block ×4, first 2 shown]
.LBB84_7:
	v_cmp_lt_i32_e32 vcc, v71, v72
	v_cndmask_b32_e32 v2, v44, v71, vcc
	v_lshlrev_b32_e32 v2, 2, v2
	ds_bpermute_b32 v2, v2, v75
	v_cmp_lt_i32_e32 vcc, v36, v72
	v_cndmask_b32_e32 v3, v44, v36, vcc
	v_lshlrev_b32_e32 v3, 2, v3
	v_cmp_lt_i32_e32 vcc, v35, v72
	s_waitcnt lgkmcnt(0)
	v_add_f32_e32 v2, v75, v2
	ds_bpermute_b32 v3, v3, v2
	v_cndmask_b32_e32 v4, v44, v35, vcc
	v_lshlrev_b32_e32 v4, 2, v4
	v_cmp_lt_i32_e32 vcc, v73, v72
	s_cmp_lg_u64 s[16:17], 0
	s_waitcnt lgkmcnt(0)
	v_add_f32_e32 v2, v2, v3
	ds_bpermute_b32 v3, v4, v2
	v_cndmask_b32_e32 v4, v44, v73, vcc
	v_lshlrev_b32_e32 v4, 2, v4
	v_cmp_lt_i32_e32 vcc, v74, v72
	s_cselect_b64 s[0:1], -1, 0
	s_waitcnt lgkmcnt(0)
	v_add_f32_e32 v2, v2, v3
	ds_bpermute_b32 v3, v4, v2
	v_cndmask_b32_e32 v4, v44, v74, vcc
	v_lshlrev_b32_e32 v4, 2, v4
	s_cmp_eq_u32 s7, 0
	s_cselect_b64 s[8:9], -1, 0
	s_waitcnt lgkmcnt(0)
	v_add_f32_e32 v2, v2, v3
	ds_bpermute_b32 v3, v4, v2
	s_and_b64 s[0:1], s[8:9], s[0:1]
	s_and_b64 vcc, exec, s[0:1]
	s_waitcnt lgkmcnt(0)
	v_add_f32_e32 v2, v2, v3
	s_cbranch_vccz .LBB84_9
; %bb.8:
	v_add_u32_e32 v3, s29, v37
	v_ashrrev_i32_e32 v4, 31, v3
	v_lshlrev_b64 v[3:4], 2, v[3:4]
	v_mov_b32_e32 v5, s17
	v_add_co_u32_e32 v3, vcc, s16, v3
	v_addc_co_u32_e32 v4, vcc, v5, v4, vcc
	global_load_dword v3, v[3:4], off
	v_max_f32_e32 v4, v1, v1
	s_mov_b32 s0, 0x3fb8aa3b
	s_mov_b32 s1, 0xc2ce8ed0
	s_waitcnt vmcnt(0)
	v_max_f32_e32 v5, v3, v3
	v_max_f32_e32 v4, v4, v5
	v_sub_f32_e32 v1, v1, v4
	v_sub_f32_e32 v3, v3, v4
	v_mul_f32_e32 v5, 0x3fb8aa3b, v1
	v_mul_f32_e32 v6, 0x3fb8aa3b, v3
	v_fma_f32 v7, v1, s0, -v5
	v_rndne_f32_e32 v8, v5
	v_fma_f32 v9, v3, s0, -v6
	v_rndne_f32_e32 v10, v6
	v_fmac_f32_e32 v7, 0x32a5705f, v1
	v_sub_f32_e32 v5, v5, v8
	v_fmac_f32_e32 v9, 0x32a5705f, v3
	v_sub_f32_e32 v6, v6, v10
	v_add_f32_e32 v5, v5, v7
	v_cvt_i32_f32_e32 v8, v8
	v_add_f32_e32 v6, v6, v9
	v_exp_f32_e32 v5, v5
	v_cvt_i32_f32_e32 v10, v10
	v_exp_f32_e32 v6, v6
	v_cmp_ngt_f32_e32 vcc, s1, v1
	v_ldexp_f32 v5, v5, v8
	s_mov_b32 s0, 0x42b17218
	v_ldexp_f32 v6, v6, v10
	v_cndmask_b32_e32 v5, 0, v5, vcc
	v_cmp_ngt_f32_e32 vcc, s1, v3
	v_mov_b32_e32 v7, 0x7f800000
	v_cndmask_b32_e32 v6, 0, v6, vcc
	v_cmp_nlt_f32_e32 vcc, s0, v1
	v_cndmask_b32_e32 v1, v7, v5, vcc
	v_cvt_f16_f32_e32 v5, v1
	v_cmp_nlt_f32_e32 vcc, s0, v3
	v_cndmask_b32_e32 v3, v7, v6, vcc
	v_fmac_f32_e32 v3, v2, v1
	v_mul_u32_u24_e32 v1, 0x10001, v5
	v_mov_b32_e32 v2, v3
	v_pk_mul_f16 v67, v67, v1
	v_pk_mul_f16 v68, v68, v1
	v_mov_b32_e32 v1, v4
.LBB84_9:
	v_cmp_gt_i32_e32 vcc, s2, v38
	s_and_saveexec_b64 s[0:1], vcc
	s_cbranch_execz .LBB84_12
; %bb.10:
	v_div_scale_f32 v3, s[0:1], v2, v2, 1.0
	v_div_scale_f32 v4, vcc, 1.0, v2, 1.0
	s_mul_i32 s33, s33, s2
	v_add_u32_e32 v8, s33, v38
	s_load_dword s0, s[4:5], 0xd4
	v_mul_lo_u32 v8, v8, s3
	v_mov_b32_e32 v5, 0
	v_mov_b32_e32 v7, s21
	v_cvt_f32_f16_e32 v11, v68
	v_cvt_f32_f16_sdwa v12, v68 dst_sel:DWORD dst_unused:UNUSED_PAD src0_sel:WORD_1
	s_waitcnt lgkmcnt(0)
	s_cmp_lg_u32 s0, 1
	v_rcp_f32_e32 v6, v3
	v_fma_f32 v9, -v3, v6, 1.0
	v_fmac_f32_e32 v6, v9, v6
	v_mul_f32_e32 v9, v4, v6
	v_fma_f32 v10, -v3, v9, v4
	v_fmac_f32_e32 v9, v10, v6
	v_fma_f32 v3, -v3, v9, v4
	v_div_fmas_f32 v6, v3, v6, v9
	v_add3_u32 v3, s29, v37, v8
	v_mul_lo_u32 v3, s0, v3
	v_cmp_eq_u32_e32 vcc, 0, v0
	v_cvt_f32_f16_e32 v0, v67
	v_cvt_f32_f16_sdwa v10, v67 dst_sel:DWORD dst_unused:UNUSED_PAD src0_sel:WORD_1
	v_add_u32_e32 v3, s7, v3
	v_lshl_add_u32 v4, v3, 7, v39
	v_lshlrev_b64 v[4:5], 2, v[4:5]
	v_add_co_u32_e64 v8, s[0:1], s20, v4
	v_addc_co_u32_e64 v9, s[0:1], v7, v5, s[0:1]
	s_cselect_b64 s[0:1], -1, 0
	v_div_fixup_f32 v4, v6, v2, 1.0
	v_cndmask_b32_e64 v7, v4, 1.0, s[0:1]
	s_and_b64 s[0:1], vcc, s[0:1]
	v_mul_f32_e32 v4, v7, v0
	v_mul_f32_e32 v5, v7, v10
	;; [unrolled: 1-line block ×4, first 2 shown]
	global_store_dwordx4 v[8:9], v[4:7], off
	s_and_b64 exec, exec, s[0:1]
	s_cbranch_execz .LBB84_12
; %bb.11:
	v_ashrrev_i32_e32 v4, 31, v3
	v_lshlrev_b64 v[3:4], 3, v[3:4]
	v_mov_b32_e32 v0, s23
	v_add_co_u32_e32 v3, vcc, s22, v3
	v_addc_co_u32_e32 v4, vcc, v0, v4, vcc
	global_store_dwordx2 v[3:4], v[1:2], off
.LBB84_12:
	s_endpgm
.LBB84_13:
                                        ; implicit-def: $vgpr44
                                        ; implicit-def: $vgpr72
                                        ; implicit-def: $vgpr71
                                        ; implicit-def: $vgpr36
                                        ; implicit-def: $vgpr35
                                        ; implicit-def: $vgpr73
                                        ; implicit-def: $vgpr74
	v_lshlrev_b32_e32 v39, 2, v0
.LBB84_14:
	s_sub_i32 s0, 0, s36
	s_mul_i32 s0, s0, s38
	s_mul_hi_u32 s0, s38, s0
	s_add_i32 s38, s38, s0
	s_load_dwordx4 s[24:27], s[4:5], 0x98
	s_load_dword s14, s[4:5], 0x54
	s_load_dwordx2 s[0:1], s[4:5], 0x8c
	s_abs_i32 s19, s29
	s_mul_hi_u32 s34, s19, s38
	s_waitcnt lgkmcnt(0)
	s_ashr_i32 s15, s26, 2
	s_ashr_i32 s26, s35, 1
	;; [unrolled: 1-line block ×4, first 2 shown]
	s_mul_hi_u32 s35, s24, s33
	s_mul_i32 s39, s24, s0
	s_add_i32 s35, s35, s39
	s_mul_i32 s25, s25, s33
	s_ashr_i32 s38, s29, 31
	s_ashr_i32 s37, s37, 31
	s_add_i32 s35, s35, s25
	s_mul_i32 s24, s24, s33
	s_add_u32 s10, s10, s24
	s_mul_i32 s25, s34, s36
	s_addc_u32 s11, s11, s35
	s_sub_i32 s19, s19, s25
	s_xor_b32 s24, s38, s37
	s_add_i32 s25, s34, 1
	s_sub_i32 s35, s19, s36
	s_cmp_ge_u32 s19, s36
	s_cselect_b32 s25, s25, s34
	s_cselect_b32 s19, s35, s19
	s_add_i32 s34, s25, 1
	s_cmp_ge_u32 s19, s36
	s_load_dwordx2 s[8:9], s[4:5], 0xa8
	s_cselect_b32 s19, s34, s25
	s_xor_b32 s19, s19, s24
	s_sub_i32 s19, s19, s24
	s_mul_i32 s1, s19, s1
	s_ashr_i32 s24, s1, 31
	s_add_u32 s10, s10, s1
	s_waitcnt lgkmcnt(0)
	s_mul_hi_u32 s1, s8, s33
	s_mul_i32 s0, s8, s0
	s_addc_u32 s11, s11, s24
	s_add_i32 s0, s1, s0
	s_mul_i32 s1, s9, s33
	s_add_i32 s0, s0, s1
	s_mul_i32 s1, s8, s33
	v_lshrrev_b32_e32 v3, 4, v0
	s_add_u32 s1, s12, s1
	s_mul_i32 s19, s19, s27
	v_lshl_add_u32 v21, v1, 1, v3
	s_addc_u32 s0, s13, s0
	s_ashr_i32 s8, s19, 31
	v_mul_lo_u32 v4, s18, v21
	s_add_u32 s12, s1, s19
	v_and_b32_e32 v36, 60, v39
	s_addc_u32 s13, s0, s8
	v_lshlrev_b32_e32 v22, 2, v36
	s_movk_i32 s0, 0x110
	v_mad_u32_u24 v42, v21, s0, v22
	s_lshl_b32 s0, s18, 3
	v_add_u32_e32 v6, s0, v4
	v_add_u32_e32 v8, s0, v6
	;; [unrolled: 1-line block ×5, first 2 shown]
	v_mul_lo_u32 v20, s15, v21
	v_add_u32_e32 v16, s0, v14
	v_add_u32_e32 v18, s0, v16
	v_mad_u64_u32 v[2:3], s[0:1], v2, s26, v[0:1]
	s_lshl_b32 s0, s15, 3
	v_lshl_or_b32 v54, v21, 8, v22
	v_add_u32_e32 v22, s0, v20
	v_add_u32_e32 v24, s0, v22
	;; [unrolled: 1-line block ×7, first 2 shown]
	v_ashrrev_i32_e32 v5, 31, v4
	v_ashrrev_i32_e32 v7, 31, v6
	;; [unrolled: 1-line block ×8, first 2 shown]
	v_mov_b32_e32 v3, 0x4800
	v_ashrrev_i32_e32 v21, 31, v20
	v_ashrrev_i32_e32 v23, 31, v22
	v_ashrrev_i32_e32 v25, 31, v24
	v_ashrrev_i32_e32 v27, 31, v26
	v_ashrrev_i32_e32 v29, 31, v28
	v_ashrrev_i32_e32 v31, 31, v30
	v_ashrrev_i32_e32 v33, 31, v32
	v_ashrrev_i32_e32 v35, 31, v34
	v_lshl_add_u32 v52, v1, 7, v3
	s_add_u32 s0, s4, 0xd0
	v_lshlrev_b64 v[3:4], 2, v[4:5]
	v_lshlrev_b64 v[5:6], 2, v[6:7]
	;; [unrolled: 1-line block ×16, first 2 shown]
	v_mov_b32_e32 v67, 0
	v_add_u32_e32 v43, 0x880, v42
	v_add_u32_e32 v45, 0x1100, v42
	;; [unrolled: 1-line block ×7, first 2 shown]
	v_mul_u32_u24_e32 v51, 0x110, v0
	v_lshl_add_u32 v53, v0, 1, v52
	v_add_u32_e32 v55, 0x800, v54
	v_add_u32_e32 v56, 0x1000, v54
	;; [unrolled: 1-line block ×7, first 2 shown]
	s_addc_u32 s1, s5, 0
	v_mov_b32_e32 v70, 0xfeffffff
	v_lshlrev_b32_e32 v62, 2, v36
	s_mov_b32 s19, 0x3f200000
	s_mov_b32 s24, 0x3fb8aa3b
	;; [unrolled: 1-line block ×4, first 2 shown]
	v_mov_b32_e32 v63, 0xbd5c1c4e
	v_mov_b32_e32 v64, 0x3e088382
	;; [unrolled: 1-line block ×3, first 2 shown]
	s_brev_b32 s27, -2
	s_mov_b32 s34, 0x10001
	v_mov_b32_e32 v66, 0x7f800000
	v_mbcnt_hi_u32_b32 v44, -1, v68
	v_mov_b32_e32 v68, 0
	v_mov_b32_e32 v69, 0
.LBB84_15:                              ; =>This Inner Loop Header: Depth=1
	s_mul_hi_i32 s9, s6, s18
	s_mul_i32 s8, s6, s18
	s_lshl_b64 s[8:9], s[8:9], 2
	s_add_u32 s8, s10, s8
	s_addc_u32 s9, s11, s9
	v_mov_b32_e32 v1, s9
	v_add_co_u32_e32 v35, vcc, s8, v3
	v_addc_co_u32_e32 v1, vcc, v1, v4, vcc
	v_add_co_u32_e32 v35, vcc, v35, v62
	v_addc_co_u32_e32 v36, vcc, 0, v1, vcc
	v_mov_b32_e32 v1, s9
	v_add_co_u32_e32 v71, vcc, s8, v5
	v_addc_co_u32_e32 v1, vcc, v1, v6, vcc
	v_add_co_u32_e32 v75, vcc, v71, v62
	v_addc_co_u32_e32 v76, vcc, 0, v1, vcc
	global_load_dwordx4 v[71:74], v[35:36], off
	s_nop 0
	global_load_dwordx4 v[75:78], v[75:76], off
	v_mov_b32_e32 v1, s9
	v_add_co_u32_e32 v35, vcc, s8, v7
	v_addc_co_u32_e32 v1, vcc, v1, v8, vcc
	v_add_co_u32_e32 v35, vcc, v35, v62
	v_addc_co_u32_e32 v36, vcc, 0, v1, vcc
	v_mov_b32_e32 v1, s9
	v_add_co_u32_e32 v79, vcc, s8, v9
	v_addc_co_u32_e32 v1, vcc, v1, v10, vcc
	v_add_co_u32_e32 v83, vcc, v79, v62
	v_addc_co_u32_e32 v84, vcc, 0, v1, vcc
	global_load_dwordx4 v[79:82], v[35:36], off
	s_nop 0
	global_load_dwordx4 v[83:86], v[83:84], off
	;; [unrolled: 13-line block ×4, first 2 shown]
	v_mov_b32_e32 v1, 0
	s_waitcnt vmcnt(7)
	ds_write_b128 v42, v[71:74]
	s_waitcnt vmcnt(6)
	ds_write_b128 v43, v[75:78]
	;; [unrolled: 2-line block ×8, first 2 shown]
	s_waitcnt lgkmcnt(0)
	s_barrier
	ds_read_b128 v[71:74], v51
	ds_read_b128 v[75:78], v41
	ds_read_b128 v[79:82], v51 offset:8704
	s_waitcnt lgkmcnt(1)
	;;#ASMSTART
	v_dot2_f32_f16 v1, v71, v75, v1
	;;#ASMEND
	;;#ASMSTART
	v_dot2_f32_f16 v1, v72, v76, v1
	;;#ASMEND
	;; [unrolled: 3-line block ×3, first 2 shown]
	v_mov_b32_e32 v72, 0
	;;#ASMSTART
	v_dot2_f32_f16 v1, v74, v78, v1
	;;#ASMEND
	s_waitcnt lgkmcnt(0)
	;;#ASMSTART
	v_dot2_f32_f16 v72, v79, v75, v72
	;;#ASMEND
	;;#ASMSTART
	v_dot2_f32_f16 v72, v80, v76, v72
	;;#ASMEND
	;;#ASMSTART
	v_dot2_f32_f16 v72, v81, v77, v72
	;;#ASMEND
	;;#ASMSTART
	v_dot2_f32_f16 v72, v82, v78, v72
	;;#ASMEND
	ds_read_b128 v[73:76], v51 offset:16
	ds_read_b128 v[77:80], v41 offset:16
	ds_read_b128 v[81:84], v51 offset:8720
	s_waitcnt lgkmcnt(1)
	;;#ASMSTART
	v_dot2_f32_f16 v1, v73, v77, v1
	;;#ASMEND
	;;#ASMSTART
	v_dot2_f32_f16 v1, v74, v78, v1
	;;#ASMEND
	;;#ASMSTART
	v_dot2_f32_f16 v1, v75, v79, v1
	;;#ASMEND
	;;#ASMSTART
	v_dot2_f32_f16 v1, v76, v80, v1
	;;#ASMEND
	s_waitcnt lgkmcnt(0)
	;;#ASMSTART
	v_dot2_f32_f16 v72, v81, v77, v72
	;;#ASMEND
	;;#ASMSTART
	v_dot2_f32_f16 v72, v82, v78, v72
	;;#ASMEND
	;;#ASMSTART
	v_dot2_f32_f16 v72, v83, v79, v72
	;;#ASMEND
	;;#ASMSTART
	v_dot2_f32_f16 v72, v84, v80, v72
	;;#ASMEND
	ds_read_b128 v[73:76], v51 offset:32
	ds_read_b128 v[77:80], v41 offset:32
	ds_read_b128 v[81:84], v51 offset:8736
	s_waitcnt lgkmcnt(1)
	;;#ASMSTART
	v_dot2_f32_f16 v1, v73, v77, v1
	;;#ASMEND
	;;#ASMSTART
	v_dot2_f32_f16 v1, v74, v78, v1
	;;#ASMEND
	;;#ASMSTART
	v_dot2_f32_f16 v1, v75, v79, v1
	;;#ASMEND
	;; [unrolled: 29-line block ×15, first 2 shown]
	;;#ASMSTART
	v_dot2_f32_f16 v1, v76, v80, v1
	;;#ASMEND
	s_waitcnt lgkmcnt(0)
	;;#ASMSTART
	v_dot2_f32_f16 v72, v81, v77, v72
	;;#ASMEND
	;;#ASMSTART
	v_dot2_f32_f16 v72, v82, v78, v72
	;;#ASMEND
	;; [unrolled: 3-line block ×3, first 2 shown]
	v_cmp_nlt_f32_e64 s[8:9], |v1|, s19
	;;#ASMSTART
	v_dot2_f32_f16 v72, v84, v80, v72
	;;#ASMEND
                                        ; implicit-def: $vgpr71
	s_and_saveexec_b64 s[36:37], s[8:9]
	s_xor_b64 s[8:9], exec, s[36:37]
	s_cbranch_execz .LBB84_17
; %bb.16:                               ;   in Loop: Header=BB84_15 Depth=1
	v_add_f32_e64 v35, |v1|, |v1|
	v_mul_f32_e32 v36, 0x3fb8aa3b, v35
	v_rndne_f32_e32 v71, v36
	v_sub_f32_e32 v73, v36, v71
	v_fma_f32 v36, v35, s24, -v36
	v_fmac_f32_e32 v36, 0x32a5705f, v35
	v_add_f32_e32 v36, v73, v36
	v_cvt_i32_f32_e32 v71, v71
	v_exp_f32_e32 v36, v36
	v_cmp_ngt_f32_e32 vcc, s25, v35
	v_ldexp_f32 v36, v36, v71
	v_cndmask_b32_e32 v36, 0, v36, vcc
	v_cmp_nlt_f32_e32 vcc, s26, v35
	v_cndmask_b32_e32 v35, v66, v36, vcc
	v_add_f32_e32 v35, 1.0, v35
	v_rcp_f32_e32 v35, v35
	v_fma_f32 v71, v35, -2.0, 1.0
.LBB84_17:                              ;   in Loop: Header=BB84_15 Depth=1
	s_andn2_saveexec_b64 s[8:9], s[8:9]
; %bb.18:                               ;   in Loop: Header=BB84_15 Depth=1
	v_mul_f32_e32 v35, v1, v1
	v_mov_b32_e32 v36, 0x3ca908c9
	v_fmac_f32_e32 v36, 0xbbbac73d, v35
	v_fma_f32 v36, v35, v36, v63
	v_fma_f32 v36, v35, v36, v64
	;; [unrolled: 1-line block ×3, first 2 shown]
	v_mul_f32_e64 v36, |v1|, v36
	v_fma_f32 v71, v35, v36, |v1|
; %bb.19:                               ;   in Loop: Header=BB84_15 Depth=1
	s_or_b64 exec, exec, s[8:9]
	v_add_u32_e32 v35, s6, v2
	v_ashrrev_i32_e32 v36, 31, v35
	v_lshlrev_b64 v[35:36], 1, v[35:36]
	v_mov_b32_e32 v73, s31
	v_add_co_u32_e32 v35, vcc, s30, v35
	v_addc_co_u32_e32 v36, vcc, v73, v36, vcc
	global_load_ushort v73, v[35:36], off
	v_cmp_nlt_f32_e64 s[8:9], |v72|, s19
                                        ; implicit-def: $vgpr74
	s_and_saveexec_b64 s[36:37], s[8:9]
	s_xor_b64 s[8:9], exec, s[36:37]
	s_cbranch_execz .LBB84_21
; %bb.20:                               ;   in Loop: Header=BB84_15 Depth=1
	v_add_f32_e64 v74, |v72|, |v72|
	v_mul_f32_e32 v75, 0x3fb8aa3b, v74
	v_rndne_f32_e32 v76, v75
	v_sub_f32_e32 v77, v75, v76
	v_fma_f32 v75, v74, s24, -v75
	v_fmac_f32_e32 v75, 0x32a5705f, v74
	v_add_f32_e32 v75, v77, v75
	v_cvt_i32_f32_e32 v76, v76
	v_exp_f32_e32 v75, v75
	v_cmp_ngt_f32_e32 vcc, s25, v74
	v_ldexp_f32 v75, v75, v76
	v_cndmask_b32_e32 v75, 0, v75, vcc
	v_cmp_nlt_f32_e32 vcc, s26, v74
	v_cndmask_b32_e32 v74, v66, v75, vcc
	v_add_f32_e32 v74, 1.0, v74
	v_rcp_f32_e32 v74, v74
	v_fma_f32 v74, v74, -2.0, 1.0
.LBB84_21:                              ;   in Loop: Header=BB84_15 Depth=1
	s_andn2_saveexec_b64 s[8:9], s[8:9]
; %bb.22:                               ;   in Loop: Header=BB84_15 Depth=1
	v_mul_f32_e32 v74, v72, v72
	v_mov_b32_e32 v75, 0x3ca908c9
	v_fmac_f32_e32 v75, 0xbbbac73d, v74
	v_fma_f32 v75, v74, v75, v63
	v_fma_f32 v75, v74, v75, v64
	;; [unrolled: 1-line block ×3, first 2 shown]
	v_mul_f32_e64 v75, |v72|, v75
	v_fma_f32 v74, v74, v75, |v72|
; %bb.23:                               ;   in Loop: Header=BB84_15 Depth=1
	s_or_b64 exec, exec, s[8:9]
	global_load_ushort v75, v[35:36], off offset:64
	v_and_b32_e32 v76, 0x60, v44
	v_xor_b32_e32 v35, 4, v44
	v_bfi_b32 v77, s27, v74, v72
	s_mul_hi_i32 s9, s6, s15
	s_mul_i32 s8, s6, s15
	v_add_u32_e32 v72, 32, v76
	v_bfi_b32 v1, s27, v71, v1
	v_xor_b32_e32 v36, 8, v44
	s_lshl_b64 s[8:9], s[8:9], 2
	v_cmp_lt_i32_e32 vcc, v35, v72
	v_xor_b32_e32 v71, 16, v44
	s_waitcnt vmcnt(1)
	v_fma_mix_f32 v108, s14, v1, v73 op_sel_hi:[0,0,1]
	v_cndmask_b32_e32 v73, v44, v35, vcc
	v_cmp_lt_i32_e32 vcc, v36, v72
	s_add_u32 s8, s12, s8
	v_cndmask_b32_e32 v74, v44, v36, vcc
	v_cmp_lt_i32_e32 vcc, v71, v72
	s_addc_u32 s9, s13, s9
	v_cndmask_b32_e32 v76, v44, v71, vcc
	v_lshlrev_b32_e32 v79, 2, v73
	v_mov_b32_e32 v73, s9
	v_add_co_u32_e32 v85, vcc, s8, v19
	v_addc_co_u32_e32 v86, vcc, v73, v20, vcc
	v_lshlrev_b32_e32 v78, 2, v74
	v_mov_b32_e32 v74, s9
	v_add_co_u32_e32 v87, vcc, s8, v21
	v_addc_co_u32_e32 v88, vcc, v74, v22, vcc
	v_mov_b32_e32 v80, s9
	v_add_co_u32_e32 v89, vcc, s8, v23
	v_addc_co_u32_e32 v90, vcc, v80, v24, vcc
	;; [unrolled: 3-line block ×5, first 2 shown]
	v_mov_b32_e32 v84, s9
	v_add_co_u32_e32 v95, vcc, s8, v31
	v_add_f32_e32 v1, 0x40051340, v108
	v_addc_co_u32_e32 v98, vcc, v84, v32, vcc
	v_lshlrev_b32_e32 v76, 2, v76
	v_add_co_u32_e32 v73, vcc, v85, v62
	v_addc_co_u32_e32 v74, vcc, 0, v86, vcc
	v_add_co_u32_e32 v80, vcc, v87, v62
	v_addc_co_u32_e32 v81, vcc, 0, v88, vcc
	;; [unrolled: 2-line block ×5, first 2 shown]
	v_add_co_u32_e32 v96, vcc, v94, v62
	s_waitcnt vmcnt(0)
	v_fma_mix_f32 v75, s14, v77, v75 op_sel_hi:[0,0,1]
	v_add_f32_e32 v77, 0x40051340, v75
	v_max3_f32 v1, v70, v1, v77
	ds_bpermute_b32 v76, v76, v1
	v_addc_co_u32_e32 v97, vcc, 0, v83, vcc
	v_add_co_u32_e32 v100, vcc, v95, v62
	s_waitcnt lgkmcnt(0)
	v_max_f32_e32 v76, v76, v76
	v_max_f32_e32 v1, v1, v76
	ds_bpermute_b32 v76, v78, v1
	v_addc_co_u32_e32 v101, vcc, 0, v98, vcc
	v_add_co_u32_e32 v77, vcc, s8, v33
	s_waitcnt lgkmcnt(0)
	v_max_f32_e32 v76, v76, v76
	v_max_f32_e32 v1, v1, v76
	v_mov_b32_e32 v76, s9
	v_addc_co_u32_e32 v76, vcc, v76, v34, vcc
	v_add_co_u32_e32 v104, vcc, v77, v62
	v_addc_co_u32_e32 v105, vcc, 0, v76, vcc
	s_barrier
	ds_bpermute_b32 v109, v79, v1
	global_load_dwordx4 v[76:79], v[73:74], off
	s_nop 0
	global_load_dwordx4 v[80:83], v[80:81], off
	s_nop 0
	;; [unrolled: 2-line block ×7, first 2 shown]
	global_load_dwordx4 v[104:107], v[104:105], off
	v_xor_b32_e32 v73, 2, v44
	v_cmp_lt_i32_e32 vcc, v73, v72
	v_cndmask_b32_e32 v74, v44, v73, vcc
	s_waitcnt lgkmcnt(0)
	v_max_f32_e32 v109, v109, v109
	v_lshlrev_b32_e32 v74, 2, v74
	v_max_f32_e32 v1, v1, v109
	ds_bpermute_b32 v109, v74, v1
	v_xor_b32_e32 v74, 1, v44
	v_cmp_lt_i32_e32 vcc, v74, v72
	v_cndmask_b32_e32 v110, v44, v74, vcc
	v_lshlrev_b32_e32 v110, 2, v110
	s_waitcnt lgkmcnt(0)
	v_max_f32_e32 v109, v109, v109
	v_max_f32_e32 v1, v1, v109
	ds_bpermute_b32 v109, v110, v1
	s_waitcnt lgkmcnt(0)
	v_max_f32_e32 v109, v109, v109
	v_max_f32_e32 v1, v1, v109
	v_sub_f32_e32 v108, v108, v1
	v_mul_f32_e32 v109, 0x3fb8aa3b, v108
	v_fma_f32 v110, v108, s24, -v109
	v_rndne_f32_e32 v111, v109
	v_fmac_f32_e32 v110, 0x32a5705f, v108
	v_sub_f32_e32 v109, v109, v111
	v_add_f32_e32 v109, v109, v110
	v_exp_f32_e32 v109, v109
	v_cvt_i32_f32_e32 v110, v111
	v_sub_f32_e32 v75, v75, v1
	v_sub_f32_e32 v70, v70, v1
	v_cmp_ngt_f32_e32 vcc, s25, v108
	v_ldexp_f32 v109, v109, v110
	v_mul_f32_e32 v110, 0x3fb8aa3b, v75
	v_fma_f32 v111, v75, s24, -v110
	v_rndne_f32_e32 v112, v110
	v_fmac_f32_e32 v111, 0x32a5705f, v75
	v_sub_f32_e32 v110, v110, v112
	v_add_f32_e32 v110, v110, v111
	v_exp_f32_e32 v110, v110
	v_cvt_i32_f32_e32 v111, v112
	v_cndmask_b32_e32 v109, 0, v109, vcc
	v_cmp_nlt_f32_e32 vcc, s26, v108
	v_cndmask_b32_e32 v108, v66, v109, vcc
	v_ldexp_f32 v110, v110, v111
	v_mul_f32_e32 v111, 0x3fb8aa3b, v70
	v_fma_f32 v112, v70, s24, -v111
	v_rndne_f32_e32 v113, v111
	v_fmac_f32_e32 v112, 0x32a5705f, v70
	v_sub_f32_e32 v111, v111, v113
	v_add_f32_e32 v111, v111, v112
	v_exp_f32_e32 v111, v111
	v_cvt_i32_f32_e32 v112, v113
	v_cmp_ngt_f32_e32 vcc, s25, v75
	v_cndmask_b32_e32 v110, 0, v110, vcc
	v_cmp_nlt_f32_e32 vcc, s26, v75
	v_cndmask_b32_e32 v110, v66, v110, vcc
	v_ldexp_f32 v75, v111, v112
	v_cmp_ngt_f32_e32 vcc, s25, v70
	v_cvt_f16_f32_e32 v109, v108
	v_cndmask_b32_e32 v75, 0, v75, vcc
	v_cmp_nlt_f32_e32 vcc, s26, v70
	v_cndmask_b32_e32 v70, v66, v75, vcc
	v_add_f32_e32 v75, v108, v110
	v_cvt_f16_f32_e32 v108, v110
	v_cvt_f16_f32_e32 v111, v70
	v_fmac_f32_e32 v75, v69, v70
	ds_write_b16 v53, v109
	ds_write_b16 v53, v108 offset:64
	s_waitcnt vmcnt(7)
	ds_write_b128 v54, v[76:79]
	s_waitcnt vmcnt(6)
	ds_write_b128 v55, v[80:83]
	;; [unrolled: 2-line block ×8, first 2 shown]
	s_waitcnt lgkmcnt(0)
	s_barrier
	ds_read_b128 v[76:79], v52
	ds_read2_b64 v[80:83], v40 offset1:32
	ds_read_b128 v[84:87], v52 offset:16
	ds_read_b128 v[88:91], v52 offset:32
	;; [unrolled: 1-line block ×3, first 2 shown]
	s_waitcnt lgkmcnt(4)
	v_mul_u32_u24_sdwa v70, v76, s34 dst_sel:DWORD dst_unused:UNUSED_PAD src0_sel:WORD_0 src1_sel:DWORD
	v_mul_u32_u24_e32 v69, 0x10001, v111
	s_waitcnt lgkmcnt(3)
	v_pk_mul_f16 v80, v80, v70
	v_pk_fma_f16 v80, v67, v69, v80
	v_pk_mul_f16 v67, v81, v70
	v_pk_fma_f16 v81, v68, v69, v67
	ds_read2_b64 v[67:70], v40 offset0:64 offset1:96
	v_mul_u32_u24_sdwa v76, v76, s34 dst_sel:DWORD dst_unused:UNUSED_PAD src0_sel:WORD_1 src1_sel:DWORD
	v_pk_fma_f16 v80, v82, v76, v80
	v_pk_fma_f16 v76, v83, v76, v81
	v_mul_u32_u24_sdwa v81, v77, s34 dst_sel:DWORD dst_unused:UNUSED_PAD src0_sel:WORD_0 src1_sel:DWORD
	s_waitcnt lgkmcnt(0)
	v_pk_fma_f16 v67, v67, v81, v80
	v_pk_fma_f16 v68, v68, v81, v76
	ds_read2_b64 v[80:83], v40 offset0:128 offset1:160
	v_mul_u32_u24_sdwa v76, v77, s34 dst_sel:DWORD dst_unused:UNUSED_PAD src0_sel:WORD_1 src1_sel:DWORD
	v_pk_fma_f16 v67, v69, v76, v67
	v_pk_fma_f16 v68, v70, v76, v68
	v_mul_u32_u24_sdwa v69, v78, s34 dst_sel:DWORD dst_unused:UNUSED_PAD src0_sel:WORD_0 src1_sel:DWORD
	s_waitcnt lgkmcnt(0)
	v_pk_fma_f16 v76, v80, v69, v67
	v_pk_fma_f16 v77, v81, v69, v68
	ds_read2_b64 v[67:70], v40 offset0:192 offset1:224
	v_mul_u32_u24_sdwa v78, v78, s34 dst_sel:DWORD dst_unused:UNUSED_PAD src0_sel:WORD_1 src1_sel:DWORD
	v_add_u32_e32 v96, 0x800, v40
	v_pk_fma_f16 v76, v82, v78, v76
	v_pk_fma_f16 v77, v83, v78, v77
	ds_read2_b64 v[80:83], v96 offset1:32
	v_mul_u32_u24_sdwa v78, v79, s34 dst_sel:DWORD dst_unused:UNUSED_PAD src0_sel:WORD_0 src1_sel:DWORD
	s_waitcnt lgkmcnt(1)
	v_pk_fma_f16 v67, v67, v78, v76
	v_pk_fma_f16 v68, v68, v78, v77
	v_mul_u32_u24_sdwa v76, v79, s34 dst_sel:DWORD dst_unused:UNUSED_PAD src0_sel:WORD_1 src1_sel:DWORD
	v_pk_fma_f16 v67, v69, v76, v67
	v_pk_fma_f16 v68, v70, v76, v68
	v_mul_u32_u24_sdwa v69, v84, s34 dst_sel:DWORD dst_unused:UNUSED_PAD src0_sel:WORD_0 src1_sel:DWORD
	s_waitcnt lgkmcnt(0)
	v_pk_fma_f16 v76, v80, v69, v67
	v_pk_fma_f16 v77, v81, v69, v68
	ds_read2_b64 v[67:70], v96 offset0:64 offset1:96
	v_mul_u32_u24_sdwa v78, v84, s34 dst_sel:DWORD dst_unused:UNUSED_PAD src0_sel:WORD_1 src1_sel:DWORD
	v_pk_fma_f16 v76, v82, v78, v76
	v_pk_fma_f16 v77, v83, v78, v77
	v_mul_u32_u24_sdwa v78, v85, s34 dst_sel:DWORD dst_unused:UNUSED_PAD src0_sel:WORD_0 src1_sel:DWORD
	s_waitcnt lgkmcnt(0)
	v_pk_fma_f16 v67, v67, v78, v76
	v_pk_fma_f16 v68, v68, v78, v77
	ds_read2_b64 v[76:79], v96 offset0:128 offset1:160
	v_mul_u32_u24_sdwa v80, v85, s34 dst_sel:DWORD dst_unused:UNUSED_PAD src0_sel:WORD_1 src1_sel:DWORD
	v_pk_fma_f16 v67, v69, v80, v67
	v_pk_fma_f16 v68, v70, v80, v68
	v_mul_u32_u24_sdwa v69, v86, s34 dst_sel:DWORD dst_unused:UNUSED_PAD src0_sel:WORD_0 src1_sel:DWORD
	s_waitcnt lgkmcnt(0)
	v_pk_fma_f16 v76, v76, v69, v67
	v_pk_fma_f16 v77, v77, v69, v68
	ds_read2_b64 v[67:70], v96 offset0:192 offset1:224
	v_mul_u32_u24_sdwa v80, v86, s34 dst_sel:DWORD dst_unused:UNUSED_PAD src0_sel:WORD_1 src1_sel:DWORD
	v_pk_fma_f16 v76, v78, v80, v76
	v_pk_fma_f16 v77, v79, v80, v77
	v_mul_u32_u24_sdwa v78, v87, s34 dst_sel:DWORD dst_unused:UNUSED_PAD src0_sel:WORD_0 src1_sel:DWORD
	v_add_u32_e32 v80, 0x1000, v40
	s_waitcnt lgkmcnt(0)
	v_pk_fma_f16 v67, v67, v78, v76
	v_pk_fma_f16 v68, v68, v78, v77
	ds_read2_b64 v[76:79], v80 offset1:32
	v_mul_u32_u24_sdwa v81, v87, s34 dst_sel:DWORD dst_unused:UNUSED_PAD src0_sel:WORD_1 src1_sel:DWORD
	v_pk_fma_f16 v67, v69, v81, v67
	v_pk_fma_f16 v68, v70, v81, v68
	v_mul_u32_u24_sdwa v69, v88, s34 dst_sel:DWORD dst_unused:UNUSED_PAD src0_sel:WORD_0 src1_sel:DWORD
	s_waitcnt lgkmcnt(0)
	v_pk_fma_f16 v76, v76, v69, v67
	v_pk_fma_f16 v77, v77, v69, v68
	ds_read2_b64 v[67:70], v80 offset0:64 offset1:96
	v_mul_u32_u24_sdwa v81, v88, s34 dst_sel:DWORD dst_unused:UNUSED_PAD src0_sel:WORD_1 src1_sel:DWORD
	v_pk_fma_f16 v76, v78, v81, v76
	v_pk_fma_f16 v77, v79, v81, v77
	v_mul_u32_u24_sdwa v78, v89, s34 dst_sel:DWORD dst_unused:UNUSED_PAD src0_sel:WORD_0 src1_sel:DWORD
	s_waitcnt lgkmcnt(0)
	v_pk_fma_f16 v67, v67, v78, v76
	v_pk_fma_f16 v68, v68, v78, v77
	ds_read2_b64 v[76:79], v80 offset0:128 offset1:160
	;; [unrolled: 8-line block ×3, first 2 shown]
	v_mul_u32_u24_sdwa v80, v90, s34 dst_sel:DWORD dst_unused:UNUSED_PAD src0_sel:WORD_1 src1_sel:DWORD
	v_pk_fma_f16 v76, v78, v80, v76
	v_pk_fma_f16 v77, v79, v80, v77
	v_mul_u32_u24_sdwa v78, v91, s34 dst_sel:DWORD dst_unused:UNUSED_PAD src0_sel:WORD_0 src1_sel:DWORD
	v_add_u32_e32 v80, 0x1800, v40
	s_waitcnt lgkmcnt(0)
	v_pk_fma_f16 v67, v67, v78, v76
	v_pk_fma_f16 v68, v68, v78, v77
	ds_read2_b64 v[76:79], v80 offset1:32
	v_mul_u32_u24_sdwa v81, v91, s34 dst_sel:DWORD dst_unused:UNUSED_PAD src0_sel:WORD_1 src1_sel:DWORD
	v_pk_fma_f16 v67, v69, v81, v67
	v_pk_fma_f16 v68, v70, v81, v68
	v_mul_u32_u24_sdwa v69, v92, s34 dst_sel:DWORD dst_unused:UNUSED_PAD src0_sel:WORD_0 src1_sel:DWORD
	s_waitcnt lgkmcnt(0)
	v_pk_fma_f16 v76, v76, v69, v67
	v_pk_fma_f16 v77, v77, v69, v68
	ds_read2_b64 v[67:70], v80 offset0:64 offset1:96
	v_mul_u32_u24_sdwa v81, v92, s34 dst_sel:DWORD dst_unused:UNUSED_PAD src0_sel:WORD_1 src1_sel:DWORD
	v_pk_fma_f16 v76, v78, v81, v76
	v_pk_fma_f16 v77, v79, v81, v77
	v_mul_u32_u24_sdwa v78, v93, s34 dst_sel:DWORD dst_unused:UNUSED_PAD src0_sel:WORD_0 src1_sel:DWORD
	s_waitcnt lgkmcnt(0)
	v_pk_fma_f16 v67, v67, v78, v76
	v_pk_fma_f16 v68, v68, v78, v77
	ds_read2_b64 v[76:79], v80 offset0:128 offset1:160
	v_mul_u32_u24_sdwa v81, v93, s34 dst_sel:DWORD dst_unused:UNUSED_PAD src0_sel:WORD_1 src1_sel:DWORD
	v_pk_fma_f16 v67, v69, v81, v67
	v_pk_fma_f16 v68, v70, v81, v68
	v_mul_u32_u24_sdwa v69, v94, s34 dst_sel:DWORD dst_unused:UNUSED_PAD src0_sel:WORD_0 src1_sel:DWORD
	s_waitcnt lgkmcnt(0)
	v_pk_fma_f16 v76, v76, v69, v67
	v_pk_fma_f16 v77, v77, v69, v68
	ds_read2_b64 v[67:70], v80 offset0:192 offset1:224
	v_mul_u32_u24_sdwa v80, v94, s34 dst_sel:DWORD dst_unused:UNUSED_PAD src0_sel:WORD_1 src1_sel:DWORD
	v_pk_fma_f16 v76, v78, v80, v76
	v_pk_fma_f16 v77, v79, v80, v77
	v_mul_u32_u24_sdwa v78, v95, s34 dst_sel:DWORD dst_unused:UNUSED_PAD src0_sel:WORD_0 src1_sel:DWORD
	s_waitcnt lgkmcnt(0)
	v_pk_fma_f16 v67, v67, v78, v76
	v_pk_fma_f16 v68, v68, v78, v77
	v_add_u32_e32 v88, 0x2000, v40
	ds_read_b128 v[76:79], v52 offset:64
	ds_read2_b64 v[80:83], v88 offset1:32
	v_mul_u32_u24_sdwa v84, v95, s34 dst_sel:DWORD dst_unused:UNUSED_PAD src0_sel:WORD_1 src1_sel:DWORD
	v_pk_fma_f16 v85, v69, v84, v67
	v_pk_fma_f16 v84, v70, v84, v68
	s_waitcnt lgkmcnt(1)
	v_mul_u32_u24_sdwa v86, v76, s34 dst_sel:DWORD dst_unused:UNUSED_PAD src0_sel:WORD_0 src1_sel:DWORD
	s_waitcnt lgkmcnt(0)
	v_pk_fma_f16 v80, v80, v86, v85
	v_pk_fma_f16 v81, v81, v86, v84
	ds_read2_b64 v[84:87], v88 offset0:64 offset1:96
	v_mul_u32_u24_sdwa v76, v76, s34 dst_sel:DWORD dst_unused:UNUSED_PAD src0_sel:WORD_1 src1_sel:DWORD
	v_pk_fma_f16 v80, v82, v76, v80
	v_pk_fma_f16 v76, v83, v76, v81
	v_mul_u32_u24_sdwa v81, v77, s34 dst_sel:DWORD dst_unused:UNUSED_PAD src0_sel:WORD_0 src1_sel:DWORD
	s_waitcnt lgkmcnt(0)
	v_pk_fma_f16 v84, v84, v81, v80
	v_pk_fma_f16 v76, v85, v81, v76
	ds_read2_b64 v[80:83], v88 offset0:128 offset1:160
	v_mul_u32_u24_sdwa v77, v77, s34 dst_sel:DWORD dst_unused:UNUSED_PAD src0_sel:WORD_1 src1_sel:DWORD
	v_pk_fma_f16 v84, v86, v77, v84
	v_pk_fma_f16 v76, v87, v77, v76
	v_mul_u32_u24_sdwa v77, v78, s34 dst_sel:DWORD dst_unused:UNUSED_PAD src0_sel:WORD_0 src1_sel:DWORD
	s_waitcnt lgkmcnt(0)
	v_pk_fma_f16 v80, v80, v77, v84
	ds_read2_b64 v[84:87], v88 offset0:192 offset1:224
	v_pk_fma_f16 v76, v81, v77, v76
	v_mul_u32_u24_sdwa v77, v78, s34 dst_sel:DWORD dst_unused:UNUSED_PAD src0_sel:WORD_1 src1_sel:DWORD
	v_pk_fma_f16 v78, v82, v77, v80
	v_pk_fma_f16 v76, v83, v77, v76
	v_mul_u32_u24_sdwa v77, v79, s34 dst_sel:DWORD dst_unused:UNUSED_PAD src0_sel:WORD_0 src1_sel:DWORD
	ds_read_b128 v[67:70], v52 offset:80
	s_waitcnt lgkmcnt(1)
	v_pk_fma_f16 v78, v84, v77, v78
	v_add_u32_e32 v84, 0x2800, v40
	ds_read2_b64 v[80:83], v84 offset1:32
	v_pk_fma_f16 v76, v85, v77, v76
	v_mul_u32_u24_sdwa v77, v79, s34 dst_sel:DWORD dst_unused:UNUSED_PAD src0_sel:WORD_1 src1_sel:DWORD
	v_pk_fma_f16 v78, v86, v77, v78
	v_pk_fma_f16 v76, v87, v77, v76
	s_waitcnt lgkmcnt(1)
	v_mul_u32_u24_sdwa v77, v67, s34 dst_sel:DWORD dst_unused:UNUSED_PAD src0_sel:WORD_0 src1_sel:DWORD
	s_waitcnt lgkmcnt(0)
	v_pk_fma_f16 v80, v80, v77, v78
	v_pk_fma_f16 v81, v81, v77, v76
	ds_read2_b64 v[76:79], v84 offset0:64 offset1:96
	v_mul_u32_u24_sdwa v67, v67, s34 dst_sel:DWORD dst_unused:UNUSED_PAD src0_sel:WORD_1 src1_sel:DWORD
	v_pk_fma_f16 v80, v82, v67, v80
	v_pk_fma_f16 v67, v83, v67, v81
	v_mul_u32_u24_sdwa v81, v68, s34 dst_sel:DWORD dst_unused:UNUSED_PAD src0_sel:WORD_0 src1_sel:DWORD
	s_waitcnt lgkmcnt(0)
	v_pk_fma_f16 v76, v76, v81, v80
	v_pk_fma_f16 v67, v77, v81, v67
	ds_read2_b64 v[80:83], v84 offset0:128 offset1:160
	v_mul_u32_u24_sdwa v68, v68, s34 dst_sel:DWORD dst_unused:UNUSED_PAD src0_sel:WORD_1 src1_sel:DWORD
	v_pk_fma_f16 v76, v78, v68, v76
	v_pk_fma_f16 v67, v79, v68, v67
	v_mul_u32_u24_sdwa v68, v69, s34 dst_sel:DWORD dst_unused:UNUSED_PAD src0_sel:WORD_0 src1_sel:DWORD
	s_waitcnt lgkmcnt(0)
	v_pk_fma_f16 v80, v80, v68, v76
	ds_read2_b64 v[76:79], v84 offset0:192 offset1:224
	v_pk_fma_f16 v67, v81, v68, v67
	v_mul_u32_u24_sdwa v68, v69, s34 dst_sel:DWORD dst_unused:UNUSED_PAD src0_sel:WORD_1 src1_sel:DWORD
	v_pk_fma_f16 v69, v82, v68, v80
	v_pk_fma_f16 v67, v83, v68, v67
	v_mul_u32_u24_sdwa v68, v70, s34 dst_sel:DWORD dst_unused:UNUSED_PAD src0_sel:WORD_0 src1_sel:DWORD
	s_waitcnt lgkmcnt(0)
	v_pk_fma_f16 v76, v76, v68, v69
	v_pk_fma_f16 v77, v77, v68, v67
	v_mul_u32_u24_sdwa v84, v70, s34 dst_sel:DWORD dst_unused:UNUSED_PAD src0_sel:WORD_1 src1_sel:DWORD
	v_add_u32_e32 v88, 0x3000, v40
	ds_read_b128 v[67:70], v52 offset:96
	ds_read2_b64 v[80:83], v88 offset1:32
	v_pk_fma_f16 v85, v78, v84, v76
	v_pk_fma_f16 v84, v79, v84, v77
	ds_read_b128 v[76:79], v52 offset:112
	s_waitcnt lgkmcnt(2)
	v_mul_u32_u24_sdwa v86, v67, s34 dst_sel:DWORD dst_unused:UNUSED_PAD src0_sel:WORD_0 src1_sel:DWORD
	s_waitcnt lgkmcnt(1)
	v_pk_fma_f16 v80, v80, v86, v85
	v_pk_fma_f16 v81, v81, v86, v84
	ds_read2_b64 v[84:87], v88 offset0:64 offset1:96
	v_mul_u32_u24_sdwa v67, v67, s34 dst_sel:DWORD dst_unused:UNUSED_PAD src0_sel:WORD_1 src1_sel:DWORD
	v_pk_fma_f16 v80, v82, v67, v80
	v_pk_fma_f16 v67, v83, v67, v81
	v_mul_u32_u24_sdwa v81, v68, s34 dst_sel:DWORD dst_unused:UNUSED_PAD src0_sel:WORD_0 src1_sel:DWORD
	s_waitcnt lgkmcnt(0)
	v_pk_fma_f16 v84, v84, v81, v80
	v_pk_fma_f16 v67, v85, v81, v67
	ds_read2_b64 v[80:83], v88 offset0:128 offset1:160
	v_mul_u32_u24_sdwa v68, v68, s34 dst_sel:DWORD dst_unused:UNUSED_PAD src0_sel:WORD_1 src1_sel:DWORD
	v_pk_fma_f16 v84, v86, v68, v84
	v_pk_fma_f16 v67, v87, v68, v67
	v_mul_u32_u24_sdwa v68, v69, s34 dst_sel:DWORD dst_unused:UNUSED_PAD src0_sel:WORD_0 src1_sel:DWORD
	s_waitcnt lgkmcnt(0)
	v_pk_fma_f16 v80, v80, v68, v84
	ds_read2_b64 v[84:87], v88 offset0:192 offset1:224
	v_pk_fma_f16 v67, v81, v68, v67
	v_mul_u32_u24_sdwa v68, v69, s34 dst_sel:DWORD dst_unused:UNUSED_PAD src0_sel:WORD_1 src1_sel:DWORD
	v_pk_fma_f16 v69, v82, v68, v80
	v_pk_fma_f16 v67, v83, v68, v67
	v_mul_u32_u24_sdwa v68, v70, s34 dst_sel:DWORD dst_unused:UNUSED_PAD src0_sel:WORD_0 src1_sel:DWORD
	s_waitcnt lgkmcnt(0)
	v_pk_fma_f16 v69, v84, v68, v69
	v_add_u32_e32 v84, 0x3800, v40
	ds_read2_b64 v[80:83], v84 offset1:32
	v_pk_fma_f16 v67, v85, v68, v67
	v_mul_u32_u24_sdwa v68, v70, s34 dst_sel:DWORD dst_unused:UNUSED_PAD src0_sel:WORD_1 src1_sel:DWORD
	v_pk_fma_f16 v69, v86, v68, v69
	v_pk_fma_f16 v67, v87, v68, v67
	v_mul_u32_u24_sdwa v68, v76, s34 dst_sel:DWORD dst_unused:UNUSED_PAD src0_sel:WORD_0 src1_sel:DWORD
	s_waitcnt lgkmcnt(0)
	v_pk_fma_f16 v80, v80, v68, v69
	v_pk_fma_f16 v81, v81, v68, v67
	ds_read2_b64 v[67:70], v84 offset0:64 offset1:96
	v_mul_u32_u24_sdwa v76, v76, s34 dst_sel:DWORD dst_unused:UNUSED_PAD src0_sel:WORD_1 src1_sel:DWORD
	v_pk_fma_f16 v80, v82, v76, v80
	v_pk_fma_f16 v76, v83, v76, v81
	v_mul_u32_u24_sdwa v81, v77, s34 dst_sel:DWORD dst_unused:UNUSED_PAD src0_sel:WORD_0 src1_sel:DWORD
	s_waitcnt lgkmcnt(0)
	v_pk_fma_f16 v67, v67, v81, v80
	v_pk_fma_f16 v68, v68, v81, v76
	ds_read2_b64 v[80:83], v84 offset0:128 offset1:160
	v_mul_u32_u24_sdwa v76, v77, s34 dst_sel:DWORD dst_unused:UNUSED_PAD src0_sel:WORD_1 src1_sel:DWORD
	v_pk_fma_f16 v67, v69, v76, v67
	v_pk_fma_f16 v68, v70, v76, v68
	v_mul_u32_u24_sdwa v69, v78, s34 dst_sel:DWORD dst_unused:UNUSED_PAD src0_sel:WORD_0 src1_sel:DWORD
	s_waitcnt lgkmcnt(0)
	v_pk_fma_f16 v67, v80, v69, v67
	v_pk_fma_f16 v68, v81, v69, v68
	v_mul_u32_u24_sdwa v69, v78, s34 dst_sel:DWORD dst_unused:UNUSED_PAD src0_sel:WORD_1 src1_sel:DWORD
	v_pk_fma_f16 v76, v82, v69, v67
	v_pk_fma_f16 v77, v83, v69, v68
	ds_read2_b64 v[67:70], v84 offset0:192 offset1:224
	s_waitcnt lgkmcnt(0)
	s_barrier
	s_load_dword s8, s[0:1], 0x4
	v_mul_u32_u24_sdwa v78, v79, s34 dst_sel:DWORD dst_unused:UNUSED_PAD src0_sel:WORD_0 src1_sel:DWORD
	v_pk_fma_f16 v67, v67, v78, v76
	v_pk_fma_f16 v68, v68, v78, v77
	v_mul_u32_u24_sdwa v76, v79, s34 dst_sel:DWORD dst_unused:UNUSED_PAD src0_sel:WORD_1 src1_sel:DWORD
	s_waitcnt lgkmcnt(0)
	s_lshl_b32 s8, s8, 6
	s_add_i32 s6, s8, s6
	v_pk_fma_f16 v67, v69, v76, v67
	s_cmp_ge_i32 s6, s28
	v_pk_fma_f16 v68, v70, v76, v68
	s_cbranch_scc1 .LBB84_7
; %bb.24:                               ;   in Loop: Header=BB84_15 Depth=1
	v_mov_b32_e32 v70, v1
	v_mov_b32_e32 v69, v75
	s_branch .LBB84_15
	.section	.rodata,"a",@progbits
	.p2align	6, 0x0
	.amdhsa_kernel _ZL15flash_attn_tileILi128ELi128ELi2ELi2ELb1EEvPKcS1_S1_S1_S1_PKiPfP15HIP_vector_typeIfLj2EEffffjfiS5_IjLj3EEiiiiiiiiiiiliiliiiiil
		.amdhsa_group_segment_fixed_size 18944
		.amdhsa_private_segment_fixed_size 0
		.amdhsa_kernarg_size 464
		.amdhsa_user_sgpr_count 6
		.amdhsa_user_sgpr_private_segment_buffer 1
		.amdhsa_user_sgpr_dispatch_ptr 0
		.amdhsa_user_sgpr_queue_ptr 0
		.amdhsa_user_sgpr_kernarg_segment_ptr 1
		.amdhsa_user_sgpr_dispatch_id 0
		.amdhsa_user_sgpr_flat_scratch_init 0
		.amdhsa_user_sgpr_private_segment_size 0
		.amdhsa_uses_dynamic_stack 0
		.amdhsa_system_sgpr_private_segment_wavefront_offset 0
		.amdhsa_system_sgpr_workgroup_id_x 1
		.amdhsa_system_sgpr_workgroup_id_y 1
		.amdhsa_system_sgpr_workgroup_id_z 1
		.amdhsa_system_sgpr_workgroup_info 0
		.amdhsa_system_vgpr_workitem_id 1
		.amdhsa_next_free_vgpr 114
		.amdhsa_next_free_sgpr 98
		.amdhsa_reserve_vcc 1
		.amdhsa_reserve_flat_scratch 0
		.amdhsa_float_round_mode_32 0
		.amdhsa_float_round_mode_16_64 0
		.amdhsa_float_denorm_mode_32 3
		.amdhsa_float_denorm_mode_16_64 3
		.amdhsa_dx10_clamp 1
		.amdhsa_ieee_mode 1
		.amdhsa_fp16_overflow 0
		.amdhsa_exception_fp_ieee_invalid_op 0
		.amdhsa_exception_fp_denorm_src 0
		.amdhsa_exception_fp_ieee_div_zero 0
		.amdhsa_exception_fp_ieee_overflow 0
		.amdhsa_exception_fp_ieee_underflow 0
		.amdhsa_exception_fp_ieee_inexact 0
		.amdhsa_exception_int_div_zero 0
	.end_amdhsa_kernel
	.section	.text._ZL15flash_attn_tileILi128ELi128ELi2ELi2ELb1EEvPKcS1_S1_S1_S1_PKiPfP15HIP_vector_typeIfLj2EEffffjfiS5_IjLj3EEiiiiiiiiiiiliiliiiiil,"axG",@progbits,_ZL15flash_attn_tileILi128ELi128ELi2ELi2ELb1EEvPKcS1_S1_S1_S1_PKiPfP15HIP_vector_typeIfLj2EEffffjfiS5_IjLj3EEiiiiiiiiiiiliiliiiiil,comdat
.Lfunc_end84:
	.size	_ZL15flash_attn_tileILi128ELi128ELi2ELi2ELb1EEvPKcS1_S1_S1_S1_PKiPfP15HIP_vector_typeIfLj2EEffffjfiS5_IjLj3EEiiiiiiiiiiiliiliiiiil, .Lfunc_end84-_ZL15flash_attn_tileILi128ELi128ELi2ELi2ELb1EEvPKcS1_S1_S1_S1_PKiPfP15HIP_vector_typeIfLj2EEffffjfiS5_IjLj3EEiiiiiiiiiiiliiliiiiil
                                        ; -- End function
	.set _ZL15flash_attn_tileILi128ELi128ELi2ELi2ELb1EEvPKcS1_S1_S1_S1_PKiPfP15HIP_vector_typeIfLj2EEffffjfiS5_IjLj3EEiiiiiiiiiiiliiliiiiil.num_vgpr, 114
	.set _ZL15flash_attn_tileILi128ELi128ELi2ELi2ELb1EEvPKcS1_S1_S1_S1_PKiPfP15HIP_vector_typeIfLj2EEffffjfiS5_IjLj3EEiiiiiiiiiiiliiliiiiil.num_agpr, 0
	.set _ZL15flash_attn_tileILi128ELi128ELi2ELi2ELb1EEvPKcS1_S1_S1_S1_PKiPfP15HIP_vector_typeIfLj2EEffffjfiS5_IjLj3EEiiiiiiiiiiiliiliiiiil.numbered_sgpr, 40
	.set _ZL15flash_attn_tileILi128ELi128ELi2ELi2ELb1EEvPKcS1_S1_S1_S1_PKiPfP15HIP_vector_typeIfLj2EEffffjfiS5_IjLj3EEiiiiiiiiiiiliiliiiiil.num_named_barrier, 0
	.set _ZL15flash_attn_tileILi128ELi128ELi2ELi2ELb1EEvPKcS1_S1_S1_S1_PKiPfP15HIP_vector_typeIfLj2EEffffjfiS5_IjLj3EEiiiiiiiiiiiliiliiiiil.private_seg_size, 0
	.set _ZL15flash_attn_tileILi128ELi128ELi2ELi2ELb1EEvPKcS1_S1_S1_S1_PKiPfP15HIP_vector_typeIfLj2EEffffjfiS5_IjLj3EEiiiiiiiiiiiliiliiiiil.uses_vcc, 1
	.set _ZL15flash_attn_tileILi128ELi128ELi2ELi2ELb1EEvPKcS1_S1_S1_S1_PKiPfP15HIP_vector_typeIfLj2EEffffjfiS5_IjLj3EEiiiiiiiiiiiliiliiiiil.uses_flat_scratch, 0
	.set _ZL15flash_attn_tileILi128ELi128ELi2ELi2ELb1EEvPKcS1_S1_S1_S1_PKiPfP15HIP_vector_typeIfLj2EEffffjfiS5_IjLj3EEiiiiiiiiiiiliiliiiiil.has_dyn_sized_stack, 0
	.set _ZL15flash_attn_tileILi128ELi128ELi2ELi2ELb1EEvPKcS1_S1_S1_S1_PKiPfP15HIP_vector_typeIfLj2EEffffjfiS5_IjLj3EEiiiiiiiiiiiliiliiiiil.has_recursion, 0
	.set _ZL15flash_attn_tileILi128ELi128ELi2ELi2ELb1EEvPKcS1_S1_S1_S1_PKiPfP15HIP_vector_typeIfLj2EEffffjfiS5_IjLj3EEiiiiiiiiiiiliiliiiiil.has_indirect_call, 0
	.section	.AMDGPU.csdata,"",@progbits
; Kernel info:
; codeLenInByte = 7788
; TotalNumSgprs: 44
; NumVgprs: 114
; ScratchSize: 0
; MemoryBound: 0
; FloatMode: 240
; IeeeMode: 1
; LDSByteSize: 18944 bytes/workgroup (compile time only)
; SGPRBlocks: 12
; VGPRBlocks: 28
; NumSGPRsForWavesPerEU: 102
; NumVGPRsForWavesPerEU: 114
; Occupancy: 2
; WaveLimiterHint : 1
; COMPUTE_PGM_RSRC2:SCRATCH_EN: 0
; COMPUTE_PGM_RSRC2:USER_SGPR: 6
; COMPUTE_PGM_RSRC2:TRAP_HANDLER: 0
; COMPUTE_PGM_RSRC2:TGID_X_EN: 1
; COMPUTE_PGM_RSRC2:TGID_Y_EN: 1
; COMPUTE_PGM_RSRC2:TGID_Z_EN: 1
; COMPUTE_PGM_RSRC2:TIDIG_COMP_CNT: 1
	.section	.text._ZL15flash_attn_tileILi128ELi128ELi1ELi2ELb1EEvPKcS1_S1_S1_S1_PKiPfP15HIP_vector_typeIfLj2EEffffjfiS5_IjLj3EEiiiiiiiiiiiliiliiiiil,"axG",@progbits,_ZL15flash_attn_tileILi128ELi128ELi1ELi2ELb1EEvPKcS1_S1_S1_S1_PKiPfP15HIP_vector_typeIfLj2EEffffjfiS5_IjLj3EEiiiiiiiiiiiliiliiiiil,comdat
	.globl	_ZL15flash_attn_tileILi128ELi128ELi1ELi2ELb1EEvPKcS1_S1_S1_S1_PKiPfP15HIP_vector_typeIfLj2EEffffjfiS5_IjLj3EEiiiiiiiiiiiliiliiiiil ; -- Begin function _ZL15flash_attn_tileILi128ELi128ELi1ELi2ELb1EEvPKcS1_S1_S1_S1_PKiPfP15HIP_vector_typeIfLj2EEffffjfiS5_IjLj3EEiiiiiiiiiiiliiliiiiil
	.p2align	8
	.type	_ZL15flash_attn_tileILi128ELi128ELi1ELi2ELb1EEvPKcS1_S1_S1_S1_PKiPfP15HIP_vector_typeIfLj2EEffffjfiS5_IjLj3EEiiiiiiiiiiiliiliiiiil,@function
_ZL15flash_attn_tileILi128ELi128ELi1ELi2ELb1EEvPKcS1_S1_S1_S1_PKiPfP15HIP_vector_typeIfLj2EEffffjfiS5_IjLj3EEiiiiiiiiiiiliiliiiiil: ; @_ZL15flash_attn_tileILi128ELi128ELi1ELi2ELb1EEvPKcS1_S1_S1_S1_PKiPfP15HIP_vector_typeIfLj2EEffffjfiS5_IjLj3EEiiiiiiiiiiiliiliiiiil
; %bb.0:
	s_load_dwordx4 s[24:27], s[4:5], 0x5c
	s_load_dwordx2 s[34:35], s[4:5], 0x80
	s_load_dwordx2 s[38:39], s[4:5], 0xb8
	s_mov_b64 s[36:37], 0
	s_waitcnt lgkmcnt(0)
	s_lshr_b32 s0, s27, 31
	s_add_i32 s0, s27, s0
	s_ashr_i32 s0, s0, 1
	v_cvt_f32_u32_e32 v2, s0
	s_sub_i32 s1, 0, s0
	v_rcp_iflag_f32_e32 v2, v2
	v_mul_f32_e32 v2, 0x4f7ffffe, v2
	v_cvt_u32_f32_e32 v2, v2
	v_readfirstlane_b32 s2, v2
	s_mul_i32 s1, s1, s2
	s_mul_hi_u32 s1, s2, s1
	s_add_i32 s2, s2, s1
	s_mul_hi_u32 s1, s8, s2
	s_mul_i32 s2, s1, s0
	s_sub_i32 s2, s8, s2
	s_add_i32 s3, s1, 1
	s_sub_i32 s9, s2, s0
	s_cmp_ge_u32 s2, s0
	s_cselect_b32 s1, s3, s1
	s_cselect_b32 s2, s9, s2
	s_add_i32 s3, s1, 1
	s_cmp_ge_u32 s2, s0
	s_cselect_b32 s33, s3, s1
	s_abs_i32 s1, s35
	v_cvt_f32_u32_e32 v2, s1
	s_lshl_b32 s0, s8, 1
	s_sub_i32 s8, 0, s1
	s_abs_i32 s3, s27
	v_rcp_iflag_f32_e32 v2, v2
	s_xor_b32 s2, s27, s35
	s_ashr_i32 s2, s2, 31
	v_mul_f32_e32 v2, 0x4f7ffffe, v2
	v_cvt_u32_f32_e32 v2, v2
	v_readfirstlane_b32 s9, v2
	s_mul_i32 s8, s8, s9
	s_mul_hi_u32 s8, s9, s8
	s_add_i32 s9, s9, s8
	s_mul_hi_u32 s8, s3, s9
	s_mul_i32 s9, s8, s1
	s_sub_i32 s3, s3, s9
	s_add_i32 s10, s8, 1
	s_sub_i32 s9, s3, s1
	s_cmp_ge_u32 s3, s1
	s_cselect_b32 s8, s10, s8
	s_cselect_b32 s3, s9, s3
	s_add_i32 s9, s8, 1
	s_cmp_ge_u32 s3, s1
	s_cselect_b32 s1, s9, s8
	s_xor_b32 s1, s1, s2
	s_sub_i32 s41, s1, s2
	s_abs_i32 s40, s41
	v_cvt_f32_u32_e32 v2, s40
	s_load_dwordx16 s[8:23], s[4:5], 0x0
	s_mul_i32 s1, s33, s27
	v_rcp_iflag_f32_e32 v2, v2
	s_waitcnt lgkmcnt(0)
	s_cmp_eq_u64 s[14:15], 0
	v_mul_f32_e32 v2, 0x4f7ffffe, v2
	v_cvt_u32_f32_e32 v2, v2
	v_readfirstlane_b32 s28, v2
	s_cbranch_scc1 .LBB85_2
; %bb.1:
	s_abs_i32 s29, s38
	v_cvt_f32_u32_e32 v2, s29
	s_sub_i32 s35, 0, s29
	s_abs_i32 s31, s33
	s_ashr_i32 s30, s33, 31
	v_rcp_iflag_f32_e32 v2, v2
	s_load_dwordx2 s[2:3], s[4:5], 0xc8
	v_mul_f32_e32 v2, 0x4f7ffffe, v2
	v_cvt_u32_f32_e32 v2, v2
	v_readfirstlane_b32 s36, v2
	s_mul_i32 s35, s35, s36
	s_mul_hi_u32 s35, s36, s35
	s_add_i32 s36, s36, s35
	s_mul_hi_u32 s35, s31, s36
	s_mul_i32 s35, s35, s29
	s_sub_i32 s31, s31, s35
	s_sub_i32 s35, s31, s29
	s_cmp_ge_u32 s31, s29
	s_cselect_b32 s31, s35, s31
	s_sub_i32 s35, s31, s29
	s_cmp_ge_u32 s31, s29
	s_cselect_b32 s29, s35, s31
	s_xor_b32 s29, s29, s30
	s_sub_i32 s29, s29, s30
	s_ashr_i32 s30, s29, 31
	s_waitcnt lgkmcnt(0)
	s_mul_hi_u32 s31, s2, s29
	s_mul_i32 s30, s2, s30
	s_mul_i32 s3, s3, s29
	s_add_i32 s30, s31, s30
	s_add_i32 s30, s30, s3
	s_mul_i32 s2, s2, s29
	s_add_u32 s36, s14, s2
	s_addc_u32 s37, s15, s30
.LBB85_2:
	v_lshlrev_b32_e32 v2, 7, v1
	v_and_b32_e32 v2, 0x180, v2
	v_lshlrev_b32_e32 v24, 2, v0
	s_sub_i32 s35, s0, s1
	v_add_u32_e32 v3, v2, v24
	s_movk_i32 s0, 0x80
	v_cmp_gt_u32_e32 vcc, s0, v3
	v_and_b32_e32 v23, 3, v1
	v_lshlrev_b32_e32 v27, 3, v0
	v_bfe_u32 v26, v1, 2, 1
	v_lshrrev_b32_e32 v25, 3, v1
	s_and_saveexec_b64 s[14:15], vcc
	s_cbranch_execz .LBB85_4
; %bb.3:
	s_load_dwordx4 s[0:3], s[4:5], 0x70
	v_add_u32_e32 v5, s6, v25
	v_mul_hi_u32 v3, s24, v5
	v_lshlrev_b32_e32 v2, 2, v2
	s_waitcnt lgkmcnt(0)
	s_mul_i32 s3, s33, s2
	s_ashr_i32 s30, s3, 31
	s_mul_i32 s29, s35, s1
	s_add_u32 s3, s8, s3
	v_add_u32_e32 v3, v5, v3
	s_addc_u32 s8, s9, s30
	s_ashr_i32 s9, s29, 31
	v_lshrrev_b32_e32 v3, s25, v3
	s_add_u32 s29, s3, s29
	v_mul_lo_u32 v6, v3, s26
	s_addc_u32 s30, s8, s9
	s_ashr_i32 s3, s1, 31
	s_mov_b32 s2, s1
	s_lshr_b32 s1, s3, 2
	v_mul_lo_u32 v4, s1, v26
	s_ashr_i32 s1, s0, 31
	s_lshr_b64 s[8:9], s[2:3], 2
	s_lshr_b64 s[2:3], s[0:1], 2
	v_sub_u32_e32 v7, v5, v6
	v_mad_u64_u32 v[5:6], s[2:3], s2, v7, 0
	v_mul_lo_u32 v3, s8, v26
	s_lshr_b32 s0, s1, 2
	v_mad_u64_u32 v[6:7], s[0:1], s0, v7, v[6:7]
	v_lshlrev_b64 v[3:4], 2, v[3:4]
	v_mov_b32_e32 v8, s30
	v_add_co_u32_e32 v7, vcc, s29, v3
	v_addc_co_u32_e32 v8, vcc, v8, v4, vcc
	v_lshlrev_b64 v[3:4], 2, v[5:6]
	s_load_dword s0, s[4:5], 0x40
	v_add_co_u32_e32 v3, vcc, v7, v3
	v_addc_co_u32_e32 v4, vcc, v8, v4, vcc
	v_add_co_u32_e32 v2, vcc, v3, v2
	v_addc_co_u32_e32 v3, vcc, 0, v4, vcc
	v_lshlrev_b32_e32 v4, 2, v24
	v_add_co_u32_e32 v2, vcc, v2, v4
	v_addc_co_u32_e32 v3, vcc, 0, v3, vcc
	global_load_dwordx4 v[2:5], v[2:3], off
	v_lshrrev_b32_e32 v6, 2, v1
	v_add_u32_e32 v6, v6, v23
	v_lshl_add_u32 v6, v6, 8, v27
	s_waitcnt vmcnt(0) lgkmcnt(0)
	v_fma_mixlo_f16 v2, s0, v2, 0
	v_fma_mixlo_f16 v3, s0, v3, 0
	;; [unrolled: 1-line block ×4, first 2 shown]
	v_lshlrev_b32_e32 v3, 16, v3
	v_and_b32_e32 v2, 0xffff, v2
	v_lshlrev_b32_e32 v5, 16, v5
	v_and_b32_e32 v4, 0xffff, v4
	v_or_b32_e32 v2, v3, v2
	v_or3_b32 v3, v5, v4, 0
	v_or3_b32 v2, 0, 0, v2
	ds_write_b64 v6, v[2:3] offset:18944
.LBB85_4:
	s_or_b64 exec, exec, s[14:15]
	s_cmp_eq_u64 s[18:19], 0
	s_waitcnt lgkmcnt(0)
	s_barrier
	s_cbranch_scc1 .LBB85_6
; %bb.5:
	s_load_dword s0, s[4:5], 0xd0
	s_mov_b32 s1, 0
	s_waitcnt lgkmcnt(0)
	s_mul_i32 s0, s0, s33
	s_add_i32 s0, s0, s6
	s_lshl_b64 s[0:1], s[0:1], 2
	s_add_u32 s0, s18, s0
	s_addc_u32 s1, s19, s1
	s_load_dword s34, s[0:1], 0x0
.LBB85_6:
	s_lshl_b32 s14, s7, 7
	s_waitcnt lgkmcnt(0)
	s_cmp_lt_i32 s14, s34
	v_mbcnt_lo_u32_b32 v5, -1, 0
	s_cbranch_scc1 .LBB85_13
; %bb.7:
	v_mbcnt_hi_u32_b32 v3, -1, v5
	v_and_b32_e32 v2, 0x60, v3
	v_add_u32_e32 v52, 32, v2
	v_xor_b32_e32 v53, 16, v3
	v_xor_b32_e32 v54, 8, v3
	;; [unrolled: 1-line block ×5, first 2 shown]
	v_lshlrev_b32_e32 v28, 2, v1
	v_cmp_eq_u32_e64 s[0:1], 0, v0
	s_cbranch_execz .LBB85_14
; %bb.8:
	v_mov_b32_e32 v5, 0
	v_mov_b32_e32 v38, 0
	;; [unrolled: 1-line block ×4, first 2 shown]
.LBB85_9:
	v_cmp_lt_i32_e32 vcc, v53, v52
	v_cndmask_b32_e32 v2, v3, v53, vcc
	v_lshlrev_b32_e32 v2, 2, v2
	ds_bpermute_b32 v2, v2, v38
	v_cmp_lt_i32_e32 vcc, v54, v52
	v_cndmask_b32_e32 v6, v3, v54, vcc
	v_lshlrev_b32_e32 v6, 2, v6
	v_cmp_lt_i32_e32 vcc, v55, v52
	s_waitcnt lgkmcnt(0)
	v_add_f32_e32 v2, v38, v2
	ds_bpermute_b32 v6, v6, v2
	v_cndmask_b32_e32 v7, v3, v55, vcc
	v_lshlrev_b32_e32 v7, 2, v7
	v_cmp_lt_i32_e32 vcc, v56, v52
	v_cmp_ne_u32_e64 s[0:1], 0, v23
	s_waitcnt lgkmcnt(0)
	v_add_f32_e32 v2, v2, v6
	ds_bpermute_b32 v6, v7, v2
	v_cndmask_b32_e32 v7, v3, v56, vcc
	v_lshlrev_b32_e32 v7, 2, v7
	v_cmp_lt_i32_e32 vcc, v57, v52
	v_cndmask_b32_e32 v3, v3, v57, vcc
	s_waitcnt lgkmcnt(0)
	v_add_f32_e32 v2, v2, v6
	ds_bpermute_b32 v6, v7, v2
	v_lshlrev_b32_e32 v3, 2, v3
	v_cmp_eq_u32_e32 vcc, 0, v23
	v_lshl_add_u32 v1, v1, 8, v27
	s_waitcnt lgkmcnt(0)
	v_add_f32_e32 v2, v2, v6
	ds_bpermute_b32 v3, v3, v2
	s_waitcnt lgkmcnt(0)
	v_add_f32_e32 v23, v2, v3
	s_and_saveexec_b64 s[2:3], s[0:1]
	s_xor_b64 s[2:3], exec, s[2:3]
	s_cbranch_execnz .LBB85_23
; %bb.10:
	s_andn2_saveexec_b64 s[0:1], s[2:3]
	s_cbranch_execnz .LBB85_26
.LBB85_11:
	s_or_b64 exec, exec, s[0:1]
	s_and_saveexec_b64 s[0:1], vcc
	s_cbranch_execnz .LBB85_27
.LBB85_12:
	s_endpgm
.LBB85_13:
                                        ; implicit-def: $vgpr3
                                        ; implicit-def: $vgpr52
                                        ; implicit-def: $vgpr53
                                        ; implicit-def: $vgpr54
                                        ; implicit-def: $vgpr55
                                        ; implicit-def: $vgpr56
                                        ; implicit-def: $vgpr57
	v_lshlrev_b32_e32 v28, 2, v1
	v_cmp_eq_u32_e64 s[0:1], 0, v0
.LBB85_14:
	s_sub_i32 s2, 0, s40
	s_mul_i32 s2, s2, s28
	s_mul_hi_u32 s2, s28, s2
	s_abs_i32 s38, s35
	s_add_i32 s28, s28, s2
	s_mul_hi_u32 s42, s38, s28
	s_load_dwordx4 s[28:31], s[4:5], 0x98
	s_load_dword s15, s[4:5], 0x54
	s_load_dwordx2 s[2:3], s[4:5], 0x8c
	s_ashr_i32 s43, s35, 31
	s_ashr_i32 s41, s41, 31
	s_waitcnt lgkmcnt(0)
	s_ashr_i32 s18, s30, 2
	s_ashr_i32 s30, s39, 1
	;; [unrolled: 1-line block ×4, first 2 shown]
	s_mul_hi_u32 s39, s28, s33
	s_mul_i32 s44, s28, s2
	s_add_i32 s39, s39, s44
	s_mul_i32 s29, s29, s33
	s_add_i32 s39, s39, s29
	s_mul_i32 s28, s28, s33
	s_add_u32 s10, s10, s28
	s_mul_i32 s29, s42, s40
	s_addc_u32 s11, s11, s39
	s_sub_i32 s29, s38, s29
	s_xor_b32 s28, s43, s41
	s_add_i32 s38, s42, 1
	s_sub_i32 s39, s29, s40
	s_cmp_ge_u32 s29, s40
	s_cselect_b32 s38, s38, s42
	s_cselect_b32 s29, s39, s29
	s_add_i32 s39, s38, 1
	s_cmp_ge_u32 s29, s40
	s_load_dwordx2 s[8:9], s[4:5], 0xa8
	s_cselect_b32 s29, s39, s38
	s_xor_b32 s29, s29, s28
	s_sub_i32 s28, s29, s28
	s_mul_i32 s3, s28, s3
	s_ashr_i32 s29, s3, 31
	s_add_u32 s10, s10, s3
	s_waitcnt lgkmcnt(0)
	s_mul_hi_u32 s3, s8, s33
	s_mul_i32 s2, s8, s2
	s_addc_u32 s11, s11, s29
	s_add_i32 s2, s3, s2
	s_mul_i32 s3, s9, s33
	s_add_i32 s2, s2, s3
	s_mul_i32 s3, s8, s33
	s_add_u32 s3, s12, s3
	s_mul_i32 s28, s28, s31
	s_addc_u32 s2, s13, s2
	s_ashr_i32 s8, s28, 31
	s_add_u32 s12, s3, s28
	v_lshrrev_b32_e32 v2, 3, v0
	v_and_b32_e32 v22, 28, v24
	s_addc_u32 s13, s2, s8
	v_add_u32_e32 v2, v2, v28
	v_lshlrev_b32_e32 v3, 2, v22
	s_movk_i32 s2, 0x90
	v_mad_u32_u24 v29, v2, s2, v3
	v_add_u32_e32 v3, s6, v25
	v_mul_hi_u32 v14, s24, v3
	v_mul_lo_u32 v6, s19, v2
	s_lshl_b32 s2, s19, 5
	v_lshlrev_b32_e32 v2, 5, v1
	v_add_u32_e32 v14, v3, v14
	v_lshrrev_b32_e32 v14, s25, v14
	v_mul_lo_u32 v14, v14, s26
	v_add_u32_e32 v8, s2, v6
	v_and_b32_e32 v15, 0x60, v2
	v_add_u32_e32 v10, s2, v8
	v_add_u32_e32 v2, v15, v0
	v_sub_u32_e32 v3, v3, v14
	v_add_u32_e32 v12, s2, v10
	v_mul_u32_u24_e32 v33, 0x90, v2
	v_mad_u64_u32 v[2:3], s[2:3], v3, s30, v[2:3]
	v_lshlrev_b32_e32 v16, 6, v1
	v_and_b32_e32 v3, 3, v0
	s_movk_i32 s2, 0xfc
	v_and_b32_e32 v16, 0x3f00, v16
	v_and_or_b32 v3, v1, s2, v3
	v_mov_b32_e32 v14, 0x4c00
	v_lshl_or_b32 v36, v3, 2, v14
	v_add_u32_e32 v3, 0x4800, v16
	v_lshl_or_b32 v14, v15, 1, v3
	v_lshl_add_u32 v37, v0, 1, v14
	v_lshrrev_b32_e32 v14, 4, v0
	v_lshl_add_u32 v15, v1, 1, v14
	v_mul_lo_u32 v14, s18, v15
	v_and_b32_e32 v38, 60, v24
	v_add_u32_e32 v34, 0x4a00, v16
	v_lshlrev_b32_e32 v16, 2, v38
	s_lshl_b32 s2, s18, 4
	v_lshl_or_b32 v39, v15, 8, v16
	v_add_u32_e32 v16, s2, v14
	v_add_u32_e32 v18, s2, v16
	;; [unrolled: 1-line block ×3, first 2 shown]
	v_ashrrev_i32_e32 v7, 31, v6
	v_ashrrev_i32_e32 v9, 31, v8
	;; [unrolled: 1-line block ×8, first 2 shown]
	v_mov_b32_e32 v4, 0
	v_lshlrev_b32_e32 v50, 8, v23
	s_add_u32 s2, s4, 0xd0
	v_lshlrev_b64 v[6:7], 2, v[6:7]
	v_lshlrev_b64 v[8:9], 2, v[8:9]
	;; [unrolled: 1-line block ×8, first 2 shown]
	v_add_u32_e32 v30, 0x1200, v29
	v_add_u32_e32 v31, 0x2400, v29
	;; [unrolled: 1-line block ×3, first 2 shown]
	v_or_b32_e32 v35, 0x4c00, v28
	v_add_u32_e32 v40, 0x1000, v39
	v_add_u32_e32 v41, 0x2000, v39
	;; [unrolled: 1-line block ×3, first 2 shown]
	v_lshl_or_b32 v43, v23, 1, v3
	s_addc_u32 s3, s5, 0
	v_mov_b32_e32 v58, 0xfeffffff
	v_lshlrev_b32_e32 v44, 2, v22
	v_mov_b32_e32 v45, s37
	s_mov_b32 s24, 0x3f200000
	s_mov_b32 s25, 0x3fb8aa3b
	;; [unrolled: 1-line block ×4, first 2 shown]
	v_mov_b32_e32 v46, 0xbd5c1c4e
	v_mov_b32_e32 v47, 0x3e088382
	v_mov_b32_e32 v48, 0xbeaaaa99
	v_mbcnt_hi_u32_b32 v3, -1, v5
	s_brev_b32 s30, -2
	v_lshlrev_b32_e32 v49, 2, v38
	v_add_u32_e32 v50, v27, v50
	v_mov_b32_e32 v51, 0x7f800000
	v_mov_b32_e32 v5, v4
	;; [unrolled: 1-line block ×3, first 2 shown]
.LBB85_15:                              ; =>This Inner Loop Header: Depth=1
	s_mul_hi_i32 s9, s14, s19
	s_mul_i32 s8, s14, s19
	s_lshl_b64 s[8:9], s[8:9], 2
	s_add_u32 s8, s10, s8
	s_addc_u32 s9, s11, s9
	v_mov_b32_e32 v22, s9
	v_add_co_u32_e32 v52, vcc, s8, v6
	v_addc_co_u32_e32 v22, vcc, v22, v7, vcc
	v_add_co_u32_e32 v56, vcc, v52, v44
	v_addc_co_u32_e32 v57, vcc, 0, v22, vcc
	v_mov_b32_e32 v22, s9
	v_add_co_u32_e32 v52, vcc, s8, v8
	v_addc_co_u32_e32 v22, vcc, v22, v9, vcc
	v_add_co_u32_e32 v71, vcc, v52, v44
	v_addc_co_u32_e32 v72, vcc, 0, v22, vcc
	v_mov_b32_e32 v22, s9
	v_add_co_u32_e32 v63, vcc, s8, v10
	v_addc_co_u32_e32 v22, vcc, v22, v11, vcc
	v_add_co_u32_e32 v73, vcc, v63, v44
	v_addc_co_u32_e32 v74, vcc, 0, v22, vcc
	v_mov_b32_e32 v22, s9
	v_add_co_u32_e32 v63, vcc, s8, v12
	v_addc_co_u32_e32 v22, vcc, v22, v13, vcc
	v_add_co_u32_e32 v75, vcc, v63, v44
	global_load_dwordx4 v[52:55], v[56:57], off
	global_load_dwordx4 v[59:62], v[71:72], off
	v_addc_co_u32_e32 v76, vcc, 0, v22, vcc
	global_load_dwordx4 v[63:66], v[73:74], off
	global_load_dwordx4 v[67:70], v[75:76], off
	v_mov_b32_e32 v22, 0
	s_waitcnt vmcnt(3)
	ds_write_b128 v29, v[52:55]
	s_waitcnt vmcnt(2)
	ds_write_b128 v30, v[59:62]
	;; [unrolled: 2-line block ×4, first 2 shown]
	s_waitcnt lgkmcnt(0)
	s_barrier
	ds_read_b128 v[52:55], v33
	ds_read_b128 v[59:62], v34
	s_waitcnt lgkmcnt(0)
	;;#ASMSTART
	v_dot2_f32_f16 v22, v52, v59, v22
	;;#ASMEND
	;;#ASMSTART
	v_dot2_f32_f16 v22, v53, v60, v22
	;;#ASMEND
	;;#ASMSTART
	v_dot2_f32_f16 v22, v54, v61, v22
	;;#ASMEND
	;;#ASMSTART
	v_dot2_f32_f16 v22, v55, v62, v22
	;;#ASMEND
	ds_read_b128 v[52:55], v33 offset:16
	ds_read_b128 v[59:62], v34 offset:16
	s_waitcnt lgkmcnt(0)
	;;#ASMSTART
	v_dot2_f32_f16 v22, v52, v59, v22
	;;#ASMEND
	;;#ASMSTART
	v_dot2_f32_f16 v22, v53, v60, v22
	;;#ASMEND
	;;#ASMSTART
	v_dot2_f32_f16 v22, v54, v61, v22
	;;#ASMEND
	;;#ASMSTART
	v_dot2_f32_f16 v22, v55, v62, v22
	;;#ASMEND
	ds_read_b128 v[52:55], v33 offset:32
	ds_read_b128 v[59:62], v34 offset:32
	;; [unrolled: 15-line block ×7, first 2 shown]
	s_waitcnt lgkmcnt(0)
	;;#ASMSTART
	v_dot2_f32_f16 v22, v52, v59, v22
	;;#ASMEND
	;;#ASMSTART
	v_dot2_f32_f16 v22, v53, v60, v22
	;;#ASMEND
	;; [unrolled: 3-line block ×4, first 2 shown]
	s_barrier
	global_load_dwordx4 v[52:55], v[56:57], off offset:128
	global_load_dwordx4 v[59:62], v[71:72], off offset:128
	global_load_dwordx4 v[63:66], v[73:74], off offset:128
	global_load_dwordx4 v[67:70], v[75:76], off offset:128
	v_add_u32_e32 v56, s14, v2
	v_ashrrev_i32_e32 v57, 31, v56
	v_lshlrev_b64 v[56:57], 1, v[56:57]
	s_waitcnt vmcnt(3)
	ds_write_b128 v29, v[52:55]
	s_waitcnt vmcnt(2)
	ds_write_b128 v30, v[59:62]
	;; [unrolled: 2-line block ×4, first 2 shown]
	s_waitcnt lgkmcnt(0)
	s_barrier
	ds_read_b128 v[52:55], v33
	ds_read_b128 v[59:62], v34 offset:128
	s_waitcnt lgkmcnt(0)
	;;#ASMSTART
	v_dot2_f32_f16 v22, v52, v59, v22
	;;#ASMEND
	;;#ASMSTART
	v_dot2_f32_f16 v22, v53, v60, v22
	;;#ASMEND
	;;#ASMSTART
	v_dot2_f32_f16 v22, v54, v61, v22
	;;#ASMEND
	;;#ASMSTART
	v_dot2_f32_f16 v22, v55, v62, v22
	;;#ASMEND
	ds_read_b128 v[52:55], v33 offset:16
	ds_read_b128 v[59:62], v34 offset:144
	s_waitcnt lgkmcnt(0)
	;;#ASMSTART
	v_dot2_f32_f16 v22, v52, v59, v22
	;;#ASMEND
	;;#ASMSTART
	v_dot2_f32_f16 v22, v53, v60, v22
	;;#ASMEND
	;;#ASMSTART
	v_dot2_f32_f16 v22, v54, v61, v22
	;;#ASMEND
	;;#ASMSTART
	v_dot2_f32_f16 v22, v55, v62, v22
	;;#ASMEND
	ds_read_b128 v[52:55], v33 offset:32
	;; [unrolled: 15-line block ×7, first 2 shown]
	ds_read_b128 v[59:62], v34 offset:240
	s_waitcnt lgkmcnt(0)
	;;#ASMSTART
	v_dot2_f32_f16 v22, v52, v59, v22
	;;#ASMEND
	v_add_co_u32_e32 v56, vcc, s36, v56
	;;#ASMSTART
	v_dot2_f32_f16 v22, v53, v60, v22
	;;#ASMEND
	v_addc_co_u32_e32 v57, vcc, v45, v57, vcc
	;;#ASMSTART
	v_dot2_f32_f16 v22, v54, v61, v22
	;;#ASMEND
	;;#ASMSTART
	v_dot2_f32_f16 v22, v55, v62, v22
	;;#ASMEND
	global_load_ushort v54, v[56:57], off
	v_cmp_nlt_f32_e64 s[8:9], |v22|, s24
                                        ; implicit-def: $vgpr55
	s_and_saveexec_b64 s[38:39], s[8:9]
	s_xor_b64 s[8:9], exec, s[38:39]
	s_cbranch_execz .LBB85_17
; %bb.16:                               ;   in Loop: Header=BB85_15 Depth=1
	v_add_f32_e64 v52, |v22|, |v22|
	v_mul_f32_e32 v53, 0x3fb8aa3b, v52
	v_rndne_f32_e32 v55, v53
	v_sub_f32_e32 v56, v53, v55
	v_fma_f32 v53, v52, s25, -v53
	v_fmac_f32_e32 v53, 0x32a5705f, v52
	v_add_f32_e32 v53, v56, v53
	v_cvt_i32_f32_e32 v55, v55
	v_exp_f32_e32 v53, v53
	v_cmp_ngt_f32_e32 vcc, s28, v52
	v_ldexp_f32 v53, v53, v55
	v_cndmask_b32_e32 v53, 0, v53, vcc
	v_cmp_nlt_f32_e32 vcc, s29, v52
	v_cndmask_b32_e32 v52, v51, v53, vcc
	v_add_f32_e32 v52, 1.0, v52
	v_rcp_f32_e32 v52, v52
	v_fma_f32 v55, v52, -2.0, 1.0
.LBB85_17:                              ;   in Loop: Header=BB85_15 Depth=1
	s_andn2_saveexec_b64 s[8:9], s[8:9]
; %bb.18:                               ;   in Loop: Header=BB85_15 Depth=1
	v_mul_f32_e32 v52, v22, v22
	v_mov_b32_e32 v53, 0x3ca908c9
	v_fmac_f32_e32 v53, 0xbbbac73d, v52
	v_fma_f32 v53, v52, v53, v46
	v_fma_f32 v53, v52, v53, v47
	;; [unrolled: 1-line block ×3, first 2 shown]
	v_mul_f32_e64 v53, |v22|, v53
	v_fma_f32 v55, v52, v53, |v22|
; %bb.19:                               ;   in Loop: Header=BB85_15 Depth=1
	s_or_b64 exec, exec, s[8:9]
	v_and_b32_e32 v52, 0x60, v3
	v_add_u32_e32 v52, 32, v52
	v_xor_b32_e32 v53, 16, v3
	v_bfi_b32 v22, s30, v55, v22
	v_cmp_lt_i32_e32 vcc, v53, v52
	s_waitcnt vmcnt(0)
	v_fma_mix_f32 v59, s15, v22, v54 op_sel_hi:[0,0,1]
	v_cndmask_b32_e32 v56, v3, v53, vcc
	v_add_f32_e32 v22, 0x40051340, v59
	v_max_f32_e32 v54, v58, v58
	v_lshlrev_b32_e32 v56, 2, v56
	v_max_f32_e32 v22, v54, v22
	ds_bpermute_b32 v55, v56, v22
	v_xor_b32_e32 v54, 8, v3
	v_cmp_lt_i32_e32 vcc, v54, v52
	v_cndmask_b32_e32 v56, v3, v54, vcc
	v_lshlrev_b32_e32 v56, 2, v56
	s_waitcnt lgkmcnt(0)
	v_max_f32_e32 v55, v55, v55
	v_max_f32_e32 v22, v22, v55
	ds_bpermute_b32 v56, v56, v22
	v_xor_b32_e32 v55, 4, v3
	v_cmp_lt_i32_e32 vcc, v55, v52
	v_cndmask_b32_e32 v57, v3, v55, vcc
	v_lshlrev_b32_e32 v57, 2, v57
	s_waitcnt lgkmcnt(0)
	v_max_f32_e32 v56, v56, v56
	;; [unrolled: 8-line block ×4, first 2 shown]
	v_max_f32_e32 v22, v22, v60
	ds_bpermute_b32 v60, v61, v22
	s_and_saveexec_b64 s[8:9], s[0:1]
	s_cbranch_execz .LBB85_21
; %bb.20:                               ;   in Loop: Header=BB85_15 Depth=1
	s_waitcnt lgkmcnt(0)
	v_max_f32_e32 v60, v60, v60
	v_max_f32_e32 v22, v22, v22
	;; [unrolled: 1-line block ×3, first 2 shown]
	ds_write_b32 v35, v22
.LBB85_21:                              ;   in Loop: Header=BB85_15 Depth=1
	s_or_b64 exec, exec, s[8:9]
	s_waitcnt lgkmcnt(0)
	s_barrier
	ds_read_b32 v22, v36
	v_and_b32_e32 v60, 0x7c, v3
	v_add_u32_e32 v60, 4, v60
	v_cmp_lt_i32_e32 vcc, v56, v60
	v_cndmask_b32_e32 v61, v3, v56, vcc
	v_lshlrev_b32_e32 v61, 2, v61
	s_waitcnt lgkmcnt(0)
	ds_bpermute_b32 v61, v61, v22
	v_cmp_lt_i32_e32 vcc, v57, v60
	v_max_f32_e32 v22, v22, v22
	v_cndmask_b32_e32 v60, v3, v57, vcc
	v_lshlrev_b32_e32 v60, 2, v60
	s_waitcnt lgkmcnt(0)
	v_max_f32_e32 v61, v61, v61
	v_max_f32_e32 v22, v22, v61
	ds_bpermute_b32 v60, v60, v22
	s_mul_hi_i32 s9, s14, s18
	s_mul_i32 s8, s14, s18
	s_lshl_b64 s[8:9], s[8:9], 2
	s_add_u32 s8, s12, s8
	s_waitcnt lgkmcnt(0)
	v_max_f32_e32 v60, v60, v60
	v_max_f32_e32 v22, v22, v60
	v_sub_f32_e32 v59, v59, v22
	v_mul_f32_e32 v60, 0x3fb8aa3b, v59
	v_fma_f32 v61, v59, s25, -v60
	v_rndne_f32_e32 v62, v60
	v_fmac_f32_e32 v61, 0x32a5705f, v59
	v_sub_f32_e32 v60, v60, v62
	v_add_f32_e32 v60, v60, v61
	v_exp_f32_e32 v60, v60
	v_cvt_i32_f32_e32 v61, v62
	v_cmp_ngt_f32_e32 vcc, s28, v59
	v_sub_f32_e32 v58, v58, v22
	s_addc_u32 s9, s13, s9
	v_ldexp_f32 v60, v60, v61
	v_cndmask_b32_e32 v60, 0, v60, vcc
	v_cmp_nlt_f32_e32 vcc, s29, v59
	v_cndmask_b32_e32 v59, v51, v60, vcc
	v_mul_f32_e32 v60, 0x3fb8aa3b, v58
	v_fma_f32 v61, v58, s25, -v60
	v_rndne_f32_e32 v62, v60
	v_fmac_f32_e32 v61, 0x32a5705f, v58
	v_sub_f32_e32 v60, v60, v62
	v_add_f32_e32 v60, v60, v61
	v_exp_f32_e32 v60, v60
	v_cvt_i32_f32_e32 v61, v62
	v_cmp_ngt_f32_e32 vcc, s28, v58
	v_ldexp_f32 v60, v60, v61
	v_cndmask_b32_e32 v60, 0, v60, vcc
	v_cmp_nlt_f32_e32 vcc, s29, v58
	v_cndmask_b32_e32 v58, v51, v60, vcc
	v_fma_f32 v38, v38, v58, v59
	v_cvt_f16_f32_e32 v58, v58
	v_mul_u32_u24_e32 v62, 0x10001, v58
	v_cvt_f16_f32_e32 v58, v59
	v_mov_b32_e32 v59, s9
	ds_write_b16 v37, v58
	v_add_co_u32_e32 v58, vcc, s8, v14
	v_addc_co_u32_e32 v59, vcc, v59, v15, vcc
	v_add_co_u32_e32 v58, vcc, v58, v49
	v_addc_co_u32_e32 v59, vcc, 0, v59, vcc
	global_load_dwordx4 v[58:61], v[58:59], off
	s_waitcnt vmcnt(0)
	ds_write_b128 v39, v[58:61]
	v_add_co_u32_e32 v58, vcc, s8, v16
	v_mov_b32_e32 v59, s9
	v_addc_co_u32_e32 v59, vcc, v59, v17, vcc
	v_add_co_u32_e32 v58, vcc, v58, v49
	v_addc_co_u32_e32 v59, vcc, 0, v59, vcc
	global_load_dwordx4 v[58:61], v[58:59], off
	s_waitcnt vmcnt(0)
	ds_write_b128 v40, v[58:61]
	v_add_co_u32_e32 v58, vcc, s8, v18
	v_mov_b32_e32 v59, s9
	;; [unrolled: 8-line block ×3, first 2 shown]
	v_addc_co_u32_e32 v59, vcc, v59, v21, vcc
	v_add_co_u32_e32 v58, vcc, v58, v49
	v_addc_co_u32_e32 v59, vcc, 0, v59, vcc
	global_load_dwordx4 v[58:61], v[58:59], off
	s_or_b32 s8, s14, 64
	s_mul_hi_i32 s9, s8, s18
	s_mul_i32 s8, s8, s18
	s_lshl_b64 s[8:9], s[8:9], 2
	s_add_u32 s8, s12, s8
	s_addc_u32 s9, s13, s9
	s_waitcnt vmcnt(0)
	ds_write_b128 v42, v[58:61]
	s_waitcnt lgkmcnt(0)
	s_barrier
	ds_read2st64_b64 v[58:61], v50 offset1:2
	ds_read_u16 v63, v43
	ds_read_u16 v64, v43 offset:8
	ds_read_u16 v65, v43 offset:16
	ds_read_u16 v66, v43 offset:24
	ds_read_u16 v67, v43 offset:32
	ds_read_u16 v68, v43 offset:40
	ds_read_u16 v69, v43 offset:48
	ds_read_u16 v70, v43 offset:56
	s_waitcnt lgkmcnt(7)
	v_mul_u32_u24_e32 v63, 0x10001, v63
	v_pk_mul_f16 v58, v58, v63
	v_pk_fma_f16 v4, v4, v62, v58
	v_pk_mul_f16 v58, v59, v63
	v_pk_fma_f16 v5, v5, v62, v58
	s_waitcnt lgkmcnt(6)
	v_mul_u32_u24_e32 v58, 0x10001, v64
	v_pk_fma_f16 v4, v60, v58, v4
	v_pk_fma_f16 v5, v61, v58, v5
	ds_read2st64_b64 v[58:61], v50 offset0:4 offset1:6
	s_waitcnt lgkmcnt(6)
	v_mul_u32_u24_e32 v62, 0x10001, v65
	s_waitcnt lgkmcnt(0)
	v_pk_fma_f16 v4, v58, v62, v4
	v_pk_fma_f16 v5, v59, v62, v5
	v_mul_u32_u24_e32 v58, 0x10001, v66
	v_pk_fma_f16 v4, v60, v58, v4
	v_pk_fma_f16 v5, v61, v58, v5
	ds_read2st64_b64 v[58:61], v50 offset0:8 offset1:10
	v_mul_u32_u24_e32 v62, 0x10001, v67
	s_waitcnt lgkmcnt(0)
	v_pk_fma_f16 v4, v58, v62, v4
	v_pk_fma_f16 v5, v59, v62, v5
	v_mul_u32_u24_e32 v58, 0x10001, v68
	v_pk_fma_f16 v4, v60, v58, v4
	v_pk_fma_f16 v5, v61, v58, v5
	ds_read2st64_b64 v[58:61], v50 offset0:12 offset1:14
	;; [unrolled: 8-line block ×3, first 2 shown]
	ds_read_u16 v62, v43 offset:64
	s_waitcnt lgkmcnt(0)
	v_mul_u32_u24_e32 v62, 0x10001, v62
	v_pk_fma_f16 v4, v58, v62, v4
	ds_read_u16 v58, v43 offset:72
	v_pk_fma_f16 v5, v59, v62, v5
	s_waitcnt lgkmcnt(0)
	v_mul_u32_u24_e32 v58, 0x10001, v58
	v_pk_fma_f16 v4, v60, v58, v4
	v_pk_fma_f16 v5, v61, v58, v5
	ds_read2st64_b64 v[58:61], v50 offset0:20 offset1:22
	ds_read_u16 v62, v43 offset:80
	s_waitcnt lgkmcnt(0)
	v_mul_u32_u24_e32 v62, 0x10001, v62
	v_pk_fma_f16 v4, v58, v62, v4
	ds_read_u16 v58, v43 offset:88
	v_pk_fma_f16 v5, v59, v62, v5
	s_waitcnt lgkmcnt(0)
	v_mul_u32_u24_e32 v58, 0x10001, v58
	v_pk_fma_f16 v4, v60, v58, v4
	v_pk_fma_f16 v5, v61, v58, v5
	ds_read2st64_b64 v[58:61], v50 offset0:24 offset1:26
	;; [unrolled: 11-line block ×3, first 2 shown]
	ds_read_u16 v62, v43 offset:112
	s_waitcnt lgkmcnt(0)
	v_mul_u32_u24_e32 v62, 0x10001, v62
	v_pk_fma_f16 v4, v58, v62, v4
	ds_read_u16 v58, v43 offset:120
	v_pk_fma_f16 v5, v59, v62, v5
	s_waitcnt lgkmcnt(0)
	s_barrier
	v_mul_u32_u24_e32 v58, 0x10001, v58
	v_pk_fma_f16 v62, v60, v58, v4
	v_pk_fma_f16 v63, v61, v58, v5
	v_add_co_u32_e32 v4, vcc, s8, v14
	v_mov_b32_e32 v5, s9
	v_addc_co_u32_e32 v5, vcc, v5, v15, vcc
	v_add_co_u32_e32 v4, vcc, v4, v49
	v_addc_co_u32_e32 v5, vcc, 0, v5, vcc
	global_load_dwordx4 v[58:61], v[4:5], off
	v_add_co_u32_e32 v4, vcc, s8, v16
	v_mov_b32_e32 v5, s9
	v_addc_co_u32_e32 v5, vcc, v5, v17, vcc
	v_add_co_u32_e32 v4, vcc, v4, v49
	v_addc_co_u32_e32 v5, vcc, 0, v5, vcc
	s_waitcnt vmcnt(0)
	ds_write_b128 v39, v[58:61]
	global_load_dwordx4 v[58:61], v[4:5], off
	v_add_co_u32_e32 v4, vcc, s8, v18
	v_mov_b32_e32 v5, s9
	v_addc_co_u32_e32 v5, vcc, v5, v19, vcc
	v_add_co_u32_e32 v4, vcc, v4, v49
	v_addc_co_u32_e32 v5, vcc, 0, v5, vcc
	s_waitcnt vmcnt(0)
	ds_write_b128 v40, v[58:61]
	;; [unrolled: 8-line block ×3, first 2 shown]
	global_load_dwordx4 v[58:61], v[4:5], off
	s_waitcnt vmcnt(0)
	ds_write_b128 v42, v[58:61]
	s_waitcnt lgkmcnt(0)
	s_barrier
	ds_read2st64_b64 v[58:61], v50 offset1:2
	ds_read_u16 v4, v43 offset:128
	ds_read_u16 v5, v43 offset:136
	;; [unrolled: 1-line block ×8, first 2 shown]
	s_waitcnt lgkmcnt(7)
	v_mul_u32_u24_e32 v4, 0x10001, v4
	v_pk_fma_f16 v58, v58, v4, v62
	v_pk_fma_f16 v4, v59, v4, v63
	s_waitcnt lgkmcnt(6)
	v_mul_u32_u24_e32 v5, 0x10001, v5
	v_pk_fma_f16 v62, v60, v5, v58
	v_pk_fma_f16 v4, v61, v5, v4
	ds_read2st64_b64 v[58:61], v50 offset0:4 offset1:6
	s_waitcnt lgkmcnt(6)
	v_mul_u32_u24_e32 v5, 0x10001, v64
	s_waitcnt lgkmcnt(0)
	v_pk_fma_f16 v58, v58, v5, v62
	v_pk_fma_f16 v4, v59, v5, v4
	v_mul_u32_u24_e32 v5, 0x10001, v65
	v_pk_fma_f16 v62, v60, v5, v58
	v_pk_fma_f16 v4, v61, v5, v4
	ds_read2st64_b64 v[58:61], v50 offset0:8 offset1:10
	v_mul_u32_u24_e32 v5, 0x10001, v66
	s_waitcnt lgkmcnt(0)
	v_pk_fma_f16 v58, v58, v5, v62
	v_pk_fma_f16 v4, v59, v5, v4
	v_mul_u32_u24_e32 v5, 0x10001, v67
	v_pk_fma_f16 v62, v60, v5, v58
	v_pk_fma_f16 v4, v61, v5, v4
	ds_read2st64_b64 v[58:61], v50 offset0:12 offset1:14
	;; [unrolled: 8-line block ×3, first 2 shown]
	ds_read_u16 v5, v43 offset:192
	s_waitcnt lgkmcnt(0)
	v_mul_u32_u24_e32 v5, 0x10001, v5
	v_pk_fma_f16 v58, v58, v5, v62
	v_pk_fma_f16 v4, v59, v5, v4
	ds_read_u16 v5, v43 offset:200
	s_waitcnt lgkmcnt(0)
	v_mul_u32_u24_e32 v5, 0x10001, v5
	v_pk_fma_f16 v62, v60, v5, v58
	v_pk_fma_f16 v4, v61, v5, v4
	ds_read2st64_b64 v[58:61], v50 offset0:20 offset1:22
	ds_read_u16 v5, v43 offset:208
	s_waitcnt lgkmcnt(0)
	v_mul_u32_u24_e32 v5, 0x10001, v5
	v_pk_fma_f16 v58, v58, v5, v62
	v_pk_fma_f16 v4, v59, v5, v4
	ds_read_u16 v5, v43 offset:216
	s_waitcnt lgkmcnt(0)
	v_mul_u32_u24_e32 v5, 0x10001, v5
	v_pk_fma_f16 v62, v60, v5, v58
	v_pk_fma_f16 v4, v61, v5, v4
	ds_read2st64_b64 v[58:61], v50 offset0:24 offset1:26
	;; [unrolled: 11-line block ×3, first 2 shown]
	ds_read_u16 v5, v43 offset:240
	s_waitcnt lgkmcnt(0)
	v_mul_u32_u24_e32 v5, 0x10001, v5
	v_pk_fma_f16 v58, v58, v5, v62
	v_pk_fma_f16 v5, v59, v5, v4
	ds_read_u16 v4, v43 offset:248
	s_waitcnt lgkmcnt(0)
	s_barrier
	s_load_dword s8, s[2:3], 0x4
	v_mul_u32_u24_e32 v59, 0x10001, v4
	v_pk_fma_f16 v4, v60, v59, v58
	v_pk_fma_f16 v5, v61, v59, v5
	s_waitcnt lgkmcnt(0)
	s_lshl_b32 s8, s8, 7
	s_add_i32 s14, s8, s14
	s_cmp_ge_i32 s14, s34
	s_cbranch_scc1 .LBB85_9
; %bb.22:                               ;   in Loop: Header=BB85_15 Depth=1
	v_mov_b32_e32 v58, v22
	s_branch .LBB85_15
.LBB85_23:
	v_cmp_eq_u32_e64 s[0:1], 0, v0
	ds_write_b64 v1, v[4:5]
	s_and_saveexec_b64 s[8:9], s[0:1]
; %bb.24:
	ds_write_b32 v28, v23 offset:18944
; %bb.25:
	s_or_b64 exec, exec, s[8:9]
                                        ; implicit-def: $vgpr1
                                        ; implicit-def: $vgpr28
	s_andn2_saveexec_b64 s[0:1], s[2:3]
	s_cbranch_execz .LBB85_11
.LBB85_26:
	s_waitcnt lgkmcnt(0)
	s_barrier
	ds_read2_b64 v[6:9], v1 offset0:32 offset1:64
	v_add_u32_e32 v2, 0x4a04, v28
	ds_read2_b32 v[2:3], v2 offset1:1
	s_waitcnt lgkmcnt(1)
	v_pk_add_f16 v6, v6, v4
	v_pk_add_f16 v7, v7, v5
	ds_read_b64 v[4:5], v1 offset:768
	ds_read_b32 v1, v28 offset:18956
	s_waitcnt lgkmcnt(2)
	v_add_f32_e32 v2, v23, v2
	v_pk_add_f16 v6, v8, v6
	v_pk_add_f16 v7, v9, v7
	v_add_f32_e32 v2, v2, v3
	s_waitcnt lgkmcnt(1)
	v_pk_add_f16 v4, v4, v6
	v_pk_add_f16 v5, v5, v7
	s_waitcnt lgkmcnt(0)
	v_add_f32_e32 v23, v2, v1
	s_or_b64 exec, exec, s[0:1]
	s_and_saveexec_b64 s[0:1], vcc
	s_cbranch_execz .LBB85_12
.LBB85_27:
	s_cmp_eq_u64 s[16:17], 0
	s_cselect_b64 s[0:1], -1, 0
	s_cmp_lg_u32 s7, 0
	s_cselect_b64 s[2:3], -1, 0
	s_or_b64 s[0:1], s[2:3], s[0:1]
	v_add_u32_e32 v1, s35, v26
	s_and_b64 vcc, exec, s[0:1]
	s_cbranch_vccnz .LBB85_29
; %bb.28:
	v_ashrrev_i32_e32 v2, 31, v1
	v_lshlrev_b64 v[2:3], 2, v[1:2]
	v_mov_b32_e32 v6, s17
	v_add_co_u32_e32 v2, vcc, s16, v2
	v_addc_co_u32_e32 v3, vcc, v6, v3, vcc
	global_load_dword v2, v[2:3], off
	v_max_f32_e32 v3, v22, v22
	s_mov_b32 s0, 0x3fb8aa3b
	s_mov_b32 s1, 0xc2ce8ed0
	s_waitcnt vmcnt(0)
	v_max_f32_e32 v6, v2, v2
	v_max_f32_e32 v3, v3, v6
	v_sub_f32_e32 v6, v22, v3
	v_sub_f32_e32 v2, v2, v3
	v_mul_f32_e32 v7, 0x3fb8aa3b, v6
	v_mul_f32_e32 v8, 0x3fb8aa3b, v2
	v_fma_f32 v9, v6, s0, -v7
	v_rndne_f32_e32 v10, v7
	v_fma_f32 v11, v2, s0, -v8
	v_rndne_f32_e32 v12, v8
	v_fmac_f32_e32 v9, 0x32a5705f, v6
	v_sub_f32_e32 v7, v7, v10
	v_fmac_f32_e32 v11, 0x32a5705f, v2
	v_sub_f32_e32 v8, v8, v12
	v_add_f32_e32 v7, v7, v9
	v_cvt_i32_f32_e32 v10, v10
	v_add_f32_e32 v8, v8, v11
	v_exp_f32_e32 v7, v7
	v_cvt_i32_f32_e32 v12, v12
	v_exp_f32_e32 v8, v8
	v_cmp_ngt_f32_e32 vcc, s1, v6
	v_ldexp_f32 v7, v7, v10
	s_mov_b32 s0, 0x42b17218
	v_ldexp_f32 v8, v8, v12
	v_cndmask_b32_e32 v7, 0, v7, vcc
	v_cmp_ngt_f32_e32 vcc, s1, v2
	v_mov_b32_e32 v9, 0x7f800000
	v_cndmask_b32_e32 v8, 0, v8, vcc
	v_cmp_nlt_f32_e32 vcc, s0, v6
	v_cndmask_b32_e32 v6, v9, v7, vcc
	v_cvt_f16_f32_e32 v7, v6
	v_cmp_nlt_f32_e32 vcc, s0, v2
	v_cndmask_b32_e32 v2, v9, v8, vcc
	v_fmac_f32_e32 v2, v23, v6
	v_mov_b32_e32 v23, v2
	v_mul_u32_u24_e32 v2, 0x10001, v7
	v_pk_mul_f16 v4, v4, v2
	v_pk_mul_f16 v5, v5, v2
	v_mov_b32_e32 v22, v3
.LBB85_29:
	v_div_scale_f32 v2, s[0:1], v23, v23, 1.0
	v_div_scale_f32 v3, vcc, 1.0, v23, 1.0
	s_load_dword s4, s[4:5], 0xd4
	s_mul_i32 s0, s33, s26
	s_waitcnt lgkmcnt(0)
	s_cmp_lg_u32 s4, 1
	s_cselect_b64 s[2:3], -1, 0
	s_add_i32 s0, s0, s6
	v_rcp_f32_e32 v6, v2
	v_fma_f32 v7, -v2, v6, 1.0
	v_fmac_f32_e32 v6, v7, v6
	v_mul_f32_e32 v7, v3, v6
	v_fma_f32 v8, -v2, v7, v3
	v_fmac_f32_e32 v7, v8, v6
	v_fma_f32 v2, -v2, v7, v3
	v_div_fmas_f32 v2, v2, v6, v7
	v_cmp_eq_u32_e32 vcc, 0, v0
	v_add_u32_e32 v0, s0, v25
	v_cvt_f32_f16_e32 v3, v4
	v_cvt_f32_f16_sdwa v4, v4 dst_sel:DWORD dst_unused:UNUSED_PAD src0_sel:WORD_1
	v_cvt_f32_f16_e32 v7, v5
	v_cvt_f32_f16_sdwa v5, v5 dst_sel:DWORD dst_unused:UNUSED_PAD src0_sel:WORD_1
	v_mov_b32_e32 v6, 0
	v_mov_b32_e32 v8, s21
	v_div_fixup_f32 v2, v2, v23, 1.0
	v_mad_u64_u32 v[0:1], s[0:1], v0, s27, v[1:2]
	v_cndmask_b32_e64 v9, v2, 1.0, s[2:3]
	v_mul_f32_e32 v2, v9, v4
	v_mul_lo_u32 v0, s4, v0
	v_mul_f32_e32 v4, v9, v5
	v_mul_f32_e32 v1, v9, v3
	;; [unrolled: 1-line block ×3, first 2 shown]
	v_add_u32_e32 v0, s7, v0
	v_lshl_add_u32 v5, v0, 7, v24
	v_lshlrev_b64 v[5:6], 2, v[5:6]
	v_add_co_u32_e64 v5, s[0:1], s20, v5
	v_addc_co_u32_e64 v6, s[0:1], v8, v6, s[0:1]
	s_and_b64 s[0:1], vcc, s[2:3]
	global_store_dwordx4 v[5:6], v[1:4], off
	s_and_b64 exec, exec, s[0:1]
	s_cbranch_execz .LBB85_12
; %bb.30:
	v_ashrrev_i32_e32 v1, 31, v0
	v_lshlrev_b64 v[0:1], 3, v[0:1]
	v_mov_b32_e32 v2, s23
	v_add_co_u32_e32 v0, vcc, s22, v0
	v_addc_co_u32_e32 v1, vcc, v2, v1, vcc
	global_store_dwordx2 v[0:1], v[22:23], off
	s_endpgm
	.section	.rodata,"a",@progbits
	.p2align	6, 0x0
	.amdhsa_kernel _ZL15flash_attn_tileILi128ELi128ELi1ELi2ELb1EEvPKcS1_S1_S1_S1_PKiPfP15HIP_vector_typeIfLj2EEffffjfiS5_IjLj3EEiiiiiiiiiiiliiliiiiil
		.amdhsa_group_segment_fixed_size 19488
		.amdhsa_private_segment_fixed_size 0
		.amdhsa_kernarg_size 464
		.amdhsa_user_sgpr_count 6
		.amdhsa_user_sgpr_private_segment_buffer 1
		.amdhsa_user_sgpr_dispatch_ptr 0
		.amdhsa_user_sgpr_queue_ptr 0
		.amdhsa_user_sgpr_kernarg_segment_ptr 1
		.amdhsa_user_sgpr_dispatch_id 0
		.amdhsa_user_sgpr_flat_scratch_init 0
		.amdhsa_user_sgpr_private_segment_size 0
		.amdhsa_uses_dynamic_stack 0
		.amdhsa_system_sgpr_private_segment_wavefront_offset 0
		.amdhsa_system_sgpr_workgroup_id_x 1
		.amdhsa_system_sgpr_workgroup_id_y 1
		.amdhsa_system_sgpr_workgroup_id_z 1
		.amdhsa_system_sgpr_workgroup_info 0
		.amdhsa_system_vgpr_workitem_id 1
		.amdhsa_next_free_vgpr 77
		.amdhsa_next_free_sgpr 98
		.amdhsa_reserve_vcc 1
		.amdhsa_reserve_flat_scratch 0
		.amdhsa_float_round_mode_32 0
		.amdhsa_float_round_mode_16_64 0
		.amdhsa_float_denorm_mode_32 3
		.amdhsa_float_denorm_mode_16_64 3
		.amdhsa_dx10_clamp 1
		.amdhsa_ieee_mode 1
		.amdhsa_fp16_overflow 0
		.amdhsa_exception_fp_ieee_invalid_op 0
		.amdhsa_exception_fp_denorm_src 0
		.amdhsa_exception_fp_ieee_div_zero 0
		.amdhsa_exception_fp_ieee_overflow 0
		.amdhsa_exception_fp_ieee_underflow 0
		.amdhsa_exception_fp_ieee_inexact 0
		.amdhsa_exception_int_div_zero 0
	.end_amdhsa_kernel
	.section	.text._ZL15flash_attn_tileILi128ELi128ELi1ELi2ELb1EEvPKcS1_S1_S1_S1_PKiPfP15HIP_vector_typeIfLj2EEffffjfiS5_IjLj3EEiiiiiiiiiiiliiliiiiil,"axG",@progbits,_ZL15flash_attn_tileILi128ELi128ELi1ELi2ELb1EEvPKcS1_S1_S1_S1_PKiPfP15HIP_vector_typeIfLj2EEffffjfiS5_IjLj3EEiiiiiiiiiiiliiliiiiil,comdat
.Lfunc_end85:
	.size	_ZL15flash_attn_tileILi128ELi128ELi1ELi2ELb1EEvPKcS1_S1_S1_S1_PKiPfP15HIP_vector_typeIfLj2EEffffjfiS5_IjLj3EEiiiiiiiiiiiliiliiiiil, .Lfunc_end85-_ZL15flash_attn_tileILi128ELi128ELi1ELi2ELb1EEvPKcS1_S1_S1_S1_PKiPfP15HIP_vector_typeIfLj2EEffffjfiS5_IjLj3EEiiiiiiiiiiiliiliiiiil
                                        ; -- End function
	.set _ZL15flash_attn_tileILi128ELi128ELi1ELi2ELb1EEvPKcS1_S1_S1_S1_PKiPfP15HIP_vector_typeIfLj2EEffffjfiS5_IjLj3EEiiiiiiiiiiiliiliiiiil.num_vgpr, 77
	.set _ZL15flash_attn_tileILi128ELi128ELi1ELi2ELb1EEvPKcS1_S1_S1_S1_PKiPfP15HIP_vector_typeIfLj2EEffffjfiS5_IjLj3EEiiiiiiiiiiiliiliiiiil.num_agpr, 0
	.set _ZL15flash_attn_tileILi128ELi128ELi1ELi2ELb1EEvPKcS1_S1_S1_S1_PKiPfP15HIP_vector_typeIfLj2EEffffjfiS5_IjLj3EEiiiiiiiiiiiliiliiiiil.numbered_sgpr, 45
	.set _ZL15flash_attn_tileILi128ELi128ELi1ELi2ELb1EEvPKcS1_S1_S1_S1_PKiPfP15HIP_vector_typeIfLj2EEffffjfiS5_IjLj3EEiiiiiiiiiiiliiliiiiil.num_named_barrier, 0
	.set _ZL15flash_attn_tileILi128ELi128ELi1ELi2ELb1EEvPKcS1_S1_S1_S1_PKiPfP15HIP_vector_typeIfLj2EEffffjfiS5_IjLj3EEiiiiiiiiiiiliiliiiiil.private_seg_size, 0
	.set _ZL15flash_attn_tileILi128ELi128ELi1ELi2ELb1EEvPKcS1_S1_S1_S1_PKiPfP15HIP_vector_typeIfLj2EEffffjfiS5_IjLj3EEiiiiiiiiiiiliiliiiiil.uses_vcc, 1
	.set _ZL15flash_attn_tileILi128ELi128ELi1ELi2ELb1EEvPKcS1_S1_S1_S1_PKiPfP15HIP_vector_typeIfLj2EEffffjfiS5_IjLj3EEiiiiiiiiiiiliiliiiiil.uses_flat_scratch, 0
	.set _ZL15flash_attn_tileILi128ELi128ELi1ELi2ELb1EEvPKcS1_S1_S1_S1_PKiPfP15HIP_vector_typeIfLj2EEffffjfiS5_IjLj3EEiiiiiiiiiiiliiliiiiil.has_dyn_sized_stack, 0
	.set _ZL15flash_attn_tileILi128ELi128ELi1ELi2ELb1EEvPKcS1_S1_S1_S1_PKiPfP15HIP_vector_typeIfLj2EEffffjfiS5_IjLj3EEiiiiiiiiiiiliiliiiiil.has_recursion, 0
	.set _ZL15flash_attn_tileILi128ELi128ELi1ELi2ELb1EEvPKcS1_S1_S1_S1_PKiPfP15HIP_vector_typeIfLj2EEffffjfiS5_IjLj3EEiiiiiiiiiiiliiliiiiil.has_indirect_call, 0
	.section	.AMDGPU.csdata,"",@progbits
; Kernel info:
; codeLenInByte = 6256
; TotalNumSgprs: 49
; NumVgprs: 77
; ScratchSize: 0
; MemoryBound: 0
; FloatMode: 240
; IeeeMode: 1
; LDSByteSize: 19488 bytes/workgroup (compile time only)
; SGPRBlocks: 12
; VGPRBlocks: 19
; NumSGPRsForWavesPerEU: 102
; NumVGPRsForWavesPerEU: 77
; Occupancy: 3
; WaveLimiterHint : 1
; COMPUTE_PGM_RSRC2:SCRATCH_EN: 0
; COMPUTE_PGM_RSRC2:USER_SGPR: 6
; COMPUTE_PGM_RSRC2:TRAP_HANDLER: 0
; COMPUTE_PGM_RSRC2:TGID_X_EN: 1
; COMPUTE_PGM_RSRC2:TGID_Y_EN: 1
; COMPUTE_PGM_RSRC2:TGID_Z_EN: 1
; COMPUTE_PGM_RSRC2:TIDIG_COMP_CNT: 1
	.section	.text._ZL15flash_attn_tileILi128ELi128ELi64ELi1ELb1EEvPKcS1_S1_S1_S1_PKiPfP15HIP_vector_typeIfLj2EEffffjfiS5_IjLj3EEiiiiiiiiiiiliiliiiiil,"axG",@progbits,_ZL15flash_attn_tileILi128ELi128ELi64ELi1ELb1EEvPKcS1_S1_S1_S1_PKiPfP15HIP_vector_typeIfLj2EEffffjfiS5_IjLj3EEiiiiiiiiiiiliiliiiiil,comdat
	.globl	_ZL15flash_attn_tileILi128ELi128ELi64ELi1ELb1EEvPKcS1_S1_S1_S1_PKiPfP15HIP_vector_typeIfLj2EEffffjfiS5_IjLj3EEiiiiiiiiiiiliiliiiiil ; -- Begin function _ZL15flash_attn_tileILi128ELi128ELi64ELi1ELb1EEvPKcS1_S1_S1_S1_PKiPfP15HIP_vector_typeIfLj2EEffffjfiS5_IjLj3EEiiiiiiiiiiiliiliiiiil
	.p2align	8
	.type	_ZL15flash_attn_tileILi128ELi128ELi64ELi1ELb1EEvPKcS1_S1_S1_S1_PKiPfP15HIP_vector_typeIfLj2EEffffjfiS5_IjLj3EEiiiiiiiiiiiliiliiiiil,@function
_ZL15flash_attn_tileILi128ELi128ELi64ELi1ELb1EEvPKcS1_S1_S1_S1_PKiPfP15HIP_vector_typeIfLj2EEffffjfiS5_IjLj3EEiiiiiiiiiiiliiliiiiil: ; @_ZL15flash_attn_tileILi128ELi128ELi64ELi1ELb1EEvPKcS1_S1_S1_S1_PKiPfP15HIP_vector_typeIfLj2EEffffjfiS5_IjLj3EEiiiiiiiiiiiliiliiiiil
; %bb.0:
	s_load_dwordx4 s[28:31], s[4:5], 0x5c
	s_load_dwordx2 s[42:43], s[4:5], 0x80
	s_add_u32 flat_scratch_lo, s6, s11
	s_addc_u32 flat_scratch_hi, s7, 0
	s_add_u32 s0, s0, s11
	s_waitcnt lgkmcnt(0)
	v_cvt_f32_u32_e32 v2, s31
	s_addc_u32 s1, s1, 0
	s_sub_i32 s6, 0, s31
	s_load_dwordx2 s[44:45], s[4:5], 0xb8
	v_rcp_iflag_f32_e32 v2, v2
	s_mov_b64 s[40:41], 0
	v_mul_f32_e32 v2, 0x4f7ffffe, v2
	v_cvt_u32_f32_e32 v2, v2
	v_readfirstlane_b32 s7, v2
	s_mul_i32 s6, s6, s7
	s_mul_hi_u32 s6, s7, s6
	s_add_i32 s7, s7, s6
	s_mul_hi_u32 s6, s10, s7
	s_mul_i32 s7, s6, s31
	s_sub_i32 s7, s10, s7
	s_add_i32 s11, s6, 1
	s_sub_i32 s12, s7, s31
	s_cmp_ge_u32 s7, s31
	s_cselect_b32 s6, s11, s6
	s_cselect_b32 s7, s12, s7
	s_add_i32 s11, s6, 1
	s_cmp_ge_u32 s7, s31
	s_cselect_b32 s33, s11, s6
	s_abs_i32 s6, s43
	v_cvt_f32_u32_e32 v2, s6
	s_mul_i32 s12, s33, s31
	s_sub_i32 s13, 0, s6
	s_sub_i32 s34, s10, s12
	v_rcp_iflag_f32_e32 v2, v2
	s_abs_i32 s11, s31
	s_xor_b32 s7, s31, s43
	s_ashr_i32 s7, s7, 31
	v_mul_f32_e32 v2, 0x4f7ffffe, v2
	v_cvt_u32_f32_e32 v2, v2
	v_readfirstlane_b32 s10, v2
	s_mul_i32 s13, s13, s10
	s_mul_hi_u32 s12, s10, s13
	s_add_i32 s10, s10, s12
	s_mul_hi_u32 s10, s11, s10
	s_mul_i32 s12, s10, s6
	s_sub_i32 s11, s11, s12
	s_add_i32 s13, s10, 1
	s_sub_i32 s12, s11, s6
	s_cmp_ge_u32 s11, s6
	s_cselect_b32 s10, s13, s10
	s_cselect_b32 s11, s12, s11
	s_add_i32 s12, s10, 1
	s_cmp_ge_u32 s11, s6
	s_cselect_b32 s6, s12, s10
	s_xor_b32 s6, s6, s7
	s_sub_i32 s47, s6, s7
	s_abs_i32 s43, s47
	v_cvt_f32_u32_e32 v2, s43
	s_load_dwordx16 s[12:27], s[4:5], 0x0
	s_sub_i32 s6, 0, s43
	s_abs_i32 s46, s34
	v_rcp_iflag_f32_e32 v2, v2
	v_mul_f32_e32 v2, 0x4f7ffffe, v2
	v_cvt_u32_f32_e32 v2, v2
	v_readfirstlane_b32 s7, v2
	s_mul_i32 s6, s6, s7
	s_mul_hi_u32 s6, s7, s6
	s_add_i32 s6, s7, s6
	s_waitcnt lgkmcnt(0)
	s_cmp_eq_u64 s[18:19], 0
	s_cbranch_scc1 .LBB86_2
; %bb.1:
	s_abs_i32 s7, s44
	v_cvt_f32_u32_e32 v2, s7
	s_sub_i32 s37, 0, s7
	s_abs_i32 s36, s33
	s_ashr_i32 s35, s33, 31
	v_rcp_iflag_f32_e32 v2, v2
	s_load_dwordx2 s[10:11], s[4:5], 0xc8
	v_mul_f32_e32 v2, 0x4f7ffffe, v2
	v_cvt_u32_f32_e32 v2, v2
	v_readfirstlane_b32 s38, v2
	s_mul_i32 s37, s37, s38
	s_mul_hi_u32 s37, s38, s37
	s_add_i32 s38, s38, s37
	s_mul_hi_u32 s37, s36, s38
	s_mul_i32 s37, s37, s7
	s_sub_i32 s36, s36, s37
	s_sub_i32 s37, s36, s7
	s_cmp_ge_u32 s36, s7
	s_cselect_b32 s36, s37, s36
	s_sub_i32 s37, s36, s7
	s_cmp_ge_u32 s36, s7
	s_cselect_b32 s7, s37, s36
	s_xor_b32 s7, s7, s35
	s_sub_i32 s7, s7, s35
	s_ashr_i32 s35, s7, 31
	s_waitcnt lgkmcnt(0)
	s_mul_hi_u32 s36, s10, s7
	s_mul_i32 s35, s10, s35
	s_mul_i32 s11, s11, s7
	s_add_i32 s35, s36, s35
	s_add_i32 s35, s35, s11
	s_mul_i32 s7, s10, s7
	s_add_u32 s40, s18, s7
	s_addc_u32 s41, s19, s35
.LBB86_2:
	s_load_dwordx4 s[36:39], s[4:5], 0x40
	s_load_dwordx2 s[18:19], s[4:5], 0x50
	s_mul_hi_u32 s44, s46, s6
	v_mov_b32_e32 v21, 1.0
	s_waitcnt lgkmcnt(0)
	v_cmp_le_f32_e64 s[6:7], s37, 0
	s_and_b64 vcc, exec, s[6:7]
	s_cbranch_vccnz .LBB86_4
; %bb.3:
	v_mov_b32_e32 v2, s18
	v_sub_co_u32_e32 v2, vcc, s34, v2
	v_mov_b32_e32 v3, s39
	v_mov_b32_e32 v4, s38
	s_add_i32 s6, s34, 1
	v_lshlrev_b32_e32 v2, 1, v2
	v_cndmask_b32_e32 v3, v3, v4, vcc
	v_or_b32_e32 v2, 1, v2
	v_mov_b32_e32 v4, s6
	v_cndmask_b32_e32 v2, v2, v4, vcc
	v_cvt_f32_i32_e32 v2, v2
	v_cmp_neq_f32_e32 vcc, 1.0, v3
	s_mov_b32 s6, 0x3f2aaaab
	s_movk_i32 s10, 0x204
	v_cndmask_b32_e32 v4, 1.0, v2, vcc
	v_cmp_neq_f32_e32 vcc, 0, v4
	v_cndmask_b32_e32 v5, 1.0, v3, vcc
	v_frexp_mant_f32_e64 v2, |v5|
	v_cmp_gt_f32_e32 vcc, s6, v2
	v_cndmask_b32_e64 v3, 1.0, 2.0, vcc
	v_mul_f32_e32 v2, v2, v3
	v_add_f32_e32 v3, 1.0, v2
	v_rcp_f32_e32 v6, v3
	v_add_f32_e32 v7, -1.0, v2
	v_add_f32_e32 v8, -1.0, v3
	v_sub_f32_e32 v2, v2, v8
	v_mul_f32_e32 v8, v7, v6
	v_mul_f32_e32 v9, v3, v8
	v_fma_f32 v3, v8, v3, -v9
	v_fmac_f32_e32 v3, v8, v2
	v_add_f32_e32 v2, v9, v3
	v_sub_f32_e32 v10, v7, v2
	v_sub_f32_e32 v9, v2, v9
	;; [unrolled: 1-line block ×5, first 2 shown]
	v_add_f32_e32 v2, v3, v2
	v_add_f32_e32 v2, v10, v2
	v_mul_f32_e32 v2, v6, v2
	v_add_f32_e32 v6, v8, v2
	v_sub_f32_e32 v3, v6, v8
	v_sub_f32_e32 v7, v2, v3
	v_mul_f32_e32 v2, v6, v6
	v_fma_f32 v3, v6, v6, -v2
	v_add_f32_e32 v8, v7, v7
	v_fmac_f32_e32 v3, v6, v8
	v_add_f32_e32 v8, v2, v3
	v_mov_b32_e32 v9, 0x3e91f4c4
	v_sub_f32_e32 v2, v8, v2
	v_fmac_f32_e32 v9, 0x3e76c4e1, v8
	v_mov_b32_e32 v10, 0x3ecccdef
	v_sub_f32_e32 v2, v3, v2
	v_mul_f32_e32 v3, v6, v8
	v_fmac_f32_e32 v10, v8, v9
	v_fma_f32 v9, v8, v6, -v3
	v_fmac_f32_e32 v9, v8, v7
	v_fmac_f32_e32 v9, v2, v6
	v_add_f32_e32 v11, v3, v9
	v_sub_f32_e32 v3, v11, v3
	v_sub_f32_e32 v9, v9, v3
	v_mul_f32_e32 v3, v8, v10
	v_fma_f32 v8, v8, v10, -v3
	v_fmac_f32_e32 v8, v2, v10
	v_add_f32_e32 v10, v3, v8
	v_sub_f32_e32 v2, v10, v3
	v_sub_f32_e32 v8, v8, v2
	v_cvt_f64_f32_e64 v[2:3], |v5|
	v_add_f32_e32 v12, 0x3f2aaaaa, v10
	v_add_f32_e32 v13, 0xbf2aaaaa, v12
	;; [unrolled: 1-line block ×3, first 2 shown]
	v_frexp_exp_i32_f64_e32 v2, v[2:3]
	v_sub_f32_e32 v10, v10, v13
	v_add_f32_e32 v3, v8, v10
	v_add_f32_e32 v8, v12, v3
	v_sub_f32_e32 v10, v12, v8
	v_add_f32_e32 v3, v3, v10
	v_mul_f32_e32 v10, v11, v8
	v_fma_f32 v12, v11, v8, -v10
	v_subbrev_co_u32_e32 v2, vcc, 0, v2, vcc
	v_cvt_f32_i32_e32 v2, v2
	v_fmac_f32_e32 v12, v11, v3
	s_mov_b32 s6, 0x3f317218
	v_fmac_f32_e32 v12, v9, v8
	v_mul_f32_e32 v3, 0x3f317218, v2
	v_fma_f32 v8, v2, s6, -v3
	v_fmac_f32_e32 v8, 0xb102e308, v2
	v_ldexp_f32 v2, v7, 1
	v_add_f32_e32 v7, v3, v8
	v_sub_f32_e32 v3, v7, v3
	v_ldexp_f32 v6, v6, 1
	v_sub_f32_e32 v3, v8, v3
	v_add_f32_e32 v8, v10, v12
	v_sub_f32_e32 v9, v8, v10
	v_add_f32_e32 v10, v6, v8
	v_sub_f32_e32 v9, v12, v9
	v_sub_f32_e32 v6, v10, v6
	;; [unrolled: 1-line block ×3, first 2 shown]
	v_add_f32_e32 v2, v2, v9
	v_add_f32_e32 v2, v2, v6
	;; [unrolled: 1-line block ×3, first 2 shown]
	v_sub_f32_e32 v8, v6, v10
	v_sub_f32_e32 v2, v2, v8
	v_add_f32_e32 v8, v7, v6
	v_sub_f32_e32 v9, v8, v7
	v_sub_f32_e32 v10, v8, v9
	;; [unrolled: 1-line block ×4, first 2 shown]
	v_add_f32_e32 v6, v6, v7
	v_add_f32_e32 v7, v3, v2
	v_sub_f32_e32 v9, v7, v3
	v_sub_f32_e32 v10, v7, v9
	;; [unrolled: 1-line block ×4, first 2 shown]
	v_add_f32_e32 v2, v2, v3
	v_add_f32_e32 v3, v7, v6
	;; [unrolled: 1-line block ×3, first 2 shown]
	v_sub_f32_e32 v7, v6, v8
	v_sub_f32_e32 v3, v3, v7
	v_add_f32_e32 v2, v2, v3
	v_add_f32_e32 v3, v6, v2
	v_sub_f32_e32 v6, v3, v6
	v_sub_f32_e32 v2, v2, v6
	v_mul_f32_e32 v6, v4, v3
	v_fma_f32 v3, v4, v3, -v6
	v_fmac_f32_e32 v3, v4, v2
	v_add_f32_e32 v2, v6, v3
	v_cmp_class_f32_e64 vcc, v6, s10
	v_sub_f32_e32 v7, v2, v6
	v_cndmask_b32_e32 v2, v2, v6, vcc
	s_mov_b32 s7, 0x42b17218
	v_mov_b32_e32 v6, 0x37000000
	v_cmp_eq_f32_e32 vcc, s7, v2
	v_cndmask_b32_e32 v6, 0, v6, vcc
	v_sub_f32_e32 v3, v3, v7
	v_sub_f32_e32 v7, v2, v6
	s_mov_b32 s11, 0x3fb8aa3b
	v_mul_f32_e32 v8, 0x3fb8aa3b, v7
	v_fma_f32 v9, v7, s11, -v8
	v_rndne_f32_e32 v10, v8
	v_fmac_f32_e32 v9, 0x32a5705f, v7
	v_sub_f32_e32 v8, v8, v10
	v_add_f32_e32 v8, v8, v9
	v_exp_f32_e32 v8, v8
	v_cvt_i32_f32_e32 v9, v10
	s_mov_b32 s6, 0x7f800000
	v_cmp_neq_f32_e64 vcc, |v2|, s6
	s_mov_b32 s6, 0xc2ce8ed0
	v_cndmask_b32_e32 v2, 0, v3, vcc
	v_ldexp_f32 v3, v8, v9
	v_cmp_ngt_f32_e32 vcc, s6, v7
	v_add_f32_e32 v2, v6, v2
	v_cndmask_b32_e32 v3, 0, v3, vcc
	v_mov_b32_e32 v6, 0x7f800000
	v_cmp_nlt_f32_e32 vcc, s7, v7
	v_cndmask_b32_e32 v3, v6, v3, vcc
	v_fma_f32 v2, v3, v2, v3
	v_cmp_class_f32_e64 vcc, v3, s10
	v_cndmask_b32_e32 v2, v2, v3, vcc
	v_trunc_f32_e32 v3, v4
	v_cmp_eq_f32_e32 vcc, v3, v4
	v_mul_f32_e32 v3, 0.5, v4
	v_trunc_f32_e32 v8, v3
	v_cmp_neq_f32_e64 s[6:7], v8, v3
	s_and_b64 s[6:7], vcc, s[6:7]
	v_cndmask_b32_e64 v3, 1.0, v5, s[6:7]
	s_brev_b32 s18, -2
	v_mov_b32_e32 v7, 0x7fc00000
	v_bfi_b32 v2, s18, v2, v3
	v_cndmask_b32_e32 v3, v7, v2, vcc
	v_cmp_gt_f32_e32 vcc, 0, v5
	v_cndmask_b32_e32 v2, v2, v3, vcc
	v_cmp_class_f32_e64 s[38:39], v5, s10
	v_cmp_eq_f32_e32 vcc, 0, v5
	v_cmp_gt_f32_e64 s[10:11], 0, v4
	s_xor_b64 s[10:11], s[10:11], vcc
	v_cndmask_b32_e64 v3, v6, 0, s[10:11]
	v_cndmask_b32_e64 v4, 0, v5, s[6:7]
	v_bfi_b32 v3, s18, v3, v4
	s_or_b64 vcc, vcc, s[38:39]
	v_cndmask_b32_e32 v2, v2, v3, vcc
	v_cmp_o_f32_e32 vcc, v5, v5
	v_cndmask_b32_e32 v21, v7, v2, vcc
.LBB86_4:
	s_lshl_b32 s18, s8, 6
	v_lshlrev_b32_e32 v39, 3, v1
	s_load_dwordx4 s[48:51], s[4:5], 0x70
	v_add_u32_e32 v41, s18, v39
	v_mul_hi_u32 v2, v41, s28
	s_ashr_i32 s35, s34, 31
	s_ashr_i32 s10, s47, 31
	s_waitcnt lgkmcnt(0)
	s_mul_i32 s6, s33, s50
	v_add_u32_e32 v2, v41, v2
	s_ashr_i32 s7, s6, 31
	v_lshrrev_b32_e32 v2, s29, v2
	s_add_u32 s6, s12, s6
	s_mul_i32 s11, s34, s49
	v_mul_lo_u32 v2, v2, s30
	s_addc_u32 s7, s13, s7
	s_ashr_i32 s12, s11, 31
	s_add_u32 s11, s6, s11
	s_addc_u32 s37, s7, s12
	s_ashr_i32 s49, s48, 31
	s_lshr_b64 s[6:7], s[48:49], 2
	v_sub_u32_e32 v3, v41, v2
	v_mad_u64_u32 v[6:7], s[12:13], s6, v3, 0
	v_mov_b32_e32 v5, s37
	s_lshr_b32 s7, s49, 2
	v_mov_b32_e32 v4, v7
	v_mad_u64_u32 v[7:8], s[12:13], s7, v3, v[4:5]
	v_lshlrev_b32_e32 v2, 4, v0
	v_add_co_u32_e32 v4, vcc, s11, v2
	v_lshlrev_b64 v[6:7], 2, v[6:7]
	v_addc_co_u32_e32 v5, vcc, 0, v5, vcc
	v_add_co_u32_e32 v6, vcc, v4, v6
	v_addc_co_u32_e32 v7, vcc, v5, v7, vcc
	global_load_dwordx4 v[7:10], v[6:7], off
	v_or_b32_e32 v120, 1, v39
	v_or_b32_e32 v118, 2, v39
	;; [unrolled: 1-line block ×3, first 2 shown]
	v_add_u32_e32 v38, s18, v120
	v_add_u32_e32 v40, s18, v118
	;; [unrolled: 1-line block ×3, first 2 shown]
	v_mul_hi_u32 v11, v38, s28
	v_mul_hi_u32 v12, v40, s28
	;; [unrolled: 1-line block ×3, first 2 shown]
	v_or_b32_e32 v113, 4, v39
	v_add_u32_e32 v11, v38, v11
	v_add_u32_e32 v12, v40, v12
	;; [unrolled: 1-line block ×3, first 2 shown]
	v_lshrrev_b32_e32 v11, s29, v11
	v_lshrrev_b32_e32 v12, s29, v12
	v_add_u32_e32 v116, s18, v113
	v_lshrrev_b32_e32 v13, s29, v13
	v_mul_lo_u32 v11, v11, s30
	v_mul_lo_u32 v12, v12, s30
	v_mul_hi_u32 v14, v116, s28
	v_mul_lo_u32 v13, v13, s30
	v_sub_u32_e32 v19, v38, v11
	v_sub_u32_e32 v22, v40, v12
	v_add_u32_e32 v17, v116, v14
	v_sub_u32_e32 v24, v119, v13
	v_mad_u64_u32 v[11:12], s[12:13], s6, v19, 0
	v_mad_u64_u32 v[13:14], s[12:13], s6, v22, 0
	;; [unrolled: 1-line block ×5, first 2 shown]
	v_mov_b32_e32 v12, v19
	v_lshrrev_b32_e32 v25, s29, v17
	v_mad_u64_u32 v[16:17], s[12:13], s7, v24, v[16:17]
	v_lshlrev_b64 v[11:12], 2, v[11:12]
	v_mov_b32_e32 v14, v22
	v_mul_lo_u32 v17, v25, s30
	v_lshlrev_b64 v[13:14], 2, v[13:14]
	v_add_co_u32_e32 v19, vcc, v4, v11
	v_addc_co_u32_e32 v20, vcc, v5, v12, vcc
	v_lshlrev_b64 v[15:16], 2, v[15:16]
	v_add_co_u32_e32 v26, vcc, v4, v13
	v_addc_co_u32_e32 v27, vcc, v5, v14, vcc
	v_or_b32_e32 v112, 5, v39
	v_add_u32_e32 v115, s18, v112
	global_load_dwordx4 v[11:14], v[19:20], off
	global_load_dwordx4 v[22:25], v[26:27], off
	v_mul_hi_u32 v19, v115, s28
	v_or_b32_e32 v110, 6, v39
	v_lshlrev_b32_e32 v18, 3, v0
	v_add_u32_e32 v111, s18, v110
	v_or_b32_e32 v108, 7, v39
	v_add_u32_e32 v109, s18, v108
	v_lshlrev_b32_e32 v46, 11, v1
	v_or_b32_e32 v6, v18, v46
	v_mov_b32_e32 v61, 0
	s_cmp_eq_u64 s[22:23], 0
	s_waitcnt vmcnt(2)
	v_fma_mixlo_f16 v7, s36, v7, 0
	v_fma_mixlo_f16 v8, s36, v8, 0
	v_lshlrev_b32_e32 v8, 16, v8
	v_and_b32_e32 v7, 0xffff, v7
	v_fma_mixlo_f16 v29, s36, v10, 0
	v_or_b32_e32 v30, v8, v7
	v_add_co_u32_e32 v7, vcc, v4, v15
	v_sub_u32_e32 v10, v116, v17
	v_addc_co_u32_e32 v8, vcc, v5, v16, vcc
	v_mad_u64_u32 v[15:16], s[12:13], s6, v10, 0
	v_fma_mixlo_f16 v28, s36, v9, 0
	v_mov_b32_e32 v9, v16
	v_mad_u64_u32 v[16:17], s[12:13], s7, v10, v[9:10]
	v_add_u32_e32 v9, v115, v19
	v_lshrrev_b32_e32 v9, s29, v9
	v_mul_lo_u32 v17, v9, s30
	v_lshlrev_b64 v[15:16], 2, v[15:16]
	global_load_dwordx4 v[7:10], v[7:8], off
	v_add_co_u32_e32 v15, vcc, v4, v15
	v_sub_u32_e32 v26, v115, v17
	v_mad_u64_u32 v[19:20], s[12:13], s6, v26, 0
	v_addc_co_u32_e32 v16, vcc, v5, v16, vcc
	v_mov_b32_e32 v17, v20
	v_mad_u64_u32 v[26:27], s[12:13], s7, v26, v[17:18]
	v_mul_hi_u32 v17, v111, s28
	global_load_dwordx4 v[47:50], v[15:16], off
	v_mov_b32_e32 v20, v26
	v_lshlrev_b64 v[15:16], 2, v[19:20]
	v_add_u32_e32 v17, v111, v17
	v_lshrrev_b32_e32 v17, s29, v17
	v_mul_lo_u32 v17, v17, s30
	v_add_co_u32_e32 v15, vcc, v4, v15
	v_addc_co_u32_e32 v16, vcc, v5, v16, vcc
	v_sub_u32_e32 v17, v111, v17
	global_load_dwordx4 v[51:54], v[15:16], off
	v_mad_u64_u32 v[15:16], s[12:13], s6, v17, 0
	v_mul_hi_u32 v19, v109, s28
	v_lshlrev_b32_e32 v26, 16, v29
	v_mad_u64_u32 v[16:17], s[12:13], s7, v17, v[16:17]
	v_add_u32_e32 v17, v109, v19
	v_lshrrev_b32_e32 v17, s29, v17
	v_mul_lo_u32 v17, v17, s30
	v_lshlrev_b64 v[15:16], 2, v[15:16]
	v_add_co_u32_e32 v15, vcc, v4, v15
	v_sub_u32_e32 v17, v109, v17
	v_mad_u64_u32 v[19:20], s[12:13], s6, v17, 0
	v_addc_co_u32_e32 v16, vcc, v5, v16, vcc
	global_load_dwordx4 v[55:58], v[15:16], off
	v_mov_b32_e32 v15, v20
	v_mad_u64_u32 v[15:16], s[6:7], s7, v17, v[15:16]
	v_and_b32_e32 v16, 0xffff, v28
	v_or3_b32 v17, v26, v16, 0
	v_mov_b32_e32 v20, v15
	v_lshlrev_b64 v[19:20], 2, v[19:20]
	v_or3_b32 v16, 0, 0, v30
	v_add_co_u32_e32 v4, vcc, v4, v19
	v_addc_co_u32_e32 v5, vcc, v5, v20, vcc
	global_load_dwordx4 v[62:65], v[4:5], off
	s_waitcnt vmcnt(6)
	v_fma_mixlo_f16 v4, s36, v11, 0
	v_fma_mixlo_f16 v5, s36, v12, 0
	v_lshlrev_b32_e32 v5, 16, v5
	v_and_b32_e32 v4, 0xffff, v4
	ds_write_b64 v6, v[16:17]
	v_or_b32_e32 v4, v5, v4
	v_fma_mixlo_f16 v5, s36, v13, 0
	v_fma_mixlo_f16 v6, s36, v14, 0
	v_lshlrev_b32_e32 v6, 16, v6
	v_and_b32_e32 v5, 0xffff, v5
	v_lshl_add_u32 v11, v120, 8, v18
	v_or3_b32 v5, v6, v5, 0
	v_or3_b32 v4, 0, 0, v4
	ds_write_b64 v11, v[4:5]
	s_waitcnt vmcnt(5)
	v_fma_mixlo_f16 v4, s36, v22, 0
	v_fma_mixlo_f16 v5, s36, v23, 0
	v_lshlrev_b32_e32 v5, 16, v5
	v_and_b32_e32 v4, 0xffff, v4
	v_or_b32_e32 v4, v5, v4
	v_fma_mixlo_f16 v5, s36, v24, 0
	v_fma_mixlo_f16 v6, s36, v25, 0
	v_lshlrev_b32_e32 v6, 16, v6
	v_and_b32_e32 v5, 0xffff, v5
	v_lshl_add_u32 v11, v118, 8, v18
	v_or3_b32 v5, v6, v5, 0
	v_or3_b32 v4, 0, 0, v4
	ds_write_b64 v11, v[4:5]
	s_waitcnt vmcnt(4)
	v_fma_mixlo_f16 v4, s36, v7, 0
	v_fma_mixlo_f16 v5, s36, v8, 0
	v_lshlrev_b32_e32 v5, 16, v5
	v_and_b32_e32 v4, 0xffff, v4
	;; [unrolled: 14-line block ×6, first 2 shown]
	v_or_b32_e32 v4, v5, v4
	v_fma_mixlo_f16 v5, s36, v64, 0
	v_fma_mixlo_f16 v6, s36, v65, 0
	v_lshlrev_b32_e32 v6, 16, v6
	v_and_b32_e32 v5, 0xffff, v5
	v_lshl_add_u32 v7, v108, 8, v18
	v_or3_b32 v5, v6, v5, 0
	v_or3_b32 v4, 0, 0, v4
	ds_write_b64 v7, v[4:5]
	s_waitcnt lgkmcnt(0)
	s_barrier
	s_cbranch_scc1 .LBB86_6
; %bb.5:
	s_load_dword s6, s[4:5], 0xd0
	s_mov_b32 s7, 0
	s_waitcnt lgkmcnt(0)
	s_mul_i32 s6, s6, s33
	s_add_i32 s6, s6, s8
	s_lshl_b64 s[6:7], s[6:7], 2
	s_add_u32 s6, s22, s6
	s_addc_u32 s7, s23, s7
	s_load_dword s42, s[6:7], 0x0
.LBB86_6:
	s_nop 0
	s_load_dwordx2 s[6:7], s[4:5], 0x8c
	s_load_dwordx4 s[48:51], s[4:5], 0x98
	s_ashr_i32 s23, s45, 1
	s_load_dwordx2 s[12:13], s[4:5], 0xa8
	v_mul_lo_u32 v48, v3, s23
	s_waitcnt lgkmcnt(0)
	s_ashr_i32 s36, s6, 2
	s_ashr_i32 s6, s33, 31
	s_mul_hi_u32 s11, s48, s33
	s_mul_i32 s22, s48, s6
	s_add_i32 s11, s11, s22
	s_mul_i32 s22, s49, s33
	s_ashr_i32 s8, s50, 2
	s_add_i32 s11, s11, s22
	s_mul_i32 s22, s48, s33
	s_add_u32 s14, s14, s22
	s_addc_u32 s11, s15, s11
	s_mul_i32 s15, s44, s43
	s_sub_i32 s15, s46, s15
	s_xor_b32 s10, s35, s10
	s_add_i32 s22, s44, 1
	s_sub_i32 s37, s15, s43
	s_cmp_ge_u32 s15, s43
	s_cselect_b32 s22, s22, s44
	s_cselect_b32 s15, s37, s15
	s_add_i32 s37, s22, 1
	s_cmp_ge_u32 s15, s43
	s_cselect_b32 s15, s37, s22
	s_xor_b32 s15, s15, s10
	s_sub_i32 s10, s15, s10
	s_mul_i32 s7, s10, s7
	s_ashr_i32 s15, s7, 31
	s_add_u32 s37, s14, s7
	s_mul_hi_u32 s7, s12, s33
	s_mul_i32 s6, s12, s6
	s_addc_u32 s38, s11, s15
	s_add_i32 s6, s7, s6
	s_mul_i32 s7, s13, s33
	s_add_i32 s6, s6, s7
	s_mul_i32 s7, s12, s33
	s_add_u32 s7, s16, s7
	s_mul_i32 s10, s10, s51
	s_addc_u32 s6, s17, s6
	s_ashr_i32 s11, s10, 31
	s_add_u32 s17, s7, s10
	v_lshlrev_b32_e32 v114, 2, v0
	s_addc_u32 s22, s6, s11
	s_lshl_b32 s16, s9, 6
	s_sub_i32 s39, s42, 64
	s_cmp_ge_i32 s16, s39
	v_lshrrev_b32_e32 v22, 2, v0
	v_and_b32_e32 v20, 12, v114
	v_or_b32_e32 v9, 1, v41
	v_or_b32_e32 v8, 2, v41
	;; [unrolled: 1-line block ×7, first 2 shown]
	v_lshrrev_b32_e32 v122, 4, v0
	v_and_b32_e32 v121, 60, v114
	v_mbcnt_lo_u32_b32 v19, -1, 0
	s_cbranch_scc1 .LBB86_114
; %bb.7:
	v_add_u32_e32 v3, v22, v39
	v_mul_u32_u24_e32 v4, 0x50, v3
	v_mul_lo_u32 v3, s36, v3
	v_lshlrev_b32_e32 v5, 2, v20
	s_movk_i32 s7, 0x6000
	v_add3_u32 v10, v4, v5, s7
	v_ashrrev_i32_e32 v4, 31, v3
	v_lshlrev_b64 v[3:4], 2, v[3:4]
	v_mov_b32_e32 v6, s38
	v_add_co_u32_e32 v3, vcc, s37, v3
	v_addc_co_u32_e32 v4, vcc, v6, v4, vcc
	v_mul_hi_u32 v6, s28, v9
	v_add_co_u32_e32 v11, vcc, v3, v5
	v_addc_co_u32_e32 v12, vcc, 0, v4, vcc
	v_mul_hi_u32 v4, s28, v8
	s_movk_i32 s6, 0x50
	v_mov_b32_e32 v3, 0x6000
	v_mad_u32_u24 v13, v0, s6, v3
	v_add_u32_e32 v3, v9, v6
	v_lshrrev_b32_e32 v3, s29, v3
	v_mul_lo_u32 v3, v3, s30
	v_add_u32_e32 v4, v8, v4
	v_lshrrev_b32_e32 v4, s29, v4
	v_mul_lo_u32 v4, v4, s30
	v_sub_u32_e32 v3, v9, v3
	v_mul_lo_u32 v14, v3, s23
	v_mul_hi_u32 v3, s28, v7
	v_sub_u32_e32 v4, v8, v4
	v_mul_lo_u32 v15, v4, s23
	v_mul_hi_u32 v4, s28, v126
	v_add_u32_e32 v3, v7, v3
	v_lshrrev_b32_e32 v3, s29, v3
	v_mul_lo_u32 v3, v3, s30
	v_add_u32_e32 v4, v126, v4
	v_lshrrev_b32_e32 v4, s29, v4
	v_mul_lo_u32 v4, v4, s30
	v_sub_u32_e32 v3, v7, v3
	v_mul_lo_u32 v16, v3, s23
	v_mul_hi_u32 v3, s28, v125
	v_sub_u32_e32 v4, v126, v4
	v_mul_hi_u32 v5, s28, v124
	v_mul_lo_u32 v17, v4, s23
	v_mul_hi_u32 v4, s28, v123
	v_add_u32_e32 v3, v125, v3
	v_lshrrev_b32_e32 v3, s29, v3
	v_add_u32_e32 v5, v124, v5
	v_mul_lo_u32 v3, v3, s30
	v_lshrrev_b32_e32 v5, s29, v5
	v_add_u32_e32 v4, v123, v4
	v_mul_lo_u32 v5, v5, s30
	v_lshrrev_b32_e32 v4, s29, v4
	v_mul_lo_u32 v4, v4, s30
	v_sub_u32_e32 v3, v125, v3
	v_mul_lo_u32 v75, v3, s23
	v_sub_u32_e32 v3, v124, v5
	;; [unrolled: 2-line block ×3, first 2 shown]
	v_mul_lo_u32 v77, v3, s23
	v_mov_b32_e32 v3, 0x4000
	v_lshl_add_u32 v4, v1, 1, v122
	v_lshl_add_u32 v78, v1, 10, v3
	v_mul_lo_u32 v3, s8, v4
	v_lshlrev_b32_e32 v5, 2, v121
	v_lshl_or_b32 v4, v4, 8, v5
	v_add_u32_e32 v79, 0x6000, v4
	v_ashrrev_i32_e32 v4, 31, v3
	v_lshlrev_b64 v[3:4], 2, v[3:4]
	v_mov_b32_e32 v6, s22
	v_add_co_u32_e32 v3, vcc, s17, v3
	s_cmp_lg_u64 s[40:41], 0
	v_addc_co_u32_e32 v4, vcc, v6, v4, vcc
	s_cselect_b64 s[10:11], -1, 0
	v_add_co_u32_e32 v80, vcc, v3, v5
	s_add_u32 s12, s4, 0xd0
	v_mov_b32_e32 v73, v111
	v_mov_b32_e32 v47, v109
	;; [unrolled: 1-line block ×4, first 2 shown]
	v_addc_co_u32_e32 v81, vcc, 0, v4, vcc
	v_or_b32_e32 v82, 0x6000, v18
	s_addc_u32 s13, s5, 0
	v_mov_b32_e32 v104, 0xfeffffff
	v_mov_b32_e32 v49, 0
	s_mov_b32 s43, 0x3f200000
	s_mov_b32 s44, 0x3fb8aa3b
	;; [unrolled: 1-line block ×4, first 2 shown]
	v_mov_b32_e32 v83, 0xbd5c1c4e
	v_mov_b32_e32 v84, 0x3e088382
	;; [unrolled: 1-line block ×3, first 2 shown]
	s_brev_b32 s47, -2
	s_mov_b32 s48, 0x10001
	v_add_u32_e32 v86, v78, v2
	v_mov_b32_e32 v87, 0x7f800000
	v_mbcnt_hi_u32_b32 v88, -1, v19
	v_mov_b32_e32 v50, 0
	v_mov_b32_e32 v52, 0
	;; [unrolled: 1-line block ×29, first 2 shown]
	buffer_store_dword v119, off, s[0:3], 0 offset:20 ; 4-byte Folded Spill
	buffer_store_dword v116, off, s[0:3], 0 offset:16 ; 4-byte Folded Spill
	;; [unrolled: 1-line block ×4, first 2 shown]
.LBB86_8:                               ; =>This Inner Loop Header: Depth=1
	s_mul_hi_i32 s7, s16, s36
	s_mul_i32 s6, s16, s36
	s_lshl_b64 s[6:7], s[6:7], 2
	v_mov_b32_e32 v2, s7
	v_add_co_u32_e32 v6, vcc, s6, v11
	v_addc_co_u32_e32 v7, vcc, v12, v2, vcc
	global_load_dwordx4 v[2:5], v[6:7], off
	v_mov_b32_e32 v109, 0
	v_mov_b32_e32 v107, 0
	;; [unrolled: 1-line block ×16, first 2 shown]
	s_waitcnt vmcnt(0)
	ds_write_b128 v10, v[2:5]
	s_waitcnt lgkmcnt(0)
	s_barrier
	ds_read_b128 v[2:5], v13
	ds_read_b128 v[111:114], v13 offset:2560
	ds_read_b128 v[115:118], v46
	ds_read_b128 v[119:122], v46 offset:256
	ds_read_b128 v[123:126], v46 offset:512
	;; [unrolled: 1-line block ×7, first 2 shown]
	s_waitcnt lgkmcnt(7)
	;;#ASMSTART
	v_dot2_f32_f16 v109, v2, v115, v109
	;;#ASMEND
	;;#ASMSTART
	v_dot2_f32_f16 v109, v3, v116, v109
	;;#ASMEND
	;;#ASMSTART
	v_dot2_f32_f16 v109, v4, v117, v109
	;;#ASMEND
	;;#ASMSTART
	v_dot2_f32_f16 v109, v5, v118, v109
	;;#ASMEND
	s_waitcnt lgkmcnt(6)
	;;#ASMSTART
	v_dot2_f32_f16 v107, v2, v119, v107
	;;#ASMEND
	;;#ASMSTART
	v_dot2_f32_f16 v107, v3, v120, v107
	;;#ASMEND
	;;#ASMSTART
	v_dot2_f32_f16 v107, v4, v121, v107
	;;#ASMEND
	;;#ASMSTART
	v_dot2_f32_f16 v107, v5, v122, v107
	;;#ASMEND
	;; [unrolled: 13-line block ×8, first 2 shown]
	;;#ASMSTART
	v_dot2_f32_f16 v110, v111, v115, v110
	;;#ASMEND
	;;#ASMSTART
	v_dot2_f32_f16 v110, v112, v116, v110
	;;#ASMEND
	;; [unrolled: 3-line block ×32, first 2 shown]
	ds_read_b128 v[22:25], v13 offset:16
	ds_read_b128 v[2:5], v13 offset:2576
	;; [unrolled: 1-line block ×10, first 2 shown]
	s_waitcnt lgkmcnt(7)
	;;#ASMSTART
	v_dot2_f32_f16 v109, v22, v26, v109
	;;#ASMEND
	;;#ASMSTART
	v_dot2_f32_f16 v109, v23, v27, v109
	;;#ASMEND
	;;#ASMSTART
	v_dot2_f32_f16 v109, v24, v28, v109
	;;#ASMEND
	;;#ASMSTART
	v_dot2_f32_f16 v109, v25, v29, v109
	;;#ASMEND
	s_waitcnt lgkmcnt(6)
	;;#ASMSTART
	v_dot2_f32_f16 v107, v22, v30, v107
	;;#ASMEND
	;;#ASMSTART
	v_dot2_f32_f16 v107, v23, v31, v107
	;;#ASMEND
	;;#ASMSTART
	v_dot2_f32_f16 v107, v24, v32, v107
	;;#ASMEND
	;;#ASMSTART
	v_dot2_f32_f16 v107, v25, v33, v107
	;;#ASMEND
	;; [unrolled: 13-line block ×8, first 2 shown]
	;;#ASMSTART
	v_dot2_f32_f16 v110, v2, v26, v110
	;;#ASMEND
	;;#ASMSTART
	v_dot2_f32_f16 v110, v3, v27, v110
	;;#ASMEND
	;; [unrolled: 3-line block ×32, first 2 shown]
	ds_read_b128 v[22:25], v13 offset:32
	ds_read_b128 v[2:5], v13 offset:2592
	;; [unrolled: 1-line block ×10, first 2 shown]
	s_waitcnt lgkmcnt(7)
	;;#ASMSTART
	v_dot2_f32_f16 v109, v22, v26, v109
	;;#ASMEND
	;;#ASMSTART
	v_dot2_f32_f16 v109, v23, v27, v109
	;;#ASMEND
	;;#ASMSTART
	v_dot2_f32_f16 v109, v24, v28, v109
	;;#ASMEND
	;;#ASMSTART
	v_dot2_f32_f16 v109, v25, v29, v109
	;;#ASMEND
	s_waitcnt lgkmcnt(6)
	;;#ASMSTART
	v_dot2_f32_f16 v107, v22, v30, v107
	;;#ASMEND
	;;#ASMSTART
	v_dot2_f32_f16 v107, v23, v31, v107
	;;#ASMEND
	;;#ASMSTART
	v_dot2_f32_f16 v107, v24, v32, v107
	;;#ASMEND
	;;#ASMSTART
	v_dot2_f32_f16 v107, v25, v33, v107
	;;#ASMEND
	;; [unrolled: 13-line block ×8, first 2 shown]
	;;#ASMSTART
	v_dot2_f32_f16 v110, v2, v26, v110
	;;#ASMEND
	;;#ASMSTART
	v_dot2_f32_f16 v110, v3, v27, v110
	;;#ASMEND
	;; [unrolled: 3-line block ×32, first 2 shown]
	ds_read_b128 v[22:25], v13 offset:48
	ds_read_b128 v[2:5], v13 offset:2608
	ds_read_b128 v[26:29], v46 offset:48
	ds_read_b128 v[30:33], v46 offset:304
	ds_read_b128 v[34:37], v46 offset:560
	ds_read_b128 v[42:45], v46 offset:816
	ds_read_b128 v[111:114], v46 offset:1072
	ds_read_b128 v[115:118], v46 offset:1328
	ds_read_b128 v[119:122], v46 offset:1584
	ds_read_b128 v[123:126], v46 offset:1840
	s_waitcnt lgkmcnt(7)
	;;#ASMSTART
	v_dot2_f32_f16 v109, v22, v26, v109
	;;#ASMEND
	;;#ASMSTART
	v_dot2_f32_f16 v109, v23, v27, v109
	;;#ASMEND
	;;#ASMSTART
	v_dot2_f32_f16 v109, v24, v28, v109
	;;#ASMEND
	;;#ASMSTART
	v_dot2_f32_f16 v109, v25, v29, v109
	;;#ASMEND
	s_waitcnt lgkmcnt(6)
	;;#ASMSTART
	v_dot2_f32_f16 v107, v22, v30, v107
	;;#ASMEND
	;;#ASMSTART
	v_dot2_f32_f16 v107, v23, v31, v107
	;;#ASMEND
	;;#ASMSTART
	v_dot2_f32_f16 v107, v24, v32, v107
	;;#ASMEND
	;;#ASMSTART
	v_dot2_f32_f16 v107, v25, v33, v107
	;;#ASMEND
	s_waitcnt lgkmcnt(5)
	;;#ASMSTART
	v_dot2_f32_f16 v105, v22, v34, v105
	;;#ASMEND
	;;#ASMSTART
	v_dot2_f32_f16 v105, v23, v35, v105
	;;#ASMEND
	;;#ASMSTART
	v_dot2_f32_f16 v105, v24, v36, v105
	;;#ASMEND
	;;#ASMSTART
	v_dot2_f32_f16 v105, v25, v37, v105
	;;#ASMEND
	s_waitcnt lgkmcnt(4)
	;;#ASMSTART
	v_dot2_f32_f16 v69, v22, v42, v69
	;;#ASMEND
	;;#ASMSTART
	v_dot2_f32_f16 v69, v23, v43, v69
	;;#ASMEND
	;;#ASMSTART
	v_dot2_f32_f16 v69, v24, v44, v69
	;;#ASMEND
	;;#ASMSTART
	v_dot2_f32_f16 v69, v25, v45, v69
	;;#ASMEND
	s_waitcnt lgkmcnt(3)
	;;#ASMSTART
	v_dot2_f32_f16 v67, v22, v111, v67
	;;#ASMEND
	;;#ASMSTART
	v_dot2_f32_f16 v67, v23, v112, v67
	;;#ASMEND
	;;#ASMSTART
	v_dot2_f32_f16 v67, v24, v113, v67
	;;#ASMEND
	;;#ASMSTART
	v_dot2_f32_f16 v67, v25, v114, v67
	;;#ASMEND
	s_waitcnt lgkmcnt(2)
	;;#ASMSTART
	v_dot2_f32_f16 v65, v22, v115, v65
	;;#ASMEND
	;;#ASMSTART
	v_dot2_f32_f16 v65, v23, v116, v65
	;;#ASMEND
	;;#ASMSTART
	v_dot2_f32_f16 v65, v24, v117, v65
	;;#ASMEND
	;;#ASMSTART
	v_dot2_f32_f16 v65, v25, v118, v65
	;;#ASMEND
	s_waitcnt lgkmcnt(1)
	;;#ASMSTART
	v_dot2_f32_f16 v61, v22, v119, v61
	;;#ASMEND
	;;#ASMSTART
	v_dot2_f32_f16 v61, v23, v120, v61
	;;#ASMEND
	;;#ASMSTART
	v_dot2_f32_f16 v61, v24, v121, v61
	;;#ASMEND
	;;#ASMSTART
	v_dot2_f32_f16 v61, v25, v122, v61
	;;#ASMEND
	s_waitcnt lgkmcnt(0)
	;;#ASMSTART
	v_dot2_f32_f16 v8, v22, v123, v8
	;;#ASMEND
	;;#ASMSTART
	v_dot2_f32_f16 v8, v23, v124, v8
	;;#ASMEND
	;;#ASMSTART
	v_dot2_f32_f16 v8, v24, v125, v8
	;;#ASMEND
	;;#ASMSTART
	v_dot2_f32_f16 v8, v25, v126, v8
	;;#ASMEND
	;;#ASMSTART
	v_dot2_f32_f16 v110, v2, v26, v110
	;;#ASMEND
	;;#ASMSTART
	v_dot2_f32_f16 v110, v3, v27, v110
	;;#ASMEND
	;; [unrolled: 3-line block ×32, first 2 shown]
	s_barrier
	global_load_dwordx4 v[2:5], v[6:7], off offset:64
	s_waitcnt vmcnt(0)
	ds_write_b128 v10, v[2:5]
	s_waitcnt lgkmcnt(0)
	s_barrier
	ds_read_b128 v[22:25], v13
	ds_read_b128 v[2:5], v13 offset:2560
	ds_read_b128 v[26:29], v46 offset:64
	;; [unrolled: 1-line block ×9, first 2 shown]
	s_waitcnt lgkmcnt(7)
	;;#ASMSTART
	v_dot2_f32_f16 v109, v22, v26, v109
	;;#ASMEND
	;;#ASMSTART
	v_dot2_f32_f16 v109, v23, v27, v109
	;;#ASMEND
	;;#ASMSTART
	v_dot2_f32_f16 v109, v24, v28, v109
	;;#ASMEND
	;;#ASMSTART
	v_dot2_f32_f16 v109, v25, v29, v109
	;;#ASMEND
	s_waitcnt lgkmcnt(6)
	;;#ASMSTART
	v_dot2_f32_f16 v107, v22, v30, v107
	;;#ASMEND
	;;#ASMSTART
	v_dot2_f32_f16 v107, v23, v31, v107
	;;#ASMEND
	;;#ASMSTART
	v_dot2_f32_f16 v107, v24, v32, v107
	;;#ASMEND
	;;#ASMSTART
	v_dot2_f32_f16 v107, v25, v33, v107
	;;#ASMEND
	s_waitcnt lgkmcnt(5)
	;;#ASMSTART
	v_dot2_f32_f16 v105, v22, v34, v105
	;;#ASMEND
	;;#ASMSTART
	v_dot2_f32_f16 v105, v23, v35, v105
	;;#ASMEND
	;;#ASMSTART
	v_dot2_f32_f16 v105, v24, v36, v105
	;;#ASMEND
	;;#ASMSTART
	v_dot2_f32_f16 v105, v25, v37, v105
	;;#ASMEND
	s_waitcnt lgkmcnt(4)
	;;#ASMSTART
	v_dot2_f32_f16 v69, v22, v42, v69
	;;#ASMEND
	;;#ASMSTART
	v_dot2_f32_f16 v69, v23, v43, v69
	;;#ASMEND
	;;#ASMSTART
	v_dot2_f32_f16 v69, v24, v44, v69
	;;#ASMEND
	;;#ASMSTART
	v_dot2_f32_f16 v69, v25, v45, v69
	;;#ASMEND
	s_waitcnt lgkmcnt(3)
	;;#ASMSTART
	v_dot2_f32_f16 v67, v22, v111, v67
	;;#ASMEND
	;;#ASMSTART
	v_dot2_f32_f16 v67, v23, v112, v67
	;;#ASMEND
	;;#ASMSTART
	v_dot2_f32_f16 v67, v24, v113, v67
	;;#ASMEND
	;;#ASMSTART
	v_dot2_f32_f16 v67, v25, v114, v67
	;;#ASMEND
	s_waitcnt lgkmcnt(2)
	;;#ASMSTART
	v_dot2_f32_f16 v65, v22, v115, v65
	;;#ASMEND
	;;#ASMSTART
	v_dot2_f32_f16 v65, v23, v116, v65
	;;#ASMEND
	;;#ASMSTART
	v_dot2_f32_f16 v65, v24, v117, v65
	;;#ASMEND
	;;#ASMSTART
	v_dot2_f32_f16 v65, v25, v118, v65
	;;#ASMEND
	s_waitcnt lgkmcnt(1)
	;;#ASMSTART
	v_dot2_f32_f16 v61, v22, v119, v61
	;;#ASMEND
	;;#ASMSTART
	v_dot2_f32_f16 v61, v23, v120, v61
	;;#ASMEND
	;;#ASMSTART
	v_dot2_f32_f16 v61, v24, v121, v61
	;;#ASMEND
	;;#ASMSTART
	v_dot2_f32_f16 v61, v25, v122, v61
	;;#ASMEND
	s_waitcnt lgkmcnt(0)
	;;#ASMSTART
	v_dot2_f32_f16 v8, v22, v123, v8
	;;#ASMEND
	;;#ASMSTART
	v_dot2_f32_f16 v8, v23, v124, v8
	;;#ASMEND
	;;#ASMSTART
	v_dot2_f32_f16 v8, v24, v125, v8
	;;#ASMEND
	;;#ASMSTART
	v_dot2_f32_f16 v8, v25, v126, v8
	;;#ASMEND
	;;#ASMSTART
	v_dot2_f32_f16 v110, v2, v26, v110
	;;#ASMEND
	;;#ASMSTART
	v_dot2_f32_f16 v110, v3, v27, v110
	;;#ASMEND
	;; [unrolled: 3-line block ×32, first 2 shown]
	ds_read_b128 v[22:25], v13 offset:16
	ds_read_b128 v[2:5], v13 offset:2576
	;; [unrolled: 1-line block ×10, first 2 shown]
	s_waitcnt lgkmcnt(7)
	;;#ASMSTART
	v_dot2_f32_f16 v109, v22, v26, v109
	;;#ASMEND
	;;#ASMSTART
	v_dot2_f32_f16 v109, v23, v27, v109
	;;#ASMEND
	;;#ASMSTART
	v_dot2_f32_f16 v109, v24, v28, v109
	;;#ASMEND
	;;#ASMSTART
	v_dot2_f32_f16 v109, v25, v29, v109
	;;#ASMEND
	s_waitcnt lgkmcnt(6)
	;;#ASMSTART
	v_dot2_f32_f16 v107, v22, v30, v107
	;;#ASMEND
	;;#ASMSTART
	v_dot2_f32_f16 v107, v23, v31, v107
	;;#ASMEND
	;;#ASMSTART
	v_dot2_f32_f16 v107, v24, v32, v107
	;;#ASMEND
	;;#ASMSTART
	v_dot2_f32_f16 v107, v25, v33, v107
	;;#ASMEND
	;; [unrolled: 13-line block ×8, first 2 shown]
	;;#ASMSTART
	v_dot2_f32_f16 v110, v2, v26, v110
	;;#ASMEND
	;;#ASMSTART
	v_dot2_f32_f16 v110, v3, v27, v110
	;;#ASMEND
	;;#ASMSTART
	v_dot2_f32_f16 v110, v4, v28, v110
	;;#ASMEND
	;;#ASMSTART
	v_dot2_f32_f16 v110, v5, v29, v110
	;;#ASMEND
	;;#ASMSTART
	v_dot2_f32_f16 v108, v2, v30, v108
	;;#ASMEND
	;;#ASMSTART
	v_dot2_f32_f16 v108, v3, v31, v108
	;;#ASMEND
	;;#ASMSTART
	v_dot2_f32_f16 v108, v4, v32, v108
	;;#ASMEND
	;;#ASMSTART
	v_dot2_f32_f16 v108, v5, v33, v108
	;;#ASMEND
	;;#ASMSTART
	v_dot2_f32_f16 v106, v2, v34, v106
	;;#ASMEND
	;;#ASMSTART
	v_dot2_f32_f16 v106, v3, v35, v106
	;;#ASMEND
	;;#ASMSTART
	v_dot2_f32_f16 v106, v4, v36, v106
	;;#ASMEND
	;;#ASMSTART
	v_dot2_f32_f16 v106, v5, v37, v106
	;;#ASMEND
	;;#ASMSTART
	v_dot2_f32_f16 v70, v2, v42, v70
	;;#ASMEND
	;;#ASMSTART
	v_dot2_f32_f16 v70, v3, v43, v70
	;;#ASMEND
	;;#ASMSTART
	v_dot2_f32_f16 v70, v4, v44, v70
	;;#ASMEND
	;;#ASMSTART
	v_dot2_f32_f16 v70, v5, v45, v70
	;;#ASMEND
	;;#ASMSTART
	v_dot2_f32_f16 v68, v2, v111, v68
	;;#ASMEND
	;;#ASMSTART
	v_dot2_f32_f16 v68, v3, v112, v68
	;;#ASMEND
	;;#ASMSTART
	v_dot2_f32_f16 v68, v4, v113, v68
	;;#ASMEND
	;;#ASMSTART
	v_dot2_f32_f16 v68, v5, v114, v68
	;;#ASMEND
	;;#ASMSTART
	v_dot2_f32_f16 v66, v2, v115, v66
	;;#ASMEND
	;;#ASMSTART
	v_dot2_f32_f16 v66, v3, v116, v66
	;;#ASMEND
	;;#ASMSTART
	v_dot2_f32_f16 v66, v4, v117, v66
	;;#ASMEND
	;;#ASMSTART
	v_dot2_f32_f16 v66, v5, v118, v66
	;;#ASMEND
	;;#ASMSTART
	v_dot2_f32_f16 v64, v2, v119, v64
	;;#ASMEND
	;;#ASMSTART
	v_dot2_f32_f16 v64, v3, v120, v64
	;;#ASMEND
	;;#ASMSTART
	v_dot2_f32_f16 v64, v4, v121, v64
	;;#ASMEND
	;;#ASMSTART
	v_dot2_f32_f16 v64, v5, v122, v64
	;;#ASMEND
	;;#ASMSTART
	v_dot2_f32_f16 v9, v2, v123, v9
	;;#ASMEND
	;;#ASMSTART
	v_dot2_f32_f16 v9, v3, v124, v9
	;;#ASMEND
	;;#ASMSTART
	v_dot2_f32_f16 v9, v4, v125, v9
	;;#ASMEND
	;;#ASMSTART
	v_dot2_f32_f16 v9, v5, v126, v9
	;;#ASMEND
	ds_read_b128 v[22:25], v13 offset:32
	ds_read_b128 v[2:5], v13 offset:2592
	;; [unrolled: 1-line block ×10, first 2 shown]
	s_waitcnt lgkmcnt(7)
	;;#ASMSTART
	v_dot2_f32_f16 v109, v22, v26, v109
	;;#ASMEND
	;;#ASMSTART
	v_dot2_f32_f16 v109, v23, v27, v109
	;;#ASMEND
	;;#ASMSTART
	v_dot2_f32_f16 v109, v24, v28, v109
	;;#ASMEND
	;;#ASMSTART
	v_dot2_f32_f16 v109, v25, v29, v109
	;;#ASMEND
	s_waitcnt lgkmcnt(6)
	;;#ASMSTART
	v_dot2_f32_f16 v107, v22, v30, v107
	;;#ASMEND
	;;#ASMSTART
	v_dot2_f32_f16 v107, v23, v31, v107
	;;#ASMEND
	;;#ASMSTART
	v_dot2_f32_f16 v107, v24, v32, v107
	;;#ASMEND
	;;#ASMSTART
	v_dot2_f32_f16 v107, v25, v33, v107
	;;#ASMEND
	s_waitcnt lgkmcnt(5)
	;;#ASMSTART
	v_dot2_f32_f16 v105, v22, v34, v105
	;;#ASMEND
	;;#ASMSTART
	v_dot2_f32_f16 v105, v23, v35, v105
	;;#ASMEND
	;;#ASMSTART
	v_dot2_f32_f16 v105, v24, v36, v105
	;;#ASMEND
	;;#ASMSTART
	v_dot2_f32_f16 v105, v25, v37, v105
	;;#ASMEND
	s_waitcnt lgkmcnt(4)
	;;#ASMSTART
	v_dot2_f32_f16 v69, v22, v42, v69
	;;#ASMEND
	;;#ASMSTART
	v_dot2_f32_f16 v69, v23, v43, v69
	;;#ASMEND
	;;#ASMSTART
	v_dot2_f32_f16 v69, v24, v44, v69
	;;#ASMEND
	;;#ASMSTART
	v_dot2_f32_f16 v69, v25, v45, v69
	;;#ASMEND
	s_waitcnt lgkmcnt(3)
	;;#ASMSTART
	v_dot2_f32_f16 v67, v22, v111, v67
	;;#ASMEND
	;;#ASMSTART
	v_dot2_f32_f16 v67, v23, v112, v67
	;;#ASMEND
	;;#ASMSTART
	v_dot2_f32_f16 v67, v24, v113, v67
	;;#ASMEND
	;;#ASMSTART
	v_dot2_f32_f16 v67, v25, v114, v67
	;;#ASMEND
	s_waitcnt lgkmcnt(2)
	;;#ASMSTART
	v_dot2_f32_f16 v65, v22, v115, v65
	;;#ASMEND
	;;#ASMSTART
	v_dot2_f32_f16 v65, v23, v116, v65
	;;#ASMEND
	;;#ASMSTART
	v_dot2_f32_f16 v65, v24, v117, v65
	;;#ASMEND
	;;#ASMSTART
	v_dot2_f32_f16 v65, v25, v118, v65
	;;#ASMEND
	s_waitcnt lgkmcnt(1)
	;;#ASMSTART
	v_dot2_f32_f16 v61, v22, v119, v61
	;;#ASMEND
	;;#ASMSTART
	v_dot2_f32_f16 v61, v23, v120, v61
	;;#ASMEND
	;;#ASMSTART
	v_dot2_f32_f16 v61, v24, v121, v61
	;;#ASMEND
	;;#ASMSTART
	v_dot2_f32_f16 v61, v25, v122, v61
	;;#ASMEND
	s_waitcnt lgkmcnt(0)
	;;#ASMSTART
	v_dot2_f32_f16 v8, v22, v123, v8
	;;#ASMEND
	;;#ASMSTART
	v_dot2_f32_f16 v8, v23, v124, v8
	;;#ASMEND
	;;#ASMSTART
	v_dot2_f32_f16 v8, v24, v125, v8
	;;#ASMEND
	;;#ASMSTART
	v_dot2_f32_f16 v8, v25, v126, v8
	;;#ASMEND
	;;#ASMSTART
	v_dot2_f32_f16 v110, v2, v26, v110
	;;#ASMEND
	;;#ASMSTART
	v_dot2_f32_f16 v110, v3, v27, v110
	;;#ASMEND
	;; [unrolled: 3-line block ×32, first 2 shown]
	ds_read_b128 v[22:25], v13 offset:48
	ds_read_b128 v[2:5], v13 offset:2608
	;; [unrolled: 1-line block ×10, first 2 shown]
	s_waitcnt lgkmcnt(7)
	;;#ASMSTART
	v_dot2_f32_f16 v109, v22, v26, v109
	;;#ASMEND
	;;#ASMSTART
	v_dot2_f32_f16 v109, v23, v27, v109
	;;#ASMEND
	;;#ASMSTART
	v_dot2_f32_f16 v109, v24, v28, v109
	;;#ASMEND
	;;#ASMSTART
	v_dot2_f32_f16 v109, v25, v29, v109
	;;#ASMEND
	s_waitcnt lgkmcnt(6)
	;;#ASMSTART
	v_dot2_f32_f16 v107, v22, v30, v107
	;;#ASMEND
	;;#ASMSTART
	v_dot2_f32_f16 v107, v23, v31, v107
	;;#ASMEND
	;;#ASMSTART
	v_dot2_f32_f16 v107, v24, v32, v107
	;;#ASMEND
	;;#ASMSTART
	v_dot2_f32_f16 v107, v25, v33, v107
	;;#ASMEND
	;; [unrolled: 13-line block ×8, first 2 shown]
	;;#ASMSTART
	v_dot2_f32_f16 v110, v2, v26, v110
	;;#ASMEND
	;;#ASMSTART
	v_dot2_f32_f16 v110, v3, v27, v110
	;;#ASMEND
	;; [unrolled: 3-line block ×32, first 2 shown]
	s_barrier
	global_load_dwordx4 v[2:5], v[6:7], off offset:128
	s_waitcnt vmcnt(0)
	ds_write_b128 v10, v[2:5]
	s_waitcnt lgkmcnt(0)
	s_barrier
	ds_read_b128 v[22:25], v13
	ds_read_b128 v[2:5], v13 offset:2560
	ds_read_b128 v[26:29], v46 offset:128
	ds_read_b128 v[30:33], v46 offset:384
	ds_read_b128 v[34:37], v46 offset:640
	ds_read_b128 v[42:45], v46 offset:896
	ds_read_b128 v[111:114], v46 offset:1152
	ds_read_b128 v[115:118], v46 offset:1408
	ds_read_b128 v[119:122], v46 offset:1664
	ds_read_b128 v[123:126], v46 offset:1920
	s_waitcnt lgkmcnt(7)
	;;#ASMSTART
	v_dot2_f32_f16 v109, v22, v26, v109
	;;#ASMEND
	;;#ASMSTART
	v_dot2_f32_f16 v109, v23, v27, v109
	;;#ASMEND
	;;#ASMSTART
	v_dot2_f32_f16 v109, v24, v28, v109
	;;#ASMEND
	;;#ASMSTART
	v_dot2_f32_f16 v109, v25, v29, v109
	;;#ASMEND
	s_waitcnt lgkmcnt(6)
	;;#ASMSTART
	v_dot2_f32_f16 v107, v22, v30, v107
	;;#ASMEND
	;;#ASMSTART
	v_dot2_f32_f16 v107, v23, v31, v107
	;;#ASMEND
	;;#ASMSTART
	v_dot2_f32_f16 v107, v24, v32, v107
	;;#ASMEND
	;;#ASMSTART
	v_dot2_f32_f16 v107, v25, v33, v107
	;;#ASMEND
	;; [unrolled: 13-line block ×8, first 2 shown]
	;;#ASMSTART
	v_dot2_f32_f16 v110, v2, v26, v110
	;;#ASMEND
	;;#ASMSTART
	v_dot2_f32_f16 v110, v3, v27, v110
	;;#ASMEND
	;; [unrolled: 3-line block ×32, first 2 shown]
	ds_read_b128 v[22:25], v13 offset:16
	ds_read_b128 v[2:5], v13 offset:2576
	;; [unrolled: 1-line block ×10, first 2 shown]
	s_waitcnt lgkmcnt(7)
	;;#ASMSTART
	v_dot2_f32_f16 v109, v22, v26, v109
	;;#ASMEND
	;;#ASMSTART
	v_dot2_f32_f16 v109, v23, v27, v109
	;;#ASMEND
	;;#ASMSTART
	v_dot2_f32_f16 v109, v24, v28, v109
	;;#ASMEND
	;;#ASMSTART
	v_dot2_f32_f16 v109, v25, v29, v109
	;;#ASMEND
	s_waitcnt lgkmcnt(6)
	;;#ASMSTART
	v_dot2_f32_f16 v107, v22, v30, v107
	;;#ASMEND
	;;#ASMSTART
	v_dot2_f32_f16 v107, v23, v31, v107
	;;#ASMEND
	;;#ASMSTART
	v_dot2_f32_f16 v107, v24, v32, v107
	;;#ASMEND
	;;#ASMSTART
	v_dot2_f32_f16 v107, v25, v33, v107
	;;#ASMEND
	;; [unrolled: 13-line block ×8, first 2 shown]
	;;#ASMSTART
	v_dot2_f32_f16 v110, v2, v26, v110
	;;#ASMEND
	;;#ASMSTART
	v_dot2_f32_f16 v110, v3, v27, v110
	;;#ASMEND
	;; [unrolled: 3-line block ×32, first 2 shown]
	ds_read_b128 v[22:25], v13 offset:32
	ds_read_b128 v[2:5], v13 offset:2592
	;; [unrolled: 1-line block ×10, first 2 shown]
	s_waitcnt lgkmcnt(7)
	;;#ASMSTART
	v_dot2_f32_f16 v109, v22, v26, v109
	;;#ASMEND
	;;#ASMSTART
	v_dot2_f32_f16 v109, v23, v27, v109
	;;#ASMEND
	;;#ASMSTART
	v_dot2_f32_f16 v109, v24, v28, v109
	;;#ASMEND
	;;#ASMSTART
	v_dot2_f32_f16 v109, v25, v29, v109
	;;#ASMEND
	s_waitcnt lgkmcnt(6)
	;;#ASMSTART
	v_dot2_f32_f16 v107, v22, v30, v107
	;;#ASMEND
	;;#ASMSTART
	v_dot2_f32_f16 v107, v23, v31, v107
	;;#ASMEND
	;;#ASMSTART
	v_dot2_f32_f16 v107, v24, v32, v107
	;;#ASMEND
	;;#ASMSTART
	v_dot2_f32_f16 v107, v25, v33, v107
	;;#ASMEND
	;; [unrolled: 13-line block ×8, first 2 shown]
	;;#ASMSTART
	v_dot2_f32_f16 v110, v2, v26, v110
	;;#ASMEND
	;;#ASMSTART
	v_dot2_f32_f16 v110, v3, v27, v110
	;;#ASMEND
	;;#ASMSTART
	v_dot2_f32_f16 v110, v4, v28, v110
	;;#ASMEND
	;;#ASMSTART
	v_dot2_f32_f16 v110, v5, v29, v110
	;;#ASMEND
	;;#ASMSTART
	v_dot2_f32_f16 v108, v2, v30, v108
	;;#ASMEND
	;;#ASMSTART
	v_dot2_f32_f16 v108, v3, v31, v108
	;;#ASMEND
	;;#ASMSTART
	v_dot2_f32_f16 v108, v4, v32, v108
	;;#ASMEND
	;;#ASMSTART
	v_dot2_f32_f16 v108, v5, v33, v108
	;;#ASMEND
	;;#ASMSTART
	v_dot2_f32_f16 v106, v2, v34, v106
	;;#ASMEND
	;;#ASMSTART
	v_dot2_f32_f16 v106, v3, v35, v106
	;;#ASMEND
	;;#ASMSTART
	v_dot2_f32_f16 v106, v4, v36, v106
	;;#ASMEND
	;;#ASMSTART
	v_dot2_f32_f16 v106, v5, v37, v106
	;;#ASMEND
	;;#ASMSTART
	v_dot2_f32_f16 v70, v2, v42, v70
	;;#ASMEND
	;;#ASMSTART
	v_dot2_f32_f16 v70, v3, v43, v70
	;;#ASMEND
	;;#ASMSTART
	v_dot2_f32_f16 v70, v4, v44, v70
	;;#ASMEND
	;;#ASMSTART
	v_dot2_f32_f16 v70, v5, v45, v70
	;;#ASMEND
	;;#ASMSTART
	v_dot2_f32_f16 v68, v2, v111, v68
	;;#ASMEND
	;;#ASMSTART
	v_dot2_f32_f16 v68, v3, v112, v68
	;;#ASMEND
	;;#ASMSTART
	v_dot2_f32_f16 v68, v4, v113, v68
	;;#ASMEND
	;;#ASMSTART
	v_dot2_f32_f16 v68, v5, v114, v68
	;;#ASMEND
	;;#ASMSTART
	v_dot2_f32_f16 v66, v2, v115, v66
	;;#ASMEND
	;;#ASMSTART
	v_dot2_f32_f16 v66, v3, v116, v66
	;;#ASMEND
	;;#ASMSTART
	v_dot2_f32_f16 v66, v4, v117, v66
	;;#ASMEND
	;;#ASMSTART
	v_dot2_f32_f16 v66, v5, v118, v66
	;;#ASMEND
	;;#ASMSTART
	v_dot2_f32_f16 v64, v2, v119, v64
	;;#ASMEND
	;;#ASMSTART
	v_dot2_f32_f16 v64, v3, v120, v64
	;;#ASMEND
	;;#ASMSTART
	v_dot2_f32_f16 v64, v4, v121, v64
	;;#ASMEND
	;;#ASMSTART
	v_dot2_f32_f16 v64, v5, v122, v64
	;;#ASMEND
	;;#ASMSTART
	v_dot2_f32_f16 v9, v2, v123, v9
	;;#ASMEND
	;;#ASMSTART
	v_dot2_f32_f16 v9, v3, v124, v9
	;;#ASMEND
	;;#ASMSTART
	v_dot2_f32_f16 v9, v4, v125, v9
	;;#ASMEND
	;;#ASMSTART
	v_dot2_f32_f16 v9, v5, v126, v9
	;;#ASMEND
	ds_read_b128 v[22:25], v13 offset:48
	ds_read_b128 v[2:5], v13 offset:2608
	;; [unrolled: 1-line block ×10, first 2 shown]
	s_waitcnt lgkmcnt(7)
	;;#ASMSTART
	v_dot2_f32_f16 v109, v22, v26, v109
	;;#ASMEND
	;;#ASMSTART
	v_dot2_f32_f16 v109, v23, v27, v109
	;;#ASMEND
	;;#ASMSTART
	v_dot2_f32_f16 v109, v24, v28, v109
	;;#ASMEND
	;;#ASMSTART
	v_dot2_f32_f16 v109, v25, v29, v109
	;;#ASMEND
	s_waitcnt lgkmcnt(6)
	;;#ASMSTART
	v_dot2_f32_f16 v107, v22, v30, v107
	;;#ASMEND
	;;#ASMSTART
	v_dot2_f32_f16 v107, v23, v31, v107
	;;#ASMEND
	;;#ASMSTART
	v_dot2_f32_f16 v107, v24, v32, v107
	;;#ASMEND
	;;#ASMSTART
	v_dot2_f32_f16 v107, v25, v33, v107
	;;#ASMEND
	;; [unrolled: 13-line block ×8, first 2 shown]
	;;#ASMSTART
	v_dot2_f32_f16 v110, v2, v26, v110
	;;#ASMEND
	;;#ASMSTART
	v_dot2_f32_f16 v110, v3, v27, v110
	;;#ASMEND
	;; [unrolled: 3-line block ×32, first 2 shown]
	s_barrier
	global_load_dwordx4 v[2:5], v[6:7], off offset:192
	s_waitcnt vmcnt(0)
	ds_write_b128 v10, v[2:5]
	s_waitcnt lgkmcnt(0)
	s_barrier
	ds_read_b128 v[22:25], v13
	ds_read_b128 v[2:5], v13 offset:2560
	ds_read_b128 v[26:29], v46 offset:192
	;; [unrolled: 1-line block ×9, first 2 shown]
	s_waitcnt lgkmcnt(7)
	;;#ASMSTART
	v_dot2_f32_f16 v109, v22, v26, v109
	;;#ASMEND
	;;#ASMSTART
	v_dot2_f32_f16 v109, v23, v27, v109
	;;#ASMEND
	;;#ASMSTART
	v_dot2_f32_f16 v109, v24, v28, v109
	;;#ASMEND
	;;#ASMSTART
	v_dot2_f32_f16 v109, v25, v29, v109
	;;#ASMEND
	s_waitcnt lgkmcnt(6)
	;;#ASMSTART
	v_dot2_f32_f16 v107, v22, v30, v107
	;;#ASMEND
	;;#ASMSTART
	v_dot2_f32_f16 v107, v23, v31, v107
	;;#ASMEND
	;;#ASMSTART
	v_dot2_f32_f16 v107, v24, v32, v107
	;;#ASMEND
	;;#ASMSTART
	v_dot2_f32_f16 v107, v25, v33, v107
	;;#ASMEND
	;; [unrolled: 13-line block ×8, first 2 shown]
	;;#ASMSTART
	v_dot2_f32_f16 v110, v2, v26, v110
	;;#ASMEND
	;;#ASMSTART
	v_dot2_f32_f16 v110, v3, v27, v110
	;;#ASMEND
	;; [unrolled: 3-line block ×32, first 2 shown]
	ds_read_b128 v[22:25], v13 offset:16
	ds_read_b128 v[2:5], v13 offset:2576
	;; [unrolled: 1-line block ×10, first 2 shown]
	s_waitcnt lgkmcnt(7)
	;;#ASMSTART
	v_dot2_f32_f16 v109, v22, v26, v109
	;;#ASMEND
	;;#ASMSTART
	v_dot2_f32_f16 v109, v23, v27, v109
	;;#ASMEND
	;;#ASMSTART
	v_dot2_f32_f16 v109, v24, v28, v109
	;;#ASMEND
	;;#ASMSTART
	v_dot2_f32_f16 v109, v25, v29, v109
	;;#ASMEND
	s_waitcnt lgkmcnt(6)
	;;#ASMSTART
	v_dot2_f32_f16 v107, v22, v30, v107
	;;#ASMEND
	;;#ASMSTART
	v_dot2_f32_f16 v107, v23, v31, v107
	;;#ASMEND
	;;#ASMSTART
	v_dot2_f32_f16 v107, v24, v32, v107
	;;#ASMEND
	;;#ASMSTART
	v_dot2_f32_f16 v107, v25, v33, v107
	;;#ASMEND
	s_waitcnt lgkmcnt(5)
	;;#ASMSTART
	v_dot2_f32_f16 v105, v22, v34, v105
	;;#ASMEND
	;;#ASMSTART
	v_dot2_f32_f16 v105, v23, v35, v105
	;;#ASMEND
	;;#ASMSTART
	v_dot2_f32_f16 v105, v24, v36, v105
	;;#ASMEND
	;;#ASMSTART
	v_dot2_f32_f16 v105, v25, v37, v105
	;;#ASMEND
	s_waitcnt lgkmcnt(4)
	;;#ASMSTART
	v_dot2_f32_f16 v69, v22, v42, v69
	;;#ASMEND
	;;#ASMSTART
	v_dot2_f32_f16 v69, v23, v43, v69
	;;#ASMEND
	;;#ASMSTART
	v_dot2_f32_f16 v69, v24, v44, v69
	;;#ASMEND
	;;#ASMSTART
	v_dot2_f32_f16 v69, v25, v45, v69
	;;#ASMEND
	s_waitcnt lgkmcnt(3)
	;;#ASMSTART
	v_dot2_f32_f16 v67, v22, v111, v67
	;;#ASMEND
	;;#ASMSTART
	v_dot2_f32_f16 v67, v23, v112, v67
	;;#ASMEND
	;;#ASMSTART
	v_dot2_f32_f16 v67, v24, v113, v67
	;;#ASMEND
	;;#ASMSTART
	v_dot2_f32_f16 v67, v25, v114, v67
	;;#ASMEND
	s_waitcnt lgkmcnt(2)
	;;#ASMSTART
	v_dot2_f32_f16 v65, v22, v115, v65
	;;#ASMEND
	;;#ASMSTART
	v_dot2_f32_f16 v65, v23, v116, v65
	;;#ASMEND
	;;#ASMSTART
	v_dot2_f32_f16 v65, v24, v117, v65
	;;#ASMEND
	;;#ASMSTART
	v_dot2_f32_f16 v65, v25, v118, v65
	;;#ASMEND
	s_waitcnt lgkmcnt(1)
	;;#ASMSTART
	v_dot2_f32_f16 v61, v22, v119, v61
	;;#ASMEND
	;;#ASMSTART
	v_dot2_f32_f16 v61, v23, v120, v61
	;;#ASMEND
	;;#ASMSTART
	v_dot2_f32_f16 v61, v24, v121, v61
	;;#ASMEND
	;;#ASMSTART
	v_dot2_f32_f16 v61, v25, v122, v61
	;;#ASMEND
	s_waitcnt lgkmcnt(0)
	;;#ASMSTART
	v_dot2_f32_f16 v8, v22, v123, v8
	;;#ASMEND
	;;#ASMSTART
	v_dot2_f32_f16 v8, v23, v124, v8
	;;#ASMEND
	;;#ASMSTART
	v_dot2_f32_f16 v8, v24, v125, v8
	;;#ASMEND
	;;#ASMSTART
	v_dot2_f32_f16 v8, v25, v126, v8
	;;#ASMEND
	;;#ASMSTART
	v_dot2_f32_f16 v110, v2, v26, v110
	;;#ASMEND
	;;#ASMSTART
	v_dot2_f32_f16 v110, v3, v27, v110
	;;#ASMEND
	;; [unrolled: 3-line block ×32, first 2 shown]
	ds_read_b128 v[22:25], v13 offset:32
	ds_read_b128 v[2:5], v13 offset:2592
	;; [unrolled: 1-line block ×10, first 2 shown]
	s_waitcnt lgkmcnt(7)
	;;#ASMSTART
	v_dot2_f32_f16 v109, v22, v26, v109
	;;#ASMEND
	;;#ASMSTART
	v_dot2_f32_f16 v109, v23, v27, v109
	;;#ASMEND
	;;#ASMSTART
	v_dot2_f32_f16 v109, v24, v28, v109
	;;#ASMEND
	;;#ASMSTART
	v_dot2_f32_f16 v109, v25, v29, v109
	;;#ASMEND
	s_waitcnt lgkmcnt(6)
	;;#ASMSTART
	v_dot2_f32_f16 v107, v22, v30, v107
	;;#ASMEND
	;;#ASMSTART
	v_dot2_f32_f16 v107, v23, v31, v107
	;;#ASMEND
	;;#ASMSTART
	v_dot2_f32_f16 v107, v24, v32, v107
	;;#ASMEND
	;;#ASMSTART
	v_dot2_f32_f16 v107, v25, v33, v107
	;;#ASMEND
	;; [unrolled: 13-line block ×8, first 2 shown]
	;;#ASMSTART
	v_dot2_f32_f16 v110, v2, v26, v110
	;;#ASMEND
	;;#ASMSTART
	v_dot2_f32_f16 v110, v3, v27, v110
	;;#ASMEND
	;; [unrolled: 3-line block ×32, first 2 shown]
	ds_read_b128 v[22:25], v13 offset:48
	ds_read_b128 v[2:5], v13 offset:2608
	;; [unrolled: 1-line block ×10, first 2 shown]
	s_waitcnt lgkmcnt(7)
	;;#ASMSTART
	v_dot2_f32_f16 v109, v22, v26, v109
	;;#ASMEND
	;;#ASMSTART
	v_dot2_f32_f16 v109, v23, v27, v109
	;;#ASMEND
	;;#ASMSTART
	v_dot2_f32_f16 v109, v24, v28, v109
	;;#ASMEND
	;;#ASMSTART
	v_dot2_f32_f16 v109, v25, v29, v109
	;;#ASMEND
	s_waitcnt lgkmcnt(6)
	;;#ASMSTART
	v_dot2_f32_f16 v107, v22, v30, v107
	;;#ASMEND
	;;#ASMSTART
	v_dot2_f32_f16 v107, v23, v31, v107
	;;#ASMEND
	;;#ASMSTART
	v_dot2_f32_f16 v107, v24, v32, v107
	;;#ASMEND
	;;#ASMSTART
	v_dot2_f32_f16 v107, v25, v33, v107
	;;#ASMEND
	;; [unrolled: 13-line block ×8, first 2 shown]
	;;#ASMSTART
	v_dot2_f32_f16 v110, v2, v26, v110
	;;#ASMEND
	;;#ASMSTART
	v_dot2_f32_f16 v110, v3, v27, v110
	;;#ASMEND
	;; [unrolled: 3-line block ×31, first 2 shown]
	v_cmp_nlt_f32_e64 s[6:7], |v109|, s43
	;;#ASMSTART
	v_dot2_f32_f16 v9, v5, v126, v9
	;;#ASMEND
                                        ; implicit-def: $vgpr5
	s_and_saveexec_b64 s[14:15], s[6:7]
	s_xor_b64 s[6:7], exec, s[14:15]
	s_cbranch_execz .LBB86_10
; %bb.9:                                ;   in Loop: Header=BB86_8 Depth=1
	v_add_f32_e64 v2, |v109|, |v109|
	v_mul_f32_e32 v3, 0x3fb8aa3b, v2
	v_rndne_f32_e32 v4, v3
	v_sub_f32_e32 v5, v3, v4
	v_fma_f32 v3, v2, s44, -v3
	v_fmac_f32_e32 v3, 0x32a5705f, v2
	v_add_f32_e32 v3, v5, v3
	v_cvt_i32_f32_e32 v4, v4
	v_exp_f32_e32 v3, v3
	v_cmp_ngt_f32_e32 vcc, s45, v2
	v_ldexp_f32 v3, v3, v4
	v_cndmask_b32_e32 v3, 0, v3, vcc
	v_cmp_nlt_f32_e32 vcc, s46, v2
	v_cndmask_b32_e32 v2, v87, v3, vcc
	v_add_f32_e32 v2, 1.0, v2
	v_rcp_f32_e32 v2, v2
	v_fma_f32 v5, v2, -2.0, 1.0
.LBB86_10:                              ;   in Loop: Header=BB86_8 Depth=1
	s_andn2_saveexec_b64 s[6:7], s[6:7]
; %bb.11:                               ;   in Loop: Header=BB86_8 Depth=1
	v_mul_f32_e32 v2, v109, v109
	v_mov_b32_e32 v3, 0x3ca908c9
	v_fmac_f32_e32 v3, 0xbbbac73d, v2
	v_fma_f32 v3, v2, v3, v83
	v_fma_f32 v3, v2, v3, v84
	;; [unrolled: 1-line block ×3, first 2 shown]
	v_mul_f32_e64 v3, |v109|, v3
	v_fma_f32 v5, v2, v3, |v109|
; %bb.12:                               ;   in Loop: Header=BB86_8 Depth=1
	s_or_b64 exec, exec, s[6:7]
	v_add_u32_e32 v4, s16, v0
	v_add_u32_e32 v2, v4, v48
	v_cndmask_b32_e64 v3, 0, 1, s[10:11]
	v_cmp_ne_u32_e64 s[6:7], 1, v3
	s_andn2_b64 vcc, exec, s[10:11]
	v_ashrrev_i32_e32 v3, 31, v2
	s_cbranch_vccnz .LBB86_106
; %bb.13:                               ;   in Loop: Header=BB86_8 Depth=1
	v_lshlrev_b64 v[6:7], 1, v[2:3]
	v_mov_b32_e32 v19, s41
	v_add_co_u32_e32 v6, vcc, s40, v6
	v_addc_co_u32_e32 v7, vcc, v19, v7, vcc
	global_load_ushort v6, v[6:7], off
	s_waitcnt vmcnt(0)
	v_cvt_f32_f16_e32 v6, v6
	v_mul_f32_e32 v111, v21, v6
	v_cmp_nlt_f32_e64 s[14:15], |v110|, s43
                                        ; implicit-def: $vgpr6
	s_and_saveexec_b64 s[50:51], s[14:15]
	s_xor_b64 s[14:15], exec, s[50:51]
	s_cbranch_execz .LBB86_15
.LBB86_14:                              ;   in Loop: Header=BB86_8 Depth=1
	v_add_f32_e64 v6, |v110|, |v110|
	v_mul_f32_e32 v7, 0x3fb8aa3b, v6
	v_rndne_f32_e32 v19, v7
	v_sub_f32_e32 v20, v7, v19
	v_fma_f32 v7, v6, s44, -v7
	v_fmac_f32_e32 v7, 0x32a5705f, v6
	v_add_f32_e32 v7, v20, v7
	v_cvt_i32_f32_e32 v19, v19
	v_exp_f32_e32 v7, v7
	v_cmp_ngt_f32_e32 vcc, s45, v6
	v_ldexp_f32 v7, v7, v19
	v_cndmask_b32_e32 v7, 0, v7, vcc
	v_cmp_nlt_f32_e32 vcc, s46, v6
	v_cndmask_b32_e32 v6, v87, v7, vcc
	v_add_f32_e32 v6, 1.0, v6
	v_rcp_f32_e32 v6, v6
	v_fma_f32 v6, v6, -2.0, 1.0
.LBB86_15:                              ;   in Loop: Header=BB86_8 Depth=1
	s_andn2_saveexec_b64 s[14:15], s[14:15]
	s_cbranch_execz .LBB86_18
; %bb.16:                               ;   in Loop: Header=BB86_8 Depth=1
	v_mul_f32_e32 v6, v110, v110
	v_mov_b32_e32 v7, 0x3ca908c9
	v_fmac_f32_e32 v7, 0xbbbac73d, v6
	v_fma_f32 v7, v6, v7, v83
	v_fma_f32 v7, v6, v7, v84
	;; [unrolled: 1-line block ×3, first 2 shown]
	v_mul_f32_e64 v7, |v110|, v7
	v_fma_f32 v6, v6, v7, |v110|
	s_or_b64 exec, exec, s[14:15]
	s_and_b64 vcc, exec, s[6:7]
	s_cbranch_vccz .LBB86_19
.LBB86_17:                              ;   in Loop: Header=BB86_8 Depth=1
	v_mov_b32_e32 v112, 0
	s_branch .LBB86_20
.LBB86_18:                              ;   in Loop: Header=BB86_8 Depth=1
	s_or_b64 exec, exec, s[14:15]
	s_and_b64 vcc, exec, s[6:7]
	s_cbranch_vccnz .LBB86_17
.LBB86_19:                              ;   in Loop: Header=BB86_8 Depth=1
	v_lshlrev_b64 v[2:3], 1, v[2:3]
	v_mov_b32_e32 v7, s41
	v_add_co_u32_e32 v2, vcc, s40, v2
	v_addc_co_u32_e32 v3, vcc, v7, v3, vcc
	global_load_ushort v2, v[2:3], off offset:64
	s_waitcnt vmcnt(0)
	v_cvt_f32_f16_e32 v2, v2
	v_mul_f32_e32 v112, v21, v2
.LBB86_20:                              ;   in Loop: Header=BB86_8 Depth=1
	v_bfi_b32 v3, s47, v5, v109
	v_and_b32_e32 v5, 0x60, v88
	v_bfi_b32 v2, s47, v6, v110
	v_add_u32_e32 v5, 32, v5
	v_xor_b32_e32 v6, 16, v88
	v_fmac_f32_e32 v111, s19, v3
	v_cmp_lt_i32_e32 vcc, v6, v5
	v_fmac_f32_e32 v112, s19, v2
	v_add_f32_e32 v3, 0x40051340, v111
	v_cndmask_b32_e32 v6, v88, v6, vcc
	v_add_f32_e32 v2, 0x40051340, v112
	v_lshlrev_b32_e32 v115, 2, v6
	v_max3_f32 v2, v104, v3, v2
	ds_bpermute_b32 v3, v115, v2
	v_xor_b32_e32 v6, 8, v88
	v_cmp_lt_i32_e32 vcc, v6, v5
	v_cndmask_b32_e32 v6, v88, v6, vcc
	v_lshlrev_b32_e32 v117, 2, v6
	s_waitcnt lgkmcnt(0)
	v_max_f32_e32 v3, v3, v3
	v_max_f32_e32 v2, v2, v3
	ds_bpermute_b32 v3, v117, v2
	v_xor_b32_e32 v6, 4, v88
	v_cmp_lt_i32_e32 vcc, v6, v5
	v_cndmask_b32_e32 v6, v88, v6, vcc
	v_lshlrev_b32_e32 v116, 2, v6
	s_waitcnt lgkmcnt(0)
	v_max_f32_e32 v3, v3, v3
	v_max_f32_e32 v2, v2, v3
	;; [unrolled: 8-line block ×4, first 2 shown]
	ds_bpermute_b32 v123, v113, v122
	v_cmp_nlt_f32_e64 s[14:15], |v107|, s43
                                        ; implicit-def: $vgpr5
	s_and_saveexec_b64 s[50:51], s[14:15]
	s_xor_b64 s[14:15], exec, s[50:51]
	s_cbranch_execz .LBB86_22
; %bb.21:                               ;   in Loop: Header=BB86_8 Depth=1
	v_add_f32_e64 v2, |v107|, |v107|
	v_mul_f32_e32 v3, 0x3fb8aa3b, v2
	v_rndne_f32_e32 v5, v3
	v_sub_f32_e32 v6, v3, v5
	v_fma_f32 v3, v2, s44, -v3
	v_fmac_f32_e32 v3, 0x32a5705f, v2
	v_add_f32_e32 v3, v6, v3
	v_cvt_i32_f32_e32 v5, v5
	v_exp_f32_e32 v3, v3
	v_cmp_ngt_f32_e32 vcc, s45, v2
	v_ldexp_f32 v3, v3, v5
	v_cndmask_b32_e32 v3, 0, v3, vcc
	v_cmp_nlt_f32_e32 vcc, s46, v2
	v_cndmask_b32_e32 v2, v87, v3, vcc
	v_add_f32_e32 v2, 1.0, v2
	v_rcp_f32_e32 v2, v2
	v_fma_f32 v5, v2, -2.0, 1.0
.LBB86_22:                              ;   in Loop: Header=BB86_8 Depth=1
	s_andn2_saveexec_b64 s[14:15], s[14:15]
; %bb.23:                               ;   in Loop: Header=BB86_8 Depth=1
	v_mul_f32_e32 v2, v107, v107
	v_mov_b32_e32 v3, 0x3ca908c9
	v_fmac_f32_e32 v3, 0xbbbac73d, v2
	v_fma_f32 v3, v2, v3, v83
	v_fma_f32 v3, v2, v3, v84
	v_fma_f32 v3, v2, v3, v85
	v_mul_f32_e64 v3, |v107|, v3
	v_fma_f32 v5, v2, v3, |v107|
; %bb.24:                               ;   in Loop: Header=BB86_8 Depth=1
	s_or_b64 exec, exec, s[14:15]
	v_add_u32_e32 v2, v4, v14
	s_and_b64 vcc, exec, s[6:7]
	v_ashrrev_i32_e32 v3, 31, v2
	s_cbranch_vccnz .LBB86_107
; %bb.25:                               ;   in Loop: Header=BB86_8 Depth=1
	v_lshlrev_b64 v[6:7], 1, v[2:3]
	v_mov_b32_e32 v19, s41
	v_add_co_u32_e32 v6, vcc, s40, v6
	v_addc_co_u32_e32 v7, vcc, v19, v7, vcc
	global_load_ushort v6, v[6:7], off
	s_waitcnt vmcnt(0)
	v_cvt_f32_f16_e32 v6, v6
	v_mul_f32_e32 v109, v21, v6
	v_cmp_nlt_f32_e64 s[14:15], |v108|, s43
                                        ; implicit-def: $vgpr6
	s_and_saveexec_b64 s[50:51], s[14:15]
	s_xor_b64 s[14:15], exec, s[50:51]
	s_cbranch_execz .LBB86_27
.LBB86_26:                              ;   in Loop: Header=BB86_8 Depth=1
	v_add_f32_e64 v6, |v108|, |v108|
	v_mul_f32_e32 v7, 0x3fb8aa3b, v6
	v_rndne_f32_e32 v19, v7
	v_sub_f32_e32 v20, v7, v19
	v_fma_f32 v7, v6, s44, -v7
	v_fmac_f32_e32 v7, 0x32a5705f, v6
	v_add_f32_e32 v7, v20, v7
	v_cvt_i32_f32_e32 v19, v19
	v_exp_f32_e32 v7, v7
	v_cmp_ngt_f32_e32 vcc, s45, v6
	v_ldexp_f32 v7, v7, v19
	v_cndmask_b32_e32 v7, 0, v7, vcc
	v_cmp_nlt_f32_e32 vcc, s46, v6
	v_cndmask_b32_e32 v6, v87, v7, vcc
	v_add_f32_e32 v6, 1.0, v6
	v_rcp_f32_e32 v6, v6
	v_fma_f32 v6, v6, -2.0, 1.0
.LBB86_27:                              ;   in Loop: Header=BB86_8 Depth=1
	s_andn2_saveexec_b64 s[14:15], s[14:15]
	s_cbranch_execz .LBB86_30
; %bb.28:                               ;   in Loop: Header=BB86_8 Depth=1
	v_mul_f32_e32 v6, v108, v108
	v_mov_b32_e32 v7, 0x3ca908c9
	v_fmac_f32_e32 v7, 0xbbbac73d, v6
	v_fma_f32 v7, v6, v7, v83
	v_fma_f32 v7, v6, v7, v84
	;; [unrolled: 1-line block ×3, first 2 shown]
	v_mul_f32_e64 v7, |v108|, v7
	v_fma_f32 v6, v6, v7, |v108|
	s_or_b64 exec, exec, s[14:15]
	s_and_b64 vcc, exec, s[6:7]
	s_cbranch_vccz .LBB86_31
.LBB86_29:                              ;   in Loop: Header=BB86_8 Depth=1
	v_mov_b32_e32 v110, 0
	s_branch .LBB86_32
.LBB86_30:                              ;   in Loop: Header=BB86_8 Depth=1
	s_or_b64 exec, exec, s[14:15]
	s_and_b64 vcc, exec, s[6:7]
	s_cbranch_vccnz .LBB86_29
.LBB86_31:                              ;   in Loop: Header=BB86_8 Depth=1
	v_lshlrev_b64 v[2:3], 1, v[2:3]
	v_mov_b32_e32 v7, s41
	v_add_co_u32_e32 v2, vcc, s40, v2
	v_addc_co_u32_e32 v3, vcc, v7, v3, vcc
	global_load_ushort v2, v[2:3], off offset:64
	s_waitcnt vmcnt(0)
	v_cvt_f32_f16_e32 v2, v2
	v_mul_f32_e32 v110, v21, v2
.LBB86_32:                              ;   in Loop: Header=BB86_8 Depth=1
	v_bfi_b32 v2, s47, v6, v108
	v_bfi_b32 v3, s47, v5, v107
	v_fmac_f32_e32 v109, s19, v3
	v_fmac_f32_e32 v110, s19, v2
	v_add_f32_e32 v3, 0x40051340, v109
	v_add_f32_e32 v2, 0x40051340, v110
	v_max3_f32 v2, v103, v3, v2
	ds_bpermute_b32 v3, v115, v2
	v_cmp_nlt_f32_e64 s[14:15], |v105|, s43
                                        ; implicit-def: $vgpr5
	s_waitcnt lgkmcnt(0)
	v_max_f32_e32 v3, v3, v3
	v_max_f32_e32 v2, v2, v3
	ds_bpermute_b32 v3, v117, v2
	s_waitcnt lgkmcnt(0)
	v_max_f32_e32 v3, v3, v3
	v_max_f32_e32 v2, v2, v3
	ds_bpermute_b32 v3, v116, v2
	;; [unrolled: 4-line block ×4, first 2 shown]
	s_and_saveexec_b64 s[50:51], s[14:15]
	s_xor_b64 s[14:15], exec, s[50:51]
	s_cbranch_execz .LBB86_34
; %bb.33:                               ;   in Loop: Header=BB86_8 Depth=1
	v_add_f32_e64 v2, |v105|, |v105|
	v_mul_f32_e32 v3, 0x3fb8aa3b, v2
	v_rndne_f32_e32 v5, v3
	v_sub_f32_e32 v6, v3, v5
	v_fma_f32 v3, v2, s44, -v3
	v_fmac_f32_e32 v3, 0x32a5705f, v2
	v_add_f32_e32 v3, v6, v3
	v_cvt_i32_f32_e32 v5, v5
	v_exp_f32_e32 v3, v3
	v_cmp_ngt_f32_e32 vcc, s45, v2
	v_ldexp_f32 v3, v3, v5
	v_cndmask_b32_e32 v3, 0, v3, vcc
	v_cmp_nlt_f32_e32 vcc, s46, v2
	v_cndmask_b32_e32 v2, v87, v3, vcc
	v_add_f32_e32 v2, 1.0, v2
	v_rcp_f32_e32 v2, v2
	v_fma_f32 v5, v2, -2.0, 1.0
.LBB86_34:                              ;   in Loop: Header=BB86_8 Depth=1
	s_andn2_saveexec_b64 s[14:15], s[14:15]
; %bb.35:                               ;   in Loop: Header=BB86_8 Depth=1
	v_mul_f32_e32 v2, v105, v105
	v_mov_b32_e32 v3, 0x3ca908c9
	v_fmac_f32_e32 v3, 0xbbbac73d, v2
	v_fma_f32 v3, v2, v3, v83
	v_fma_f32 v3, v2, v3, v84
	;; [unrolled: 1-line block ×3, first 2 shown]
	v_mul_f32_e64 v3, |v105|, v3
	v_fma_f32 v5, v2, v3, |v105|
; %bb.36:                               ;   in Loop: Header=BB86_8 Depth=1
	s_or_b64 exec, exec, s[14:15]
	v_add_u32_e32 v2, v4, v15
	s_and_b64 vcc, exec, s[6:7]
	v_ashrrev_i32_e32 v3, 31, v2
	s_cbranch_vccnz .LBB86_108
; %bb.37:                               ;   in Loop: Header=BB86_8 Depth=1
	v_lshlrev_b64 v[6:7], 1, v[2:3]
	v_mov_b32_e32 v19, s41
	v_add_co_u32_e32 v6, vcc, s40, v6
	v_addc_co_u32_e32 v7, vcc, v19, v7, vcc
	global_load_ushort v6, v[6:7], off
	s_waitcnt vmcnt(0)
	v_cvt_f32_f16_e32 v6, v6
	v_mul_f32_e32 v107, v21, v6
	v_cmp_nlt_f32_e64 s[14:15], |v106|, s43
                                        ; implicit-def: $vgpr6
	s_and_saveexec_b64 s[50:51], s[14:15]
	s_xor_b64 s[14:15], exec, s[50:51]
	s_cbranch_execz .LBB86_39
.LBB86_38:                              ;   in Loop: Header=BB86_8 Depth=1
	v_add_f32_e64 v6, |v106|, |v106|
	v_mul_f32_e32 v7, 0x3fb8aa3b, v6
	v_rndne_f32_e32 v19, v7
	v_sub_f32_e32 v20, v7, v19
	v_fma_f32 v7, v6, s44, -v7
	v_fmac_f32_e32 v7, 0x32a5705f, v6
	v_add_f32_e32 v7, v20, v7
	v_cvt_i32_f32_e32 v19, v19
	v_exp_f32_e32 v7, v7
	v_cmp_ngt_f32_e32 vcc, s45, v6
	v_ldexp_f32 v7, v7, v19
	v_cndmask_b32_e32 v7, 0, v7, vcc
	v_cmp_nlt_f32_e32 vcc, s46, v6
	v_cndmask_b32_e32 v6, v87, v7, vcc
	v_add_f32_e32 v6, 1.0, v6
	v_rcp_f32_e32 v6, v6
	v_fma_f32 v6, v6, -2.0, 1.0
.LBB86_39:                              ;   in Loop: Header=BB86_8 Depth=1
	s_andn2_saveexec_b64 s[14:15], s[14:15]
	s_cbranch_execz .LBB86_42
; %bb.40:                               ;   in Loop: Header=BB86_8 Depth=1
	v_mul_f32_e32 v6, v106, v106
	v_mov_b32_e32 v7, 0x3ca908c9
	v_fmac_f32_e32 v7, 0xbbbac73d, v6
	v_fma_f32 v7, v6, v7, v83
	v_fma_f32 v7, v6, v7, v84
	;; [unrolled: 1-line block ×3, first 2 shown]
	v_mul_f32_e64 v7, |v106|, v7
	v_fma_f32 v6, v6, v7, |v106|
	s_or_b64 exec, exec, s[14:15]
	s_and_b64 vcc, exec, s[6:7]
	s_cbranch_vccz .LBB86_43
.LBB86_41:                              ;   in Loop: Header=BB86_8 Depth=1
	v_mov_b32_e32 v108, 0
	s_branch .LBB86_44
.LBB86_42:                              ;   in Loop: Header=BB86_8 Depth=1
	s_or_b64 exec, exec, s[14:15]
	s_and_b64 vcc, exec, s[6:7]
	s_cbranch_vccnz .LBB86_41
.LBB86_43:                              ;   in Loop: Header=BB86_8 Depth=1
	v_lshlrev_b64 v[2:3], 1, v[2:3]
	v_mov_b32_e32 v7, s41
	v_add_co_u32_e32 v2, vcc, s40, v2
	v_addc_co_u32_e32 v3, vcc, v7, v3, vcc
	global_load_ushort v2, v[2:3], off offset:64
	s_waitcnt vmcnt(0)
	v_cvt_f32_f16_e32 v2, v2
	v_mul_f32_e32 v108, v21, v2
.LBB86_44:                              ;   in Loop: Header=BB86_8 Depth=1
	v_bfi_b32 v2, s47, v6, v106
	v_bfi_b32 v3, s47, v5, v105
	v_fmac_f32_e32 v107, s19, v3
	v_fmac_f32_e32 v108, s19, v2
	v_add_f32_e32 v3, 0x40051340, v107
	v_add_f32_e32 v2, 0x40051340, v108
	v_max3_f32 v2, v100, v3, v2
	ds_bpermute_b32 v3, v115, v2
	v_cmp_nlt_f32_e64 s[14:15], |v69|, s43
                                        ; implicit-def: $vgpr5
	s_waitcnt lgkmcnt(0)
	v_max_f32_e32 v3, v3, v3
	v_max_f32_e32 v2, v2, v3
	ds_bpermute_b32 v3, v117, v2
	s_waitcnt lgkmcnt(0)
	v_max_f32_e32 v3, v3, v3
	v_max_f32_e32 v2, v2, v3
	ds_bpermute_b32 v3, v116, v2
	;; [unrolled: 4-line block ×4, first 2 shown]
	s_and_saveexec_b64 s[50:51], s[14:15]
	s_xor_b64 s[14:15], exec, s[50:51]
	s_cbranch_execz .LBB86_46
; %bb.45:                               ;   in Loop: Header=BB86_8 Depth=1
	v_add_f32_e64 v2, |v69|, |v69|
	v_mul_f32_e32 v3, 0x3fb8aa3b, v2
	v_rndne_f32_e32 v5, v3
	v_sub_f32_e32 v6, v3, v5
	v_fma_f32 v3, v2, s44, -v3
	v_fmac_f32_e32 v3, 0x32a5705f, v2
	v_add_f32_e32 v3, v6, v3
	v_cvt_i32_f32_e32 v5, v5
	v_exp_f32_e32 v3, v3
	v_cmp_ngt_f32_e32 vcc, s45, v2
	v_ldexp_f32 v3, v3, v5
	v_cndmask_b32_e32 v3, 0, v3, vcc
	v_cmp_nlt_f32_e32 vcc, s46, v2
	v_cndmask_b32_e32 v2, v87, v3, vcc
	v_add_f32_e32 v2, 1.0, v2
	v_rcp_f32_e32 v2, v2
	v_fma_f32 v5, v2, -2.0, 1.0
.LBB86_46:                              ;   in Loop: Header=BB86_8 Depth=1
	s_andn2_saveexec_b64 s[14:15], s[14:15]
; %bb.47:                               ;   in Loop: Header=BB86_8 Depth=1
	v_mul_f32_e32 v2, v69, v69
	v_mov_b32_e32 v3, 0x3ca908c9
	v_fmac_f32_e32 v3, 0xbbbac73d, v2
	v_fma_f32 v3, v2, v3, v83
	v_fma_f32 v3, v2, v3, v84
	;; [unrolled: 1-line block ×3, first 2 shown]
	v_mul_f32_e64 v3, |v69|, v3
	v_fma_f32 v5, v2, v3, |v69|
; %bb.48:                               ;   in Loop: Header=BB86_8 Depth=1
	s_or_b64 exec, exec, s[14:15]
	v_add_u32_e32 v2, v4, v16
	s_and_b64 vcc, exec, s[6:7]
	v_ashrrev_i32_e32 v3, 31, v2
	s_cbranch_vccnz .LBB86_109
; %bb.49:                               ;   in Loop: Header=BB86_8 Depth=1
	v_lshlrev_b64 v[6:7], 1, v[2:3]
	v_mov_b32_e32 v22, s41
	v_add_co_u32_e32 v6, vcc, s40, v6
	v_addc_co_u32_e32 v7, vcc, v22, v7, vcc
	global_load_ushort v6, v[6:7], off
	s_waitcnt vmcnt(0)
	v_cvt_f32_f16_e32 v6, v6
	v_mul_f32_e32 v105, v21, v6
	v_cmp_nlt_f32_e64 s[14:15], |v70|, s43
                                        ; implicit-def: $vgpr6
	s_and_saveexec_b64 s[50:51], s[14:15]
	s_xor_b64 s[14:15], exec, s[50:51]
	s_cbranch_execz .LBB86_51
.LBB86_50:                              ;   in Loop: Header=BB86_8 Depth=1
	v_add_f32_e64 v6, |v70|, |v70|
	v_mul_f32_e32 v7, 0x3fb8aa3b, v6
	v_rndne_f32_e32 v22, v7
	v_sub_f32_e32 v23, v7, v22
	v_fma_f32 v7, v6, s44, -v7
	v_fmac_f32_e32 v7, 0x32a5705f, v6
	v_add_f32_e32 v7, v23, v7
	v_cvt_i32_f32_e32 v22, v22
	v_exp_f32_e32 v7, v7
	v_cmp_ngt_f32_e32 vcc, s45, v6
	v_ldexp_f32 v7, v7, v22
	v_cndmask_b32_e32 v7, 0, v7, vcc
	v_cmp_nlt_f32_e32 vcc, s46, v6
	v_cndmask_b32_e32 v6, v87, v7, vcc
	v_add_f32_e32 v6, 1.0, v6
	v_rcp_f32_e32 v6, v6
	v_fma_f32 v6, v6, -2.0, 1.0
.LBB86_51:                              ;   in Loop: Header=BB86_8 Depth=1
	s_andn2_saveexec_b64 s[14:15], s[14:15]
	s_cbranch_execz .LBB86_54
; %bb.52:                               ;   in Loop: Header=BB86_8 Depth=1
	v_mul_f32_e32 v6, v70, v70
	v_mov_b32_e32 v7, 0x3ca908c9
	v_fmac_f32_e32 v7, 0xbbbac73d, v6
	v_fma_f32 v7, v6, v7, v83
	v_fma_f32 v7, v6, v7, v84
	;; [unrolled: 1-line block ×3, first 2 shown]
	v_mul_f32_e64 v7, |v70|, v7
	v_fma_f32 v6, v6, v7, |v70|
	s_or_b64 exec, exec, s[14:15]
	s_and_b64 vcc, exec, s[6:7]
	s_cbranch_vccz .LBB86_55
.LBB86_53:                              ;   in Loop: Header=BB86_8 Depth=1
	v_mov_b32_e32 v106, 0
	s_branch .LBB86_56
.LBB86_54:                              ;   in Loop: Header=BB86_8 Depth=1
	s_or_b64 exec, exec, s[14:15]
	s_and_b64 vcc, exec, s[6:7]
	s_cbranch_vccnz .LBB86_53
.LBB86_55:                              ;   in Loop: Header=BB86_8 Depth=1
	v_lshlrev_b64 v[2:3], 1, v[2:3]
	v_mov_b32_e32 v7, s41
	v_add_co_u32_e32 v2, vcc, s40, v2
	v_addc_co_u32_e32 v3, vcc, v7, v3, vcc
	global_load_ushort v2, v[2:3], off offset:64
	s_waitcnt vmcnt(0)
	v_cvt_f32_f16_e32 v2, v2
	v_mul_f32_e32 v106, v21, v2
.LBB86_56:                              ;   in Loop: Header=BB86_8 Depth=1
	v_bfi_b32 v2, s47, v6, v70
	v_bfi_b32 v3, s47, v5, v69
	v_fmac_f32_e32 v105, s19, v3
	v_fmac_f32_e32 v106, s19, v2
	v_add_f32_e32 v3, 0x40051340, v105
	v_add_f32_e32 v2, 0x40051340, v106
	v_max3_f32 v2, v98, v3, v2
	ds_bpermute_b32 v3, v115, v2
	v_cmp_nlt_f32_e64 s[14:15], |v67|, s43
                                        ; implicit-def: $vgpr6
	s_waitcnt lgkmcnt(0)
	v_max_f32_e32 v3, v3, v3
	v_max_f32_e32 v2, v2, v3
	ds_bpermute_b32 v3, v117, v2
	s_waitcnt lgkmcnt(0)
	v_max_f32_e32 v3, v3, v3
	v_max_f32_e32 v2, v2, v3
	ds_bpermute_b32 v3, v116, v2
	;; [unrolled: 4-line block ×4, first 2 shown]
	s_and_saveexec_b64 s[50:51], s[14:15]
	s_xor_b64 s[14:15], exec, s[50:51]
	s_cbranch_execz .LBB86_58
; %bb.57:                               ;   in Loop: Header=BB86_8 Depth=1
	v_add_f32_e64 v2, |v67|, |v67|
	v_mul_f32_e32 v3, 0x3fb8aa3b, v2
	v_rndne_f32_e32 v6, v3
	v_sub_f32_e32 v7, v3, v6
	v_fma_f32 v3, v2, s44, -v3
	v_fmac_f32_e32 v3, 0x32a5705f, v2
	v_add_f32_e32 v3, v7, v3
	v_cvt_i32_f32_e32 v6, v6
	v_exp_f32_e32 v3, v3
	v_cmp_ngt_f32_e32 vcc, s45, v2
	v_ldexp_f32 v3, v3, v6
	v_cndmask_b32_e32 v3, 0, v3, vcc
	v_cmp_nlt_f32_e32 vcc, s46, v2
	v_cndmask_b32_e32 v2, v87, v3, vcc
	v_add_f32_e32 v2, 1.0, v2
	v_rcp_f32_e32 v2, v2
	v_fma_f32 v6, v2, -2.0, 1.0
.LBB86_58:                              ;   in Loop: Header=BB86_8 Depth=1
	s_andn2_saveexec_b64 s[14:15], s[14:15]
; %bb.59:                               ;   in Loop: Header=BB86_8 Depth=1
	v_mul_f32_e32 v2, v67, v67
	v_mov_b32_e32 v3, 0x3ca908c9
	v_fmac_f32_e32 v3, 0xbbbac73d, v2
	v_fma_f32 v3, v2, v3, v83
	v_fma_f32 v3, v2, v3, v84
	;; [unrolled: 1-line block ×3, first 2 shown]
	v_mul_f32_e64 v3, |v67|, v3
	v_fma_f32 v6, v2, v3, |v67|
; %bb.60:                               ;   in Loop: Header=BB86_8 Depth=1
	s_or_b64 exec, exec, s[14:15]
	v_add_u32_e32 v2, v4, v17
	s_and_b64 vcc, exec, s[6:7]
	v_ashrrev_i32_e32 v3, 31, v2
	s_cbranch_vccnz .LBB86_110
; %bb.61:                               ;   in Loop: Header=BB86_8 Depth=1
	v_lshlrev_b64 v[22:23], 1, v[2:3]
	v_mov_b32_e32 v7, s41
	v_add_co_u32_e32 v22, vcc, s40, v22
	v_addc_co_u32_e32 v23, vcc, v7, v23, vcc
	global_load_ushort v7, v[22:23], off
	s_waitcnt vmcnt(0)
	v_cvt_f32_f16_e32 v7, v7
	v_mul_f32_e32 v118, v21, v7
	v_cmp_nlt_f32_e64 s[14:15], |v68|, s43
                                        ; implicit-def: $vgpr7
	s_and_saveexec_b64 s[50:51], s[14:15]
	s_xor_b64 s[14:15], exec, s[50:51]
	s_cbranch_execz .LBB86_63
.LBB86_62:                              ;   in Loop: Header=BB86_8 Depth=1
	v_add_f32_e64 v7, |v68|, |v68|
	v_mul_f32_e32 v22, 0x3fb8aa3b, v7
	v_rndne_f32_e32 v23, v22
	v_sub_f32_e32 v24, v22, v23
	v_fma_f32 v22, v7, s44, -v22
	v_fmac_f32_e32 v22, 0x32a5705f, v7
	v_add_f32_e32 v22, v24, v22
	v_cvt_i32_f32_e32 v23, v23
	v_exp_f32_e32 v22, v22
	v_cmp_ngt_f32_e32 vcc, s45, v7
	v_ldexp_f32 v22, v22, v23
	v_cndmask_b32_e32 v22, 0, v22, vcc
	v_cmp_nlt_f32_e32 vcc, s46, v7
	v_cndmask_b32_e32 v7, v87, v22, vcc
	v_add_f32_e32 v7, 1.0, v7
	v_rcp_f32_e32 v7, v7
	v_fma_f32 v7, v7, -2.0, 1.0
.LBB86_63:                              ;   in Loop: Header=BB86_8 Depth=1
	s_andn2_saveexec_b64 s[14:15], s[14:15]
	s_cbranch_execz .LBB86_66
; %bb.64:                               ;   in Loop: Header=BB86_8 Depth=1
	v_mul_f32_e32 v7, v68, v68
	v_mov_b32_e32 v22, 0x3ca908c9
	v_fmac_f32_e32 v22, 0xbbbac73d, v7
	v_fma_f32 v22, v7, v22, v83
	v_fma_f32 v22, v7, v22, v84
	v_fma_f32 v22, v7, v22, v85
	v_mul_f32_e64 v22, |v68|, v22
	v_fma_f32 v7, v7, v22, |v68|
	s_or_b64 exec, exec, s[14:15]
	s_and_b64 vcc, exec, s[6:7]
	s_cbranch_vccz .LBB86_67
.LBB86_65:                              ;   in Loop: Header=BB86_8 Depth=1
	v_mov_b32_e32 v119, 0
	s_branch .LBB86_68
.LBB86_66:                              ;   in Loop: Header=BB86_8 Depth=1
	s_or_b64 exec, exec, s[14:15]
	s_and_b64 vcc, exec, s[6:7]
	s_cbranch_vccnz .LBB86_65
.LBB86_67:                              ;   in Loop: Header=BB86_8 Depth=1
	v_lshlrev_b64 v[2:3], 1, v[2:3]
	v_mov_b32_e32 v22, s41
	v_add_co_u32_e32 v2, vcc, s40, v2
	v_addc_co_u32_e32 v3, vcc, v22, v3, vcc
	global_load_ushort v2, v[2:3], off offset:64
	s_waitcnt vmcnt(0)
	v_cvt_f32_f16_e32 v2, v2
	v_mul_f32_e32 v119, v21, v2
.LBB86_68:                              ;   in Loop: Header=BB86_8 Depth=1
	v_bfi_b32 v2, s47, v7, v68
	v_bfi_b32 v3, s47, v6, v67
	v_fmac_f32_e32 v118, s19, v3
	v_fmac_f32_e32 v119, s19, v2
	v_add_f32_e32 v3, 0x40051340, v118
	v_add_f32_e32 v2, 0x40051340, v119
	v_max3_f32 v2, v96, v3, v2
	ds_bpermute_b32 v3, v115, v2
	v_cmp_nlt_f32_e64 s[14:15], |v65|, s43
                                        ; implicit-def: $vgpr7
	s_waitcnt lgkmcnt(0)
	v_max_f32_e32 v3, v3, v3
	v_max_f32_e32 v2, v2, v3
	ds_bpermute_b32 v3, v117, v2
	s_waitcnt lgkmcnt(0)
	v_max_f32_e32 v3, v3, v3
	v_max_f32_e32 v2, v2, v3
	ds_bpermute_b32 v3, v116, v2
	;; [unrolled: 4-line block ×4, first 2 shown]
	s_and_saveexec_b64 s[50:51], s[14:15]
	s_xor_b64 s[14:15], exec, s[50:51]
	s_cbranch_execz .LBB86_70
; %bb.69:                               ;   in Loop: Header=BB86_8 Depth=1
	v_add_f32_e64 v2, |v65|, |v65|
	v_mul_f32_e32 v3, 0x3fb8aa3b, v2
	v_rndne_f32_e32 v7, v3
	v_sub_f32_e32 v22, v3, v7
	v_fma_f32 v3, v2, s44, -v3
	v_fmac_f32_e32 v3, 0x32a5705f, v2
	v_add_f32_e32 v3, v22, v3
	v_cvt_i32_f32_e32 v7, v7
	v_exp_f32_e32 v3, v3
	v_cmp_ngt_f32_e32 vcc, s45, v2
	v_ldexp_f32 v3, v3, v7
	v_cndmask_b32_e32 v3, 0, v3, vcc
	v_cmp_nlt_f32_e32 vcc, s46, v2
	v_cndmask_b32_e32 v2, v87, v3, vcc
	v_add_f32_e32 v2, 1.0, v2
	v_rcp_f32_e32 v2, v2
	v_fma_f32 v7, v2, -2.0, 1.0
.LBB86_70:                              ;   in Loop: Header=BB86_8 Depth=1
	s_andn2_saveexec_b64 s[14:15], s[14:15]
; %bb.71:                               ;   in Loop: Header=BB86_8 Depth=1
	v_mul_f32_e32 v2, v65, v65
	v_mov_b32_e32 v3, 0x3ca908c9
	v_fmac_f32_e32 v3, 0xbbbac73d, v2
	v_fma_f32 v3, v2, v3, v83
	v_fma_f32 v3, v2, v3, v84
	;; [unrolled: 1-line block ×3, first 2 shown]
	v_mul_f32_e64 v3, |v65|, v3
	v_fma_f32 v7, v2, v3, |v65|
; %bb.72:                               ;   in Loop: Header=BB86_8 Depth=1
	s_or_b64 exec, exec, s[14:15]
	v_add_u32_e32 v2, v4, v75
	s_and_b64 vcc, exec, s[6:7]
	v_ashrrev_i32_e32 v3, 31, v2
	s_cbranch_vccnz .LBB86_111
; %bb.73:                               ;   in Loop: Header=BB86_8 Depth=1
	v_lshlrev_b64 v[22:23], 1, v[2:3]
	v_mov_b32_e32 v24, s41
	v_add_co_u32_e32 v22, vcc, s40, v22
	v_addc_co_u32_e32 v23, vcc, v24, v23, vcc
	global_load_ushort v22, v[22:23], off
	s_waitcnt vmcnt(0)
	v_cvt_f32_f16_e32 v22, v22
	v_mul_f32_e32 v68, v21, v22
	v_cmp_nlt_f32_e64 s[14:15], |v66|, s43
                                        ; implicit-def: $vgpr70
	s_and_saveexec_b64 s[50:51], s[14:15]
	s_xor_b64 s[14:15], exec, s[50:51]
	s_cbranch_execz .LBB86_75
.LBB86_74:                              ;   in Loop: Header=BB86_8 Depth=1
	v_add_f32_e64 v22, |v66|, |v66|
	v_mul_f32_e32 v23, 0x3fb8aa3b, v22
	v_rndne_f32_e32 v24, v23
	v_sub_f32_e32 v25, v23, v24
	v_fma_f32 v23, v22, s44, -v23
	v_fmac_f32_e32 v23, 0x32a5705f, v22
	v_add_f32_e32 v23, v25, v23
	v_cvt_i32_f32_e32 v24, v24
	v_exp_f32_e32 v23, v23
	v_cmp_ngt_f32_e32 vcc, s45, v22
	v_ldexp_f32 v23, v23, v24
	v_cndmask_b32_e32 v23, 0, v23, vcc
	v_cmp_nlt_f32_e32 vcc, s46, v22
	v_cndmask_b32_e32 v22, v87, v23, vcc
	v_add_f32_e32 v22, 1.0, v22
	v_rcp_f32_e32 v22, v22
	v_fma_f32 v70, v22, -2.0, 1.0
.LBB86_75:                              ;   in Loop: Header=BB86_8 Depth=1
	s_andn2_saveexec_b64 s[14:15], s[14:15]
	s_cbranch_execz .LBB86_78
; %bb.76:                               ;   in Loop: Header=BB86_8 Depth=1
	v_mul_f32_e32 v22, v66, v66
	v_mov_b32_e32 v23, 0x3ca908c9
	v_fmac_f32_e32 v23, 0xbbbac73d, v22
	v_fma_f32 v23, v22, v23, v83
	v_fma_f32 v23, v22, v23, v84
	;; [unrolled: 1-line block ×3, first 2 shown]
	v_mul_f32_e64 v23, |v66|, v23
	v_fma_f32 v70, v22, v23, |v66|
	s_or_b64 exec, exec, s[14:15]
	s_and_b64 vcc, exec, s[6:7]
	s_cbranch_vccz .LBB86_79
.LBB86_77:                              ;   in Loop: Header=BB86_8 Depth=1
	v_mov_b32_e32 v120, 0
	s_branch .LBB86_80
.LBB86_78:                              ;   in Loop: Header=BB86_8 Depth=1
	s_or_b64 exec, exec, s[14:15]
	s_and_b64 vcc, exec, s[6:7]
	s_cbranch_vccnz .LBB86_77
.LBB86_79:                              ;   in Loop: Header=BB86_8 Depth=1
	v_lshlrev_b64 v[2:3], 1, v[2:3]
	v_mov_b32_e32 v22, s41
	v_add_co_u32_e32 v2, vcc, s40, v2
	v_addc_co_u32_e32 v3, vcc, v22, v3, vcc
	global_load_ushort v2, v[2:3], off offset:64
	s_waitcnt vmcnt(0)
	v_cvt_f32_f16_e32 v2, v2
	v_mul_f32_e32 v120, v21, v2
.LBB86_80:                              ;   in Loop: Header=BB86_8 Depth=1
	v_bfi_b32 v2, s47, v70, v66
	v_bfi_b32 v3, s47, v7, v65
	v_fmac_f32_e32 v68, s19, v3
	v_fmac_f32_e32 v120, s19, v2
	v_add_f32_e32 v3, 0x40051340, v68
	v_add_f32_e32 v2, 0x40051340, v120
	v_max3_f32 v2, v94, v3, v2
	ds_bpermute_b32 v3, v115, v2
	v_cmp_nlt_f32_e64 s[14:15], |v61|, s43
                                        ; implicit-def: $vgpr66
	s_waitcnt lgkmcnt(0)
	v_max_f32_e32 v3, v3, v3
	v_max_f32_e32 v2, v2, v3
	ds_bpermute_b32 v3, v117, v2
	s_waitcnt lgkmcnt(0)
	v_max_f32_e32 v3, v3, v3
	v_max_f32_e32 v2, v2, v3
	ds_bpermute_b32 v3, v116, v2
	;; [unrolled: 4-line block ×4, first 2 shown]
	s_and_saveexec_b64 s[50:51], s[14:15]
	s_xor_b64 s[14:15], exec, s[50:51]
	s_cbranch_execz .LBB86_82
; %bb.81:                               ;   in Loop: Header=BB86_8 Depth=1
	v_add_f32_e64 v2, |v61|, |v61|
	v_mul_f32_e32 v3, 0x3fb8aa3b, v2
	v_rndne_f32_e32 v22, v3
	v_sub_f32_e32 v23, v3, v22
	v_fma_f32 v3, v2, s44, -v3
	v_fmac_f32_e32 v3, 0x32a5705f, v2
	v_add_f32_e32 v3, v23, v3
	v_cvt_i32_f32_e32 v22, v22
	v_exp_f32_e32 v3, v3
	v_cmp_ngt_f32_e32 vcc, s45, v2
	v_ldexp_f32 v3, v3, v22
	v_cndmask_b32_e32 v3, 0, v3, vcc
	v_cmp_nlt_f32_e32 vcc, s46, v2
	v_cndmask_b32_e32 v2, v87, v3, vcc
	v_add_f32_e32 v2, 1.0, v2
	v_rcp_f32_e32 v2, v2
	v_fma_f32 v66, v2, -2.0, 1.0
.LBB86_82:                              ;   in Loop: Header=BB86_8 Depth=1
	s_andn2_saveexec_b64 s[14:15], s[14:15]
; %bb.83:                               ;   in Loop: Header=BB86_8 Depth=1
	v_mul_f32_e32 v2, v61, v61
	v_mov_b32_e32 v3, 0x3ca908c9
	v_fmac_f32_e32 v3, 0xbbbac73d, v2
	v_fma_f32 v3, v2, v3, v83
	v_fma_f32 v3, v2, v3, v84
	v_fma_f32 v3, v2, v3, v85
	v_mul_f32_e64 v3, |v61|, v3
	v_fma_f32 v66, v2, v3, |v61|
; %bb.84:                               ;   in Loop: Header=BB86_8 Depth=1
	s_or_b64 exec, exec, s[14:15]
	v_add_u32_e32 v2, v4, v76
	s_and_b64 vcc, exec, s[6:7]
	v_ashrrev_i32_e32 v3, 31, v2
	s_cbranch_vccnz .LBB86_112
; %bb.85:                               ;   in Loop: Header=BB86_8 Depth=1
	v_lshlrev_b64 v[22:23], 1, v[2:3]
	v_mov_b32_e32 v24, s41
	v_add_co_u32_e32 v22, vcc, s40, v22
	v_addc_co_u32_e32 v23, vcc, v24, v23, vcc
	global_load_ushort v22, v[22:23], off
	s_waitcnt vmcnt(0)
	v_cvt_f32_f16_e32 v22, v22
	v_mul_f32_e32 v121, v21, v22
	v_cmp_nlt_f32_e64 s[14:15], |v64|, s43
                                        ; implicit-def: $vgpr70
	s_and_saveexec_b64 s[50:51], s[14:15]
	s_xor_b64 s[14:15], exec, s[50:51]
	s_cbranch_execz .LBB86_87
.LBB86_86:                              ;   in Loop: Header=BB86_8 Depth=1
	v_add_f32_e64 v22, |v64|, |v64|
	v_mul_f32_e32 v23, 0x3fb8aa3b, v22
	v_rndne_f32_e32 v24, v23
	v_sub_f32_e32 v25, v23, v24
	v_fma_f32 v23, v22, s44, -v23
	v_fmac_f32_e32 v23, 0x32a5705f, v22
	v_add_f32_e32 v23, v25, v23
	v_cvt_i32_f32_e32 v24, v24
	v_exp_f32_e32 v23, v23
	v_cmp_ngt_f32_e32 vcc, s45, v22
	v_ldexp_f32 v23, v23, v24
	v_cndmask_b32_e32 v23, 0, v23, vcc
	v_cmp_nlt_f32_e32 vcc, s46, v22
	v_cndmask_b32_e32 v22, v87, v23, vcc
	v_add_f32_e32 v22, 1.0, v22
	v_rcp_f32_e32 v22, v22
	v_fma_f32 v70, v22, -2.0, 1.0
.LBB86_87:                              ;   in Loop: Header=BB86_8 Depth=1
	s_andn2_saveexec_b64 s[14:15], s[14:15]
	s_cbranch_execz .LBB86_90
; %bb.88:                               ;   in Loop: Header=BB86_8 Depth=1
	v_mul_f32_e32 v22, v64, v64
	v_mov_b32_e32 v23, 0x3ca908c9
	v_fmac_f32_e32 v23, 0xbbbac73d, v22
	v_fma_f32 v23, v22, v23, v83
	v_fma_f32 v23, v22, v23, v84
	;; [unrolled: 1-line block ×3, first 2 shown]
	v_mul_f32_e64 v23, |v64|, v23
	v_fma_f32 v70, v22, v23, |v64|
	s_or_b64 exec, exec, s[14:15]
	s_and_b64 vcc, exec, s[6:7]
	s_cbranch_vccz .LBB86_91
.LBB86_89:                              ;   in Loop: Header=BB86_8 Depth=1
	v_mov_b32_e32 v124, 0
	s_branch .LBB86_92
.LBB86_90:                              ;   in Loop: Header=BB86_8 Depth=1
	s_or_b64 exec, exec, s[14:15]
	s_and_b64 vcc, exec, s[6:7]
	s_cbranch_vccnz .LBB86_89
.LBB86_91:                              ;   in Loop: Header=BB86_8 Depth=1
	v_lshlrev_b64 v[2:3], 1, v[2:3]
	v_mov_b32_e32 v22, s41
	v_add_co_u32_e32 v2, vcc, s40, v2
	v_addc_co_u32_e32 v3, vcc, v22, v3, vcc
	global_load_ushort v2, v[2:3], off offset:64
	s_waitcnt vmcnt(0)
	v_cvt_f32_f16_e32 v2, v2
	v_mul_f32_e32 v124, v21, v2
.LBB86_92:                              ;   in Loop: Header=BB86_8 Depth=1
	v_bfi_b32 v2, s47, v70, v64
	v_bfi_b32 v3, s47, v66, v61
	v_fmac_f32_e32 v121, s19, v3
	v_fmac_f32_e32 v124, s19, v2
	v_add_f32_e32 v3, 0x40051340, v121
	v_add_f32_e32 v2, 0x40051340, v124
	v_max3_f32 v2, v92, v3, v2
	ds_bpermute_b32 v3, v115, v2
	v_cmp_nlt_f32_e64 s[14:15], |v8|, s43
                                        ; implicit-def: $vgpr70
	s_waitcnt lgkmcnt(0)
	v_max_f32_e32 v3, v3, v3
	v_max_f32_e32 v2, v2, v3
	ds_bpermute_b32 v3, v117, v2
	s_waitcnt lgkmcnt(0)
	v_max_f32_e32 v3, v3, v3
	v_max_f32_e32 v2, v2, v3
	ds_bpermute_b32 v3, v116, v2
	;; [unrolled: 4-line block ×4, first 2 shown]
	s_and_saveexec_b64 s[50:51], s[14:15]
	s_xor_b64 s[14:15], exec, s[50:51]
	s_cbranch_execz .LBB86_94
; %bb.93:                               ;   in Loop: Header=BB86_8 Depth=1
	v_add_f32_e64 v2, |v8|, |v8|
	v_mul_f32_e32 v3, 0x3fb8aa3b, v2
	v_rndne_f32_e32 v22, v3
	v_sub_f32_e32 v23, v3, v22
	v_fma_f32 v3, v2, s44, -v3
	v_fmac_f32_e32 v3, 0x32a5705f, v2
	v_add_f32_e32 v3, v23, v3
	v_cvt_i32_f32_e32 v22, v22
	v_exp_f32_e32 v3, v3
	v_cmp_ngt_f32_e32 vcc, s45, v2
	v_ldexp_f32 v3, v3, v22
	v_cndmask_b32_e32 v3, 0, v3, vcc
	v_cmp_nlt_f32_e32 vcc, s46, v2
	v_cndmask_b32_e32 v2, v87, v3, vcc
	v_add_f32_e32 v2, 1.0, v2
	v_rcp_f32_e32 v2, v2
	v_fma_f32 v70, v2, -2.0, 1.0
.LBB86_94:                              ;   in Loop: Header=BB86_8 Depth=1
	s_andn2_saveexec_b64 s[14:15], s[14:15]
; %bb.95:                               ;   in Loop: Header=BB86_8 Depth=1
	v_mul_f32_e32 v2, v8, v8
	v_mov_b32_e32 v3, 0x3ca908c9
	v_fmac_f32_e32 v3, 0xbbbac73d, v2
	v_fma_f32 v3, v2, v3, v83
	v_fma_f32 v3, v2, v3, v84
	;; [unrolled: 1-line block ×3, first 2 shown]
	v_mul_f32_e64 v3, |v8|, v3
	v_fma_f32 v70, v2, v3, |v8|
; %bb.96:                               ;   in Loop: Header=BB86_8 Depth=1
	s_or_b64 exec, exec, s[14:15]
	v_add_u32_e32 v2, v4, v77
	s_and_b64 vcc, exec, s[6:7]
	v_ashrrev_i32_e32 v3, 31, v2
	s_cbranch_vccnz .LBB86_113
; %bb.97:                               ;   in Loop: Header=BB86_8 Depth=1
	v_lshlrev_b64 v[22:23], 1, v[2:3]
	v_mov_b32_e32 v4, s41
	v_add_co_u32_e32 v22, vcc, s40, v22
	v_addc_co_u32_e32 v23, vcc, v4, v23, vcc
	global_load_ushort v4, v[22:23], off
	s_waitcnt vmcnt(0)
	v_cvt_f32_f16_e32 v4, v4
	v_mul_f32_e32 v61, v21, v4
	v_cmp_nlt_f32_e64 s[14:15], |v9|, s43
                                        ; implicit-def: $vgpr4
	s_and_saveexec_b64 s[50:51], s[14:15]
	s_xor_b64 s[14:15], exec, s[50:51]
	s_cbranch_execz .LBB86_99
.LBB86_98:                              ;   in Loop: Header=BB86_8 Depth=1
	v_add_f32_e64 v4, |v9|, |v9|
	v_mul_f32_e32 v22, 0x3fb8aa3b, v4
	v_rndne_f32_e32 v23, v22
	v_sub_f32_e32 v24, v22, v23
	v_fma_f32 v22, v4, s44, -v22
	v_fmac_f32_e32 v22, 0x32a5705f, v4
	v_add_f32_e32 v22, v24, v22
	v_cvt_i32_f32_e32 v23, v23
	v_exp_f32_e32 v22, v22
	v_cmp_ngt_f32_e32 vcc, s45, v4
	v_ldexp_f32 v22, v22, v23
	v_cndmask_b32_e32 v22, 0, v22, vcc
	v_cmp_nlt_f32_e32 vcc, s46, v4
	v_cndmask_b32_e32 v4, v87, v22, vcc
	v_add_f32_e32 v4, 1.0, v4
	v_rcp_f32_e32 v4, v4
	v_fma_f32 v4, v4, -2.0, 1.0
.LBB86_99:                              ;   in Loop: Header=BB86_8 Depth=1
	s_andn2_saveexec_b64 s[14:15], s[14:15]
	s_cbranch_execz .LBB86_102
; %bb.100:                              ;   in Loop: Header=BB86_8 Depth=1
	v_mul_f32_e32 v4, v9, v9
	v_mov_b32_e32 v22, 0x3ca908c9
	v_fmac_f32_e32 v22, 0xbbbac73d, v4
	v_fma_f32 v22, v4, v22, v83
	v_fma_f32 v22, v4, v22, v84
	;; [unrolled: 1-line block ×3, first 2 shown]
	v_mul_f32_e64 v22, |v9|, v22
	v_fma_f32 v4, v4, v22, |v9|
	s_or_b64 exec, exec, s[14:15]
	s_and_b64 vcc, exec, s[6:7]
	s_cbranch_vccz .LBB86_103
.LBB86_101:                             ;   in Loop: Header=BB86_8 Depth=1
	v_mov_b32_e32 v125, 0
	s_branch .LBB86_104
.LBB86_102:                             ;   in Loop: Header=BB86_8 Depth=1
	s_or_b64 exec, exec, s[14:15]
	s_and_b64 vcc, exec, s[6:7]
	s_cbranch_vccnz .LBB86_101
.LBB86_103:                             ;   in Loop: Header=BB86_8 Depth=1
	v_lshlrev_b64 v[2:3], 1, v[2:3]
	v_mov_b32_e32 v22, s41
	v_add_co_u32_e32 v2, vcc, s40, v2
	v_addc_co_u32_e32 v3, vcc, v22, v3, vcc
	global_load_ushort v2, v[2:3], off offset:64
	s_waitcnt vmcnt(0)
	v_cvt_f32_f16_e32 v2, v2
	v_mul_f32_e32 v125, v21, v2
.LBB86_104:                             ;   in Loop: Header=BB86_8 Depth=1
	v_bfi_b32 v2, s47, v70, v8
	v_fmac_f32_e32 v61, s19, v2
	s_waitcnt lgkmcnt(0)
	v_max_f32_e32 v2, v66, v66
	v_max_f32_e32 v3, v64, v64
	;; [unrolled: 1-line block ×8, first 2 shown]
	v_bfi_b32 v9, s47, v4, v9
	v_max_f32_e32 v6, v3, v2
	v_max_f32_e32 v2, v69, v69
	v_max_f32_e32 v3, v5, v5
	v_max_f32_e32 v5, v3, v2
	v_max_f32_e32 v2, v20, v20
	v_max_f32_e32 v3, v19, v19
	v_fmac_f32_e32 v125, s19, v9
	v_add_f32_e32 v22, 0x40051340, v61
	v_max_f32_e32 v4, v3, v2
	v_max_f32_e32 v2, v127, v127
	;; [unrolled: 1-line block ×3, first 2 shown]
	v_add_f32_e32 v9, 0x40051340, v125
	v_max_f32_e32 v3, v3, v2
	v_max_f32_e32 v2, v123, v123
	v_max_f32_e32 v19, v122, v122
	v_max3_f32 v9, v90, v22, v9
	v_max_f32_e32 v2, v19, v2
	ds_bpermute_b32 v19, v115, v9
	v_sub_f32_e32 v20, v111, v2
	v_mul_f32_e32 v22, 0x3fb8aa3b, v20
	v_fma_f32 v23, v20, s44, -v22
	v_rndne_f32_e32 v24, v22
	s_waitcnt lgkmcnt(0)
	v_max_f32_e32 v19, v19, v19
	v_max_f32_e32 v9, v9, v19
	ds_bpermute_b32 v19, v117, v9
	v_fmac_f32_e32 v23, 0x32a5705f, v20
	v_sub_f32_e32 v22, v22, v24
	v_add_f32_e32 v22, v22, v23
	v_exp_f32_e32 v22, v22
	s_waitcnt lgkmcnt(0)
	v_max_f32_e32 v19, v19, v19
	v_max_f32_e32 v9, v9, v19
	ds_bpermute_b32 v19, v116, v9
	v_cvt_i32_f32_e32 v23, v24
	v_cmp_ngt_f32_e32 vcc, s45, v20
	s_mul_hi_i32 s7, s16, s8
	s_mul_i32 s6, s16, s8
	s_waitcnt lgkmcnt(0)
	v_max_f32_e32 v19, v19, v19
	v_max_f32_e32 v9, v9, v19
	ds_bpermute_b32 v19, v114, v9
	v_ldexp_f32 v22, v22, v23
	v_cndmask_b32_e32 v22, 0, v22, vcc
	v_cmp_nlt_f32_e32 vcc, s46, v20
	v_cndmask_b32_e32 v20, v87, v22, vcc
	v_sub_f32_e32 v22, v112, v2
	v_mul_f32_e32 v23, 0x3fb8aa3b, v22
	v_fma_f32 v24, v22, s44, -v23
	v_rndne_f32_e32 v25, v23
	s_waitcnt lgkmcnt(0)
	v_max_f32_e32 v19, v19, v19
	v_fmac_f32_e32 v24, 0x32a5705f, v22
	v_sub_f32_e32 v23, v23, v25
	v_max_f32_e32 v9, v9, v19
	v_add_f32_e32 v23, v23, v24
	ds_bpermute_b32 v19, v113, v9
	v_exp_f32_e32 v23, v23
	v_cvt_i32_f32_e32 v24, v25
	v_cmp_ngt_f32_e32 vcc, s45, v22
	s_waitcnt lgkmcnt(0)
	v_max_f32_e32 v19, v19, v19
	v_ldexp_f32 v23, v23, v24
	v_cndmask_b32_e32 v23, 0, v23, vcc
	v_cmp_nlt_f32_e32 vcc, s46, v22
	v_max_f32_e32 v9, v9, v19
	v_sub_f32_e32 v19, v104, v2
	v_cndmask_b32_e32 v22, v87, v23, vcc
	v_cvt_f16_f32_e32 v104, v20
	v_add_f32_e32 v66, v20, v22
	v_mul_f32_e32 v20, 0x3fb8aa3b, v19
	v_cvt_f16_f32_e32 v111, v22
	v_fma_f32 v22, v19, s44, -v20
	v_rndne_f32_e32 v23, v20
	v_fmac_f32_e32 v22, 0x32a5705f, v19
	v_sub_f32_e32 v20, v20, v23
	v_add_f32_e32 v20, v20, v22
	v_exp_f32_e32 v20, v20
	v_cvt_i32_f32_e32 v22, v23
	v_cmp_ngt_f32_e32 vcc, s45, v19
	s_barrier
	v_ldexp_f32 v20, v20, v22
	v_cndmask_b32_e32 v20, 0, v20, vcc
	v_cmp_nlt_f32_e32 vcc, s46, v19
	v_cndmask_b32_e32 v19, v87, v20, vcc
	v_sub_f32_e32 v20, v109, v3
	v_mul_f32_e32 v22, 0x3fb8aa3b, v20
	v_fma_f32 v23, v20, s44, -v22
	v_rndne_f32_e32 v24, v22
	v_fmac_f32_e32 v23, 0x32a5705f, v20
	v_sub_f32_e32 v22, v22, v24
	v_add_f32_e32 v22, v22, v23
	v_exp_f32_e32 v22, v22
	v_cvt_i32_f32_e32 v23, v24
	v_cmp_ngt_f32_e32 vcc, s45, v20
	v_fmac_f32_e32 v66, v101, v19
	v_cvt_f16_f32_e32 v19, v19
	v_ldexp_f32 v22, v22, v23
	v_cndmask_b32_e32 v22, 0, v22, vcc
	v_cmp_nlt_f32_e32 vcc, s46, v20
	v_cndmask_b32_e32 v20, v87, v22, vcc
	v_sub_f32_e32 v22, v110, v3
	v_mul_f32_e32 v23, 0x3fb8aa3b, v22
	v_fma_f32 v24, v22, s44, -v23
	v_rndne_f32_e32 v25, v23
	v_fmac_f32_e32 v24, 0x32a5705f, v22
	v_sub_f32_e32 v23, v23, v25
	v_add_f32_e32 v23, v23, v24
	v_exp_f32_e32 v23, v23
	v_cvt_i32_f32_e32 v24, v25
	v_cmp_ngt_f32_e32 vcc, s45, v22
	v_mul_u32_u24_e32 v19, 0x10001, v19
	v_pk_mul_f16 v101, v71, v19
	v_ldexp_f32 v23, v23, v24
	v_cndmask_b32_e32 v23, 0, v23, vcc
	v_cmp_nlt_f32_e32 vcc, s46, v22
	v_pk_mul_f16 v71, v72, v19
	v_sub_f32_e32 v19, v103, v3
	v_cndmask_b32_e32 v22, v87, v23, vcc
	v_cvt_f16_f32_e32 v103, v20
	v_add_f32_e32 v67, v20, v22
	v_mul_f32_e32 v20, 0x3fb8aa3b, v19
	v_cvt_f16_f32_e32 v109, v22
	v_fma_f32 v22, v19, s44, -v20
	v_rndne_f32_e32 v23, v20
	v_fmac_f32_e32 v22, 0x32a5705f, v19
	v_sub_f32_e32 v20, v20, v23
	v_add_f32_e32 v20, v20, v22
	v_exp_f32_e32 v20, v20
	v_cvt_i32_f32_e32 v22, v23
	v_cmp_ngt_f32_e32 vcc, s45, v19
	s_lshl_b64 s[6:7], s[6:7], 2
	v_ldexp_f32 v20, v20, v22
	v_cndmask_b32_e32 v20, 0, v20, vcc
	v_cmp_nlt_f32_e32 vcc, s46, v19
	v_cndmask_b32_e32 v19, v87, v20, vcc
	v_sub_f32_e32 v20, v107, v4
	v_mul_f32_e32 v22, 0x3fb8aa3b, v20
	v_fma_f32 v23, v20, s44, -v22
	v_rndne_f32_e32 v24, v22
	v_fmac_f32_e32 v23, 0x32a5705f, v20
	v_sub_f32_e32 v22, v22, v24
	v_add_f32_e32 v22, v22, v23
	v_exp_f32_e32 v22, v22
	v_cvt_i32_f32_e32 v23, v24
	v_cmp_ngt_f32_e32 vcc, s45, v20
	v_fmac_f32_e32 v67, v102, v19
	v_cvt_f16_f32_e32 v19, v19
	v_ldexp_f32 v22, v22, v23
	v_cndmask_b32_e32 v22, 0, v22, vcc
	v_cmp_nlt_f32_e32 vcc, s46, v20
	v_cndmask_b32_e32 v20, v87, v22, vcc
	v_sub_f32_e32 v22, v108, v4
	v_mul_f32_e32 v23, 0x3fb8aa3b, v22
	v_fma_f32 v24, v22, s44, -v23
	v_rndne_f32_e32 v25, v23
	v_fmac_f32_e32 v24, 0x32a5705f, v22
	v_sub_f32_e32 v23, v23, v25
	v_add_f32_e32 v23, v23, v24
	v_exp_f32_e32 v23, v23
	v_cvt_i32_f32_e32 v24, v25
	v_cmp_ngt_f32_e32 vcc, s45, v22
	v_mul_u32_u24_e32 v19, 0x10001, v19
	v_pk_mul_f16 v72, v62, v19
	v_ldexp_f32 v23, v23, v24
	v_cndmask_b32_e32 v23, 0, v23, vcc
	v_cmp_nlt_f32_e32 vcc, s46, v22
	v_pk_mul_f16 v62, v63, v19
	v_sub_f32_e32 v19, v100, v4
	v_cndmask_b32_e32 v22, v87, v23, vcc
	v_cvt_f16_f32_e32 v100, v20
	v_add_f32_e32 v69, v20, v22
	v_mul_f32_e32 v20, 0x3fb8aa3b, v19
	v_cvt_f16_f32_e32 v102, v22
	v_fma_f32 v22, v19, s44, -v20
	v_rndne_f32_e32 v23, v20
	v_fmac_f32_e32 v22, 0x32a5705f, v19
	v_sub_f32_e32 v20, v20, v23
	v_add_f32_e32 v20, v20, v22
	v_exp_f32_e32 v20, v20
	v_cvt_i32_f32_e32 v22, v23
	v_cmp_ngt_f32_e32 vcc, s45, v19
	v_ldexp_f32 v20, v20, v22
	v_cndmask_b32_e32 v20, 0, v20, vcc
	v_cmp_nlt_f32_e32 vcc, s46, v19
	v_cndmask_b32_e32 v19, v87, v20, vcc
	v_sub_f32_e32 v20, v105, v5
	v_mul_f32_e32 v22, 0x3fb8aa3b, v20
	v_fma_f32 v23, v20, s44, -v22
	v_rndne_f32_e32 v24, v22
	v_fmac_f32_e32 v23, 0x32a5705f, v20
	v_sub_f32_e32 v22, v22, v24
	v_add_f32_e32 v22, v22, v23
	v_exp_f32_e32 v22, v22
	v_cvt_i32_f32_e32 v23, v24
	v_cmp_ngt_f32_e32 vcc, s45, v20
	v_fmac_f32_e32 v69, v99, v19
	v_cvt_f16_f32_e32 v19, v19
	v_ldexp_f32 v22, v22, v23
	v_cndmask_b32_e32 v22, 0, v22, vcc
	v_cmp_nlt_f32_e32 vcc, s46, v20
	v_cndmask_b32_e32 v20, v87, v22, vcc
	v_sub_f32_e32 v22, v106, v5
	v_mul_f32_e32 v23, 0x3fb8aa3b, v22
	v_fma_f32 v24, v22, s44, -v23
	v_rndne_f32_e32 v25, v23
	v_fmac_f32_e32 v24, 0x32a5705f, v22
	v_sub_f32_e32 v23, v23, v25
	v_add_f32_e32 v23, v23, v24
	v_exp_f32_e32 v23, v23
	v_cvt_i32_f32_e32 v24, v25
	v_cmp_ngt_f32_e32 vcc, s45, v22
	v_mul_u32_u24_e32 v19, 0x10001, v19
	v_pk_mul_f16 v63, v59, v19
	v_ldexp_f32 v23, v23, v24
	v_cndmask_b32_e32 v23, 0, v23, vcc
	v_cmp_nlt_f32_e32 vcc, s46, v22
	v_pk_mul_f16 v59, v60, v19
	v_sub_f32_e32 v19, v98, v5
	v_cndmask_b32_e32 v22, v87, v23, vcc
	v_cvt_f16_f32_e32 v98, v20
	v_add_f32_e32 v70, v20, v22
	v_mul_f32_e32 v20, 0x3fb8aa3b, v19
	v_cvt_f16_f32_e32 v99, v22
	v_fma_f32 v22, v19, s44, -v20
	v_rndne_f32_e32 v23, v20
	v_fmac_f32_e32 v22, 0x32a5705f, v19
	v_sub_f32_e32 v20, v20, v23
	v_add_f32_e32 v20, v20, v22
	v_exp_f32_e32 v20, v20
	v_cvt_i32_f32_e32 v22, v23
	v_cmp_ngt_f32_e32 vcc, s45, v19
	v_ldexp_f32 v20, v20, v22
	v_cndmask_b32_e32 v20, 0, v20, vcc
	v_cmp_nlt_f32_e32 vcc, s46, v19
	v_cndmask_b32_e32 v19, v87, v20, vcc
	v_sub_f32_e32 v20, v118, v6
	v_mul_f32_e32 v22, 0x3fb8aa3b, v20
	v_fma_f32 v23, v20, s44, -v22
	v_rndne_f32_e32 v24, v22
	v_fmac_f32_e32 v23, 0x32a5705f, v20
	v_sub_f32_e32 v22, v22, v24
	v_add_f32_e32 v22, v22, v23
	v_exp_f32_e32 v22, v22
	v_cvt_i32_f32_e32 v23, v24
	v_cmp_ngt_f32_e32 vcc, s45, v20
	v_fmac_f32_e32 v70, v97, v19
	v_cvt_f16_f32_e32 v19, v19
	v_ldexp_f32 v22, v22, v23
	v_cndmask_b32_e32 v22, 0, v22, vcc
	v_cmp_nlt_f32_e32 vcc, s46, v20
	v_cndmask_b32_e32 v20, v87, v22, vcc
	v_sub_f32_e32 v22, v119, v6
	v_mul_f32_e32 v23, 0x3fb8aa3b, v22
	v_fma_f32 v24, v22, s44, -v23
	v_rndne_f32_e32 v25, v23
	v_fmac_f32_e32 v24, 0x32a5705f, v22
	v_sub_f32_e32 v23, v23, v25
	v_add_f32_e32 v23, v23, v24
	v_exp_f32_e32 v23, v23
	v_cvt_i32_f32_e32 v24, v25
	v_cmp_ngt_f32_e32 vcc, s45, v22
	v_mul_u32_u24_e32 v19, 0x10001, v19
	v_pk_mul_f16 v60, v57, v19
	v_ldexp_f32 v23, v23, v24
	v_cndmask_b32_e32 v23, 0, v23, vcc
	v_cmp_nlt_f32_e32 vcc, s46, v22
	v_pk_mul_f16 v57, v58, v19
	v_sub_f32_e32 v19, v96, v6
	v_cndmask_b32_e32 v22, v87, v23, vcc
	v_cvt_f16_f32_e32 v58, v20
	v_add_f32_e32 v64, v20, v22
	v_mul_f32_e32 v20, 0x3fb8aa3b, v19
	v_cvt_f16_f32_e32 v96, v22
	v_fma_f32 v22, v19, s44, -v20
	v_rndne_f32_e32 v23, v20
	v_fmac_f32_e32 v22, 0x32a5705f, v19
	v_sub_f32_e32 v20, v20, v23
	v_add_f32_e32 v20, v20, v22
	v_cvt_i32_f32_e32 v22, v23
	v_sub_f32_e32 v23, v68, v7
	v_mul_f32_e32 v24, 0x3fb8aa3b, v23
	v_fma_f32 v25, v23, s44, -v24
	v_rndne_f32_e32 v26, v24
	v_fmac_f32_e32 v25, 0x32a5705f, v23
	v_sub_f32_e32 v24, v24, v26
	v_add_f32_e32 v24, v24, v25
	v_exp_f32_e32 v24, v24
	v_cvt_i32_f32_e32 v25, v26
	v_exp_f32_e32 v20, v20
	v_cmp_ngt_f32_e32 vcc, s45, v19
	v_ldexp_f32 v24, v24, v25
	v_sub_f32_e32 v25, v120, v7
	v_mul_f32_e32 v26, 0x3fb8aa3b, v25
	v_fma_f32 v27, v25, s44, -v26
	v_rndne_f32_e32 v28, v26
	v_fmac_f32_e32 v27, 0x32a5705f, v25
	v_sub_f32_e32 v26, v26, v28
	v_add_f32_e32 v26, v26, v27
	v_ldexp_f32 v20, v20, v22
	v_exp_f32_e32 v26, v26
	v_cvt_i32_f32_e32 v27, v28
	v_cndmask_b32_e32 v20, 0, v20, vcc
	v_cmp_nlt_f32_e32 vcc, s46, v19
	v_cndmask_b32_e32 v19, v87, v20, vcc
	v_cmp_ngt_f32_e32 vcc, s45, v23
	v_cndmask_b32_e32 v24, 0, v24, vcc
	v_cmp_nlt_f32_e32 vcc, s46, v23
	v_cndmask_b32_e32 v23, v87, v24, vcc
	v_ldexp_f32 v26, v26, v27
	v_cmp_ngt_f32_e32 vcc, s45, v25
	v_cndmask_b32_e32 v26, 0, v26, vcc
	v_cmp_nlt_f32_e32 vcc, s46, v25
	v_sub_f32_e32 v22, v94, v7
	v_cndmask_b32_e32 v25, v87, v26, vcc
	v_cvt_f16_f32_e32 v24, v23
	v_add_f32_e32 v65, v23, v25
	v_mul_f32_e32 v23, 0x3fb8aa3b, v22
	v_cvt_f16_f32_e32 v26, v25
	v_fma_f32 v25, v22, s44, -v23
	v_rndne_f32_e32 v27, v23
	v_fmac_f32_e32 v25, 0x32a5705f, v22
	v_sub_f32_e32 v23, v23, v27
	v_add_f32_e32 v23, v23, v25
	v_exp_f32_e32 v23, v23
	v_cvt_i32_f32_e32 v25, v27
	v_cmp_ngt_f32_e32 vcc, s45, v22
	v_fmac_f32_e32 v64, v95, v19
	v_cvt_f16_f32_e32 v19, v19
	v_ldexp_f32 v23, v23, v25
	v_cndmask_b32_e32 v23, 0, v23, vcc
	v_cmp_nlt_f32_e32 vcc, s46, v22
	v_cndmask_b32_e32 v22, v87, v23, vcc
	v_sub_f32_e32 v23, v121, v8
	v_mul_f32_e32 v25, 0x3fb8aa3b, v23
	v_fma_f32 v27, v23, s44, -v25
	v_rndne_f32_e32 v28, v25
	v_fmac_f32_e32 v27, 0x32a5705f, v23
	v_sub_f32_e32 v25, v25, v28
	v_add_f32_e32 v25, v25, v27
	v_exp_f32_e32 v25, v25
	v_cvt_i32_f32_e32 v27, v28
	v_fmac_f32_e32 v65, v93, v22
	v_cvt_f16_f32_e32 v22, v22
	v_cmp_ngt_f32_e32 vcc, s45, v23
	v_ldexp_f32 v25, v25, v27
	v_sub_f32_e32 v27, v124, v8
	v_mul_f32_e32 v28, 0x3fb8aa3b, v27
	v_fma_f32 v29, v27, s44, -v28
	v_rndne_f32_e32 v30, v28
	v_fmac_f32_e32 v29, 0x32a5705f, v27
	v_sub_f32_e32 v28, v28, v30
	v_add_f32_e32 v28, v28, v29
	v_exp_f32_e32 v28, v28
	v_cvt_i32_f32_e32 v29, v30
	v_cndmask_b32_e32 v25, 0, v25, vcc
	v_cmp_nlt_f32_e32 vcc, s46, v23
	v_cndmask_b32_e32 v23, v87, v25, vcc
	v_ldexp_f32 v28, v28, v29
	v_cmp_ngt_f32_e32 vcc, s45, v27
	v_mul_u32_u24_e32 v19, 0x10001, v19
	v_mul_u32_u24_e32 v22, 0x10001, v22
	v_cndmask_b32_e32 v28, 0, v28, vcc
	v_cmp_nlt_f32_e32 vcc, s46, v27
	v_pk_mul_f16 v20, v55, v19
	v_pk_mul_f16 v55, v53, v22
	;; [unrolled: 1-line block ×3, first 2 shown]
	v_sub_f32_e32 v22, v92, v8
	v_cndmask_b32_e32 v27, v87, v28, vcc
	v_cvt_f16_f32_e32 v25, v23
	v_add_f32_e32 v68, v23, v27
	v_mul_f32_e32 v23, 0x3fb8aa3b, v22
	v_fma_f32 v28, v22, s44, -v23
	v_rndne_f32_e32 v29, v23
	v_fmac_f32_e32 v28, 0x32a5705f, v22
	v_sub_f32_e32 v23, v23, v29
	v_add_f32_e32 v23, v23, v28
	v_exp_f32_e32 v23, v23
	v_cvt_i32_f32_e32 v28, v29
	v_cmp_ngt_f32_e32 vcc, s45, v22
	v_cvt_f16_f32_e32 v27, v27
	v_pack_b32_f16 v24, v58, v24
	v_ldexp_f32 v23, v23, v28
	v_cndmask_b32_e32 v23, 0, v23, vcc
	v_cmp_nlt_f32_e32 vcc, s46, v22
	v_cndmask_b32_e32 v22, v87, v23, vcc
	v_sub_f32_e32 v23, v61, v9
	v_mul_f32_e32 v28, 0x3fb8aa3b, v23
	v_fma_f32 v29, v23, s44, -v28
	v_rndne_f32_e32 v30, v28
	v_fmac_f32_e32 v29, 0x32a5705f, v23
	v_sub_f32_e32 v28, v28, v30
	v_add_f32_e32 v28, v28, v29
	v_exp_f32_e32 v28, v28
	v_cvt_i32_f32_e32 v29, v30
	v_fmac_f32_e32 v68, v91, v22
	v_cvt_f16_f32_e32 v22, v22
	v_cmp_ngt_f32_e32 vcc, s45, v23
	v_ldexp_f32 v28, v28, v29
	v_sub_f32_e32 v29, v125, v9
	v_mul_f32_e32 v30, 0x3fb8aa3b, v29
	v_fma_f32 v31, v29, s44, -v30
	v_rndne_f32_e32 v32, v30
	v_fmac_f32_e32 v31, 0x32a5705f, v29
	v_sub_f32_e32 v30, v30, v32
	v_add_f32_e32 v30, v30, v31
	v_exp_f32_e32 v30, v30
	v_cvt_i32_f32_e32 v31, v32
	v_cndmask_b32_e32 v28, 0, v28, vcc
	v_cmp_nlt_f32_e32 vcc, s46, v23
	v_cndmask_b32_e32 v23, v87, v28, vcc
	v_ldexp_f32 v30, v30, v31
	v_cmp_ngt_f32_e32 vcc, s45, v29
	v_mul_u32_u24_e32 v22, 0x10001, v22
	v_cndmask_b32_e32 v30, 0, v30, vcc
	v_cmp_nlt_f32_e32 vcc, s46, v29
	v_pk_mul_f16 v54, v51, v22
	v_pk_mul_f16 v51, v52, v22
	v_sub_f32_e32 v22, v90, v9
	v_cndmask_b32_e32 v29, v87, v30, vcc
	v_cvt_f16_f32_e32 v28, v23
	v_add_f32_e32 v61, v23, v29
	v_mul_f32_e32 v23, 0x3fb8aa3b, v22
	v_fma_f32 v30, v22, s44, -v23
	v_rndne_f32_e32 v31, v23
	v_fmac_f32_e32 v30, 0x32a5705f, v22
	v_sub_f32_e32 v23, v23, v31
	v_add_f32_e32 v23, v23, v30
	v_exp_f32_e32 v23, v23
	v_cvt_i32_f32_e32 v30, v31
	v_cmp_ngt_f32_e32 vcc, s45, v22
	v_cvt_f16_f32_e32 v29, v29
	v_pack_b32_f16 v25, v25, v28
	v_ldexp_f32 v23, v23, v30
	v_cndmask_b32_e32 v23, 0, v23, vcc
	v_cmp_nlt_f32_e32 vcc, s46, v22
	v_cndmask_b32_e32 v22, v87, v23, vcc
	v_fmac_f32_e32 v61, v89, v22
	v_cvt_f16_f32_e32 v22, v22
	v_pack_b32_f16 v23, v100, v98
	v_pk_mul_f16 v19, v56, v19
	v_mul_u32_u24_e32 v22, 0x10001, v22
	v_pk_mul_f16 v50, v50, v22
	v_pk_mul_f16 v49, v49, v22
	v_pack_b32_f16 v22, v104, v103
	ds_write_b128 v86, v[22:25]
	v_pack_b32_f16 v25, v27, v29
	v_pack_b32_f16 v24, v96, v26
	;; [unrolled: 1-line block ×4, first 2 shown]
	ds_write_b128 v86, v[22:25] offset:512
	v_add_co_u32_e32 v22, vcc, s6, v80
	v_mov_b32_e32 v23, s7
	v_addc_co_u32_e32 v23, vcc, v81, v23, vcc
	global_load_dwordx4 v[22:25], v[22:23], off
	s_or_b32 s6, s16, 16
	s_mul_hi_i32 s7, s6, s8
	s_mul_i32 s6, s6, s8
	s_lshl_b64 s[6:7], s[6:7], 2
	s_waitcnt vmcnt(0)
	ds_write_b128 v79, v[22:25]
	s_waitcnt lgkmcnt(0)
	s_barrier
	ds_read2_b64 v[22:25], v82 offset1:32
	ds_read_b128 v[26:29], v78
	ds_read_b128 v[30:33], v78 offset:16
	ds_read_b128 v[34:37], v78 offset:32
	;; [unrolled: 1-line block ×3, first 2 shown]
	s_waitcnt lgkmcnt(3)
	v_mul_u32_u24_sdwa v52, v26, s48 dst_sel:DWORD dst_unused:UNUSED_PAD src0_sel:WORD_0 src1_sel:DWORD
	v_mul_u32_u24_sdwa v26, v26, s48 dst_sel:DWORD dst_unused:UNUSED_PAD src0_sel:WORD_1 src1_sel:DWORD
	v_mul_u32_u24_sdwa v56, v27, s48 dst_sel:DWORD dst_unused:UNUSED_PAD src0_sel:WORD_0 src1_sel:DWORD
	v_mul_u32_u24_sdwa v27, v27, s48 dst_sel:DWORD dst_unused:UNUSED_PAD src0_sel:WORD_1 src1_sel:DWORD
	;; [unrolled: 2-line block ×4, first 2 shown]
	v_pk_fma_f16 v90, v22, v52, v101
	v_pk_fma_f16 v72, v22, v26, v72
	;; [unrolled: 1-line block ×16, first 2 shown]
	s_waitcnt lgkmcnt(2)
	v_mul_u32_u24_sdwa v29, v30, s48 dst_sel:DWORD dst_unused:UNUSED_PAD src0_sel:WORD_0 src1_sel:DWORD
	v_mul_u32_u24_sdwa v30, v30, s48 dst_sel:DWORD dst_unused:UNUSED_PAD src0_sel:WORD_1 src1_sel:DWORD
	v_mul_u32_u24_sdwa v49, v31, s48 dst_sel:DWORD dst_unused:UNUSED_PAD src0_sel:WORD_0 src1_sel:DWORD
	v_mul_u32_u24_sdwa v31, v31, s48 dst_sel:DWORD dst_unused:UNUSED_PAD src0_sel:WORD_1 src1_sel:DWORD
	v_mul_u32_u24_sdwa v53, v32, s48 dst_sel:DWORD dst_unused:UNUSED_PAD src0_sel:WORD_0 src1_sel:DWORD
	v_mul_u32_u24_sdwa v32, v32, s48 dst_sel:DWORD dst_unused:UNUSED_PAD src0_sel:WORD_1 src1_sel:DWORD
	v_mul_u32_u24_sdwa v56, v33, s48 dst_sel:DWORD dst_unused:UNUSED_PAD src0_sel:WORD_0 src1_sel:DWORD
	v_mul_u32_u24_sdwa v33, v33, s48 dst_sel:DWORD dst_unused:UNUSED_PAD src0_sel:WORD_1 src1_sel:DWORD
	v_pk_fma_f16 v57, v24, v29, v90
	v_pk_fma_f16 v58, v24, v30, v72
	;; [unrolled: 1-line block ×16, first 2 shown]
	ds_read2_b64 v[22:25], v82 offset0:64 offset1:96
	s_waitcnt lgkmcnt(2)
	v_mul_u32_u24_sdwa v33, v34, s48 dst_sel:DWORD dst_unused:UNUSED_PAD src0_sel:WORD_0 src1_sel:DWORD
	v_mul_u32_u24_sdwa v34, v34, s48 dst_sel:DWORD dst_unused:UNUSED_PAD src0_sel:WORD_1 src1_sel:DWORD
	v_mul_u32_u24_sdwa v49, v35, s48 dst_sel:DWORD dst_unused:UNUSED_PAD src0_sel:WORD_0 src1_sel:DWORD
	v_mul_u32_u24_sdwa v35, v35, s48 dst_sel:DWORD dst_unused:UNUSED_PAD src0_sel:WORD_1 src1_sel:DWORD
	;; [unrolled: 2-line block ×4, first 2 shown]
	s_waitcnt lgkmcnt(0)
	v_pk_fma_f16 v52, v22, v33, v57
	v_pk_fma_f16 v53, v22, v34, v58
	v_pk_fma_f16 v56, v22, v49, v59
	v_pk_fma_f16 v57, v22, v35, v60
	v_pk_fma_f16 v20, v22, v50, v20
	v_pk_fma_f16 v55, v22, v36, v55
	v_pk_fma_f16 v54, v22, v51, v54
	v_pk_fma_f16 v22, v22, v37, v62
	v_pk_fma_f16 v29, v23, v33, v29
	v_pk_fma_f16 v26, v23, v34, v26
	v_pk_fma_f16 v30, v23, v49, v30
	v_pk_fma_f16 v27, v23, v35, v27
	v_pk_fma_f16 v19, v23, v50, v19
	v_pk_fma_f16 v28, v23, v36, v28
	v_pk_fma_f16 v31, v23, v51, v31
	v_pk_fma_f16 v23, v23, v37, v32
	v_mul_u32_u24_sdwa v32, v42, s48 dst_sel:DWORD dst_unused:UNUSED_PAD src0_sel:WORD_0 src1_sel:DWORD
	v_mul_u32_u24_sdwa v33, v42, s48 dst_sel:DWORD dst_unused:UNUSED_PAD src0_sel:WORD_1 src1_sel:DWORD
	v_mul_u32_u24_sdwa v34, v43, s48 dst_sel:DWORD dst_unused:UNUSED_PAD src0_sel:WORD_0 src1_sel:DWORD
	v_mul_u32_u24_sdwa v35, v43, s48 dst_sel:DWORD dst_unused:UNUSED_PAD src0_sel:WORD_1 src1_sel:DWORD
	;; [unrolled: 2-line block ×4, first 2 shown]
	v_pk_fma_f16 v44, v24, v32, v52
	v_pk_fma_f16 v45, v24, v33, v53
	;; [unrolled: 1-line block ×16, first 2 shown]
	ds_read2_b64 v[22:25], v82 offset0:128 offset1:160
	ds_read_b128 v[26:29], v78 offset:64
	s_waitcnt lgkmcnt(0)
	v_mul_u32_u24_sdwa v37, v26, s48 dst_sel:DWORD dst_unused:UNUSED_PAD src0_sel:WORD_0 src1_sel:DWORD
	v_mul_u32_u24_sdwa v26, v26, s48 dst_sel:DWORD dst_unused:UNUSED_PAD src0_sel:WORD_1 src1_sel:DWORD
	v_mul_u32_u24_sdwa v42, v27, s48 dst_sel:DWORD dst_unused:UNUSED_PAD src0_sel:WORD_0 src1_sel:DWORD
	v_mul_u32_u24_sdwa v27, v27, s48 dst_sel:DWORD dst_unused:UNUSED_PAD src0_sel:WORD_1 src1_sel:DWORD
	;; [unrolled: 2-line block ×4, first 2 shown]
	v_pk_fma_f16 v44, v22, v37, v44
	v_pk_fma_f16 v45, v22, v26, v45
	;; [unrolled: 1-line block ×16, first 2 shown]
	ds_read_b128 v[26:29], v78 offset:80
	s_waitcnt lgkmcnt(0)
	v_mul_u32_u24_sdwa v36, v26, s48 dst_sel:DWORD dst_unused:UNUSED_PAD src0_sel:WORD_0 src1_sel:DWORD
	v_mul_u32_u24_sdwa v26, v26, s48 dst_sel:DWORD dst_unused:UNUSED_PAD src0_sel:WORD_1 src1_sel:DWORD
	v_mul_u32_u24_sdwa v37, v27, s48 dst_sel:DWORD dst_unused:UNUSED_PAD src0_sel:WORD_0 src1_sel:DWORD
	v_mul_u32_u24_sdwa v27, v27, s48 dst_sel:DWORD dst_unused:UNUSED_PAD src0_sel:WORD_1 src1_sel:DWORD
	;; [unrolled: 2-line block ×4, first 2 shown]
	v_pk_fma_f16 v44, v24, v36, v44
	v_pk_fma_f16 v45, v24, v26, v45
	;; [unrolled: 1-line block ×16, first 2 shown]
	ds_read2_b64 v[22:25], v82 offset0:192 offset1:224
	ds_read_b128 v[26:29], v78 offset:96
	s_waitcnt lgkmcnt(0)
	v_mul_u32_u24_sdwa v37, v26, s48 dst_sel:DWORD dst_unused:UNUSED_PAD src0_sel:WORD_0 src1_sel:DWORD
	v_mul_u32_u24_sdwa v26, v26, s48 dst_sel:DWORD dst_unused:UNUSED_PAD src0_sel:WORD_1 src1_sel:DWORD
	v_mul_u32_u24_sdwa v42, v27, s48 dst_sel:DWORD dst_unused:UNUSED_PAD src0_sel:WORD_0 src1_sel:DWORD
	v_mul_u32_u24_sdwa v27, v27, s48 dst_sel:DWORD dst_unused:UNUSED_PAD src0_sel:WORD_1 src1_sel:DWORD
	;; [unrolled: 2-line block ×4, first 2 shown]
	v_pk_fma_f16 v44, v22, v37, v44
	v_pk_fma_f16 v45, v22, v26, v45
	;; [unrolled: 1-line block ×16, first 2 shown]
	ds_read_b128 v[26:29], v78 offset:112
	s_waitcnt lgkmcnt(0)
	v_mul_u32_u24_sdwa v37, v27, s48 dst_sel:DWORD dst_unused:UNUSED_PAD src0_sel:WORD_0 src1_sel:DWORD
	v_mul_u32_u24_sdwa v36, v26, s48 dst_sel:DWORD dst_unused:UNUSED_PAD src0_sel:WORD_0 src1_sel:DWORD
	v_mul_u32_u24_sdwa v26, v26, s48 dst_sel:DWORD dst_unused:UNUSED_PAD src0_sel:WORD_1 src1_sel:DWORD
	v_mul_u32_u24_sdwa v27, v27, s48 dst_sel:DWORD dst_unused:UNUSED_PAD src0_sel:WORD_1 src1_sel:DWORD
	v_mul_u32_u24_sdwa v42, v28, s48 dst_sel:DWORD dst_unused:UNUSED_PAD src0_sel:WORD_0 src1_sel:DWORD
	v_mul_u32_u24_sdwa v28, v28, s48 dst_sel:DWORD dst_unused:UNUSED_PAD src0_sel:WORD_1 src1_sel:DWORD
	v_mul_u32_u24_sdwa v43, v29, s48 dst_sel:DWORD dst_unused:UNUSED_PAD src0_sel:WORD_0 src1_sel:DWORD
	v_mul_u32_u24_sdwa v29, v29, s48 dst_sel:DWORD dst_unused:UNUSED_PAD src0_sel:WORD_1 src1_sel:DWORD
	v_pk_fma_f16 v53, v24, v37, v49
	v_add_u32_e32 v49, 0x800, v82
	v_pk_fma_f16 v44, v24, v36, v44
	v_pk_fma_f16 v45, v24, v26, v45
	;; [unrolled: 1-line block ×15, first 2 shown]
	ds_read2_b64 v[22:25], v49 offset1:32
	ds_read_b128 v[26:29], v78 offset:128
	s_waitcnt lgkmcnt(0)
	v_mul_u32_u24_sdwa v37, v26, s48 dst_sel:DWORD dst_unused:UNUSED_PAD src0_sel:WORD_0 src1_sel:DWORD
	v_mul_u32_u24_sdwa v26, v26, s48 dst_sel:DWORD dst_unused:UNUSED_PAD src0_sel:WORD_1 src1_sel:DWORD
	v_mul_u32_u24_sdwa v42, v27, s48 dst_sel:DWORD dst_unused:UNUSED_PAD src0_sel:WORD_0 src1_sel:DWORD
	v_mul_u32_u24_sdwa v27, v27, s48 dst_sel:DWORD dst_unused:UNUSED_PAD src0_sel:WORD_1 src1_sel:DWORD
	v_mul_u32_u24_sdwa v43, v28, s48 dst_sel:DWORD dst_unused:UNUSED_PAD src0_sel:WORD_0 src1_sel:DWORD
	v_mul_u32_u24_sdwa v28, v28, s48 dst_sel:DWORD dst_unused:UNUSED_PAD src0_sel:WORD_1 src1_sel:DWORD
	v_mul_u32_u24_sdwa v55, v29, s48 dst_sel:DWORD dst_unused:UNUSED_PAD src0_sel:WORD_0 src1_sel:DWORD
	v_mul_u32_u24_sdwa v29, v29, s48 dst_sel:DWORD dst_unused:UNUSED_PAD src0_sel:WORD_1 src1_sel:DWORD
	v_pk_fma_f16 v44, v22, v37, v44
	v_pk_fma_f16 v45, v22, v26, v45
	v_pk_fma_f16 v53, v22, v42, v53
	v_pk_fma_f16 v50, v22, v27, v50
	v_pk_fma_f16 v20, v22, v43, v20
	v_pk_fma_f16 v51, v22, v28, v51
	v_pk_fma_f16 v52, v22, v55, v52
	v_pk_fma_f16 v22, v22, v29, v54
	v_pk_fma_f16 v32, v23, v37, v32
	v_pk_fma_f16 v33, v23, v26, v33
	v_pk_fma_f16 v30, v23, v42, v30
	v_pk_fma_f16 v34, v23, v27, v34
	v_pk_fma_f16 v19, v23, v43, v19
	v_pk_fma_f16 v35, v23, v28, v35
	v_pk_fma_f16 v31, v23, v55, v31
	v_pk_fma_f16 v23, v23, v29, v36
	ds_read_b128 v[26:29], v78 offset:144
	s_waitcnt lgkmcnt(0)
	v_mul_u32_u24_sdwa v36, v26, s48 dst_sel:DWORD dst_unused:UNUSED_PAD src0_sel:WORD_0 src1_sel:DWORD
	v_mul_u32_u24_sdwa v26, v26, s48 dst_sel:DWORD dst_unused:UNUSED_PAD src0_sel:WORD_1 src1_sel:DWORD
	v_mul_u32_u24_sdwa v37, v27, s48 dst_sel:DWORD dst_unused:UNUSED_PAD src0_sel:WORD_0 src1_sel:DWORD
	v_mul_u32_u24_sdwa v27, v27, s48 dst_sel:DWORD dst_unused:UNUSED_PAD src0_sel:WORD_1 src1_sel:DWORD
	v_mul_u32_u24_sdwa v42, v28, s48 dst_sel:DWORD dst_unused:UNUSED_PAD src0_sel:WORD_0 src1_sel:DWORD
	v_mul_u32_u24_sdwa v28, v28, s48 dst_sel:DWORD dst_unused:UNUSED_PAD src0_sel:WORD_1 src1_sel:DWORD
	v_mul_u32_u24_sdwa v43, v29, s48 dst_sel:DWORD dst_unused:UNUSED_PAD src0_sel:WORD_0 src1_sel:DWORD
	v_mul_u32_u24_sdwa v29, v29, s48 dst_sel:DWORD dst_unused:UNUSED_PAD src0_sel:WORD_1 src1_sel:DWORD
	v_pk_fma_f16 v44, v24, v36, v44
	v_pk_fma_f16 v45, v24, v26, v45
	v_pk_fma_f16 v53, v24, v37, v53
	v_pk_fma_f16 v50, v24, v27, v50
	v_pk_fma_f16 v20, v24, v42, v20
	v_pk_fma_f16 v51, v24, v28, v51
	v_pk_fma_f16 v52, v24, v43, v52
	v_pk_fma_f16 v54, v24, v29, v22
	v_pk_fma_f16 v32, v25, v36, v32
	v_pk_fma_f16 v33, v25, v26, v33
	v_pk_fma_f16 v30, v25, v37, v30
	v_pk_fma_f16 v34, v25, v27, v34
	v_pk_fma_f16 v19, v25, v42, v19
	v_pk_fma_f16 v35, v25, v28, v35
	v_pk_fma_f16 v31, v25, v43, v31
	v_pk_fma_f16 v36, v25, v29, v23
	ds_read2_b64 v[22:25], v49 offset0:64 offset1:96
	ds_read_b128 v[26:29], v78 offset:160
	s_waitcnt lgkmcnt(0)
	v_mul_u32_u24_sdwa v37, v26, s48 dst_sel:DWORD dst_unused:UNUSED_PAD src0_sel:WORD_0 src1_sel:DWORD
	v_mul_u32_u24_sdwa v26, v26, s48 dst_sel:DWORD dst_unused:UNUSED_PAD src0_sel:WORD_1 src1_sel:DWORD
	v_mul_u32_u24_sdwa v42, v27, s48 dst_sel:DWORD dst_unused:UNUSED_PAD src0_sel:WORD_0 src1_sel:DWORD
	v_mul_u32_u24_sdwa v27, v27, s48 dst_sel:DWORD dst_unused:UNUSED_PAD src0_sel:WORD_1 src1_sel:DWORD
	v_mul_u32_u24_sdwa v43, v28, s48 dst_sel:DWORD dst_unused:UNUSED_PAD src0_sel:WORD_0 src1_sel:DWORD
	v_mul_u32_u24_sdwa v28, v28, s48 dst_sel:DWORD dst_unused:UNUSED_PAD src0_sel:WORD_1 src1_sel:DWORD
	v_mul_u32_u24_sdwa v55, v29, s48 dst_sel:DWORD dst_unused:UNUSED_PAD src0_sel:WORD_0 src1_sel:DWORD
	v_mul_u32_u24_sdwa v29, v29, s48 dst_sel:DWORD dst_unused:UNUSED_PAD src0_sel:WORD_1 src1_sel:DWORD
	v_pk_fma_f16 v44, v22, v37, v44
	v_pk_fma_f16 v45, v22, v26, v45
	v_pk_fma_f16 v53, v22, v42, v53
	v_pk_fma_f16 v50, v22, v27, v50
	v_pk_fma_f16 v20, v22, v43, v20
	v_pk_fma_f16 v51, v22, v28, v51
	v_pk_fma_f16 v52, v22, v55, v52
	v_pk_fma_f16 v22, v22, v29, v54
	v_pk_fma_f16 v32, v23, v37, v32
	v_pk_fma_f16 v33, v23, v26, v33
	v_pk_fma_f16 v30, v23, v42, v30
	v_pk_fma_f16 v34, v23, v27, v34
	v_pk_fma_f16 v19, v23, v43, v19
	v_pk_fma_f16 v35, v23, v28, v35
	v_pk_fma_f16 v31, v23, v55, v31
	v_pk_fma_f16 v23, v23, v29, v36
	ds_read_b128 v[26:29], v78 offset:176
	s_waitcnt lgkmcnt(0)
	v_mul_u32_u24_sdwa v36, v26, s48 dst_sel:DWORD dst_unused:UNUSED_PAD src0_sel:WORD_0 src1_sel:DWORD
	v_mul_u32_u24_sdwa v26, v26, s48 dst_sel:DWORD dst_unused:UNUSED_PAD src0_sel:WORD_1 src1_sel:DWORD
	v_mul_u32_u24_sdwa v37, v27, s48 dst_sel:DWORD dst_unused:UNUSED_PAD src0_sel:WORD_0 src1_sel:DWORD
	v_mul_u32_u24_sdwa v27, v27, s48 dst_sel:DWORD dst_unused:UNUSED_PAD src0_sel:WORD_1 src1_sel:DWORD
	v_mul_u32_u24_sdwa v42, v28, s48 dst_sel:DWORD dst_unused:UNUSED_PAD src0_sel:WORD_0 src1_sel:DWORD
	v_mul_u32_u24_sdwa v28, v28, s48 dst_sel:DWORD dst_unused:UNUSED_PAD src0_sel:WORD_1 src1_sel:DWORD
	v_mul_u32_u24_sdwa v43, v29, s48 dst_sel:DWORD dst_unused:UNUSED_PAD src0_sel:WORD_0 src1_sel:DWORD
	v_mul_u32_u24_sdwa v29, v29, s48 dst_sel:DWORD dst_unused:UNUSED_PAD src0_sel:WORD_1 src1_sel:DWORD
	v_pk_fma_f16 v44, v24, v36, v44
	v_pk_fma_f16 v45, v24, v26, v45
	v_pk_fma_f16 v53, v24, v37, v53
	v_pk_fma_f16 v50, v24, v27, v50
	v_pk_fma_f16 v20, v24, v42, v20
	v_pk_fma_f16 v51, v24, v28, v51
	v_pk_fma_f16 v52, v24, v43, v52
	v_pk_fma_f16 v54, v24, v29, v22
	v_pk_fma_f16 v32, v25, v36, v32
	v_pk_fma_f16 v33, v25, v26, v33
	v_pk_fma_f16 v30, v25, v37, v30
	v_pk_fma_f16 v34, v25, v27, v34
	v_pk_fma_f16 v19, v25, v42, v19
	v_pk_fma_f16 v35, v25, v28, v35
	v_pk_fma_f16 v31, v25, v43, v31
	v_pk_fma_f16 v36, v25, v29, v23
	ds_read2_b64 v[22:25], v49 offset0:128 offset1:160
	ds_read_b128 v[26:29], v78 offset:192
	s_waitcnt lgkmcnt(0)
	v_mul_u32_u24_sdwa v37, v26, s48 dst_sel:DWORD dst_unused:UNUSED_PAD src0_sel:WORD_0 src1_sel:DWORD
	v_mul_u32_u24_sdwa v26, v26, s48 dst_sel:DWORD dst_unused:UNUSED_PAD src0_sel:WORD_1 src1_sel:DWORD
	v_mul_u32_u24_sdwa v42, v27, s48 dst_sel:DWORD dst_unused:UNUSED_PAD src0_sel:WORD_0 src1_sel:DWORD
	v_mul_u32_u24_sdwa v27, v27, s48 dst_sel:DWORD dst_unused:UNUSED_PAD src0_sel:WORD_1 src1_sel:DWORD
	v_mul_u32_u24_sdwa v43, v28, s48 dst_sel:DWORD dst_unused:UNUSED_PAD src0_sel:WORD_0 src1_sel:DWORD
	v_mul_u32_u24_sdwa v28, v28, s48 dst_sel:DWORD dst_unused:UNUSED_PAD src0_sel:WORD_1 src1_sel:DWORD
	v_mul_u32_u24_sdwa v55, v29, s48 dst_sel:DWORD dst_unused:UNUSED_PAD src0_sel:WORD_0 src1_sel:DWORD
	v_mul_u32_u24_sdwa v29, v29, s48 dst_sel:DWORD dst_unused:UNUSED_PAD src0_sel:WORD_1 src1_sel:DWORD
	v_pk_fma_f16 v44, v22, v37, v44
	v_pk_fma_f16 v45, v22, v26, v45
	v_pk_fma_f16 v53, v22, v42, v53
	v_pk_fma_f16 v50, v22, v27, v50
	v_pk_fma_f16 v20, v22, v43, v20
	v_pk_fma_f16 v51, v22, v28, v51
	v_pk_fma_f16 v52, v22, v55, v52
	v_pk_fma_f16 v22, v22, v29, v54
	v_pk_fma_f16 v32, v23, v37, v32
	v_pk_fma_f16 v33, v23, v26, v33
	v_pk_fma_f16 v30, v23, v42, v30
	v_pk_fma_f16 v34, v23, v27, v34
	v_pk_fma_f16 v19, v23, v43, v19
	v_pk_fma_f16 v35, v23, v28, v35
	v_pk_fma_f16 v31, v23, v55, v31
	v_pk_fma_f16 v23, v23, v29, v36
	ds_read_b128 v[26:29], v78 offset:208
	s_waitcnt lgkmcnt(0)
	v_mul_u32_u24_sdwa v36, v26, s48 dst_sel:DWORD dst_unused:UNUSED_PAD src0_sel:WORD_0 src1_sel:DWORD
	v_mul_u32_u24_sdwa v26, v26, s48 dst_sel:DWORD dst_unused:UNUSED_PAD src0_sel:WORD_1 src1_sel:DWORD
	v_mul_u32_u24_sdwa v37, v27, s48 dst_sel:DWORD dst_unused:UNUSED_PAD src0_sel:WORD_0 src1_sel:DWORD
	v_mul_u32_u24_sdwa v27, v27, s48 dst_sel:DWORD dst_unused:UNUSED_PAD src0_sel:WORD_1 src1_sel:DWORD
	v_mul_u32_u24_sdwa v42, v28, s48 dst_sel:DWORD dst_unused:UNUSED_PAD src0_sel:WORD_0 src1_sel:DWORD
	v_mul_u32_u24_sdwa v28, v28, s48 dst_sel:DWORD dst_unused:UNUSED_PAD src0_sel:WORD_1 src1_sel:DWORD
	v_mul_u32_u24_sdwa v43, v29, s48 dst_sel:DWORD dst_unused:UNUSED_PAD src0_sel:WORD_0 src1_sel:DWORD
	v_mul_u32_u24_sdwa v29, v29, s48 dst_sel:DWORD dst_unused:UNUSED_PAD src0_sel:WORD_1 src1_sel:DWORD
	v_pk_fma_f16 v44, v24, v36, v44
	v_pk_fma_f16 v45, v24, v26, v45
	v_pk_fma_f16 v53, v24, v37, v53
	v_pk_fma_f16 v50, v24, v27, v50
	v_pk_fma_f16 v20, v24, v42, v20
	v_pk_fma_f16 v51, v24, v28, v51
	v_pk_fma_f16 v52, v24, v43, v52
	v_pk_fma_f16 v54, v24, v29, v22
	v_pk_fma_f16 v32, v25, v36, v32
	v_pk_fma_f16 v33, v25, v26, v33
	v_pk_fma_f16 v30, v25, v37, v30
	v_pk_fma_f16 v34, v25, v27, v34
	v_pk_fma_f16 v19, v25, v42, v19
	v_pk_fma_f16 v35, v25, v28, v35
	v_pk_fma_f16 v31, v25, v43, v31
	v_pk_fma_f16 v36, v25, v29, v23
	ds_read2_b64 v[22:25], v49 offset0:192 offset1:224
	ds_read_b128 v[26:29], v78 offset:224
	s_waitcnt lgkmcnt(0)
	v_mul_u32_u24_sdwa v37, v26, s48 dst_sel:DWORD dst_unused:UNUSED_PAD src0_sel:WORD_0 src1_sel:DWORD
	v_mul_u32_u24_sdwa v26, v26, s48 dst_sel:DWORD dst_unused:UNUSED_PAD src0_sel:WORD_1 src1_sel:DWORD
	v_mul_u32_u24_sdwa v42, v27, s48 dst_sel:DWORD dst_unused:UNUSED_PAD src0_sel:WORD_0 src1_sel:DWORD
	v_mul_u32_u24_sdwa v27, v27, s48 dst_sel:DWORD dst_unused:UNUSED_PAD src0_sel:WORD_1 src1_sel:DWORD
	;; [unrolled: 2-line block ×4, first 2 shown]
	v_pk_fma_f16 v44, v22, v37, v44
	v_pk_fma_f16 v45, v22, v26, v45
	;; [unrolled: 1-line block ×16, first 2 shown]
	ds_read_b128 v[26:29], v78 offset:240
	s_waitcnt lgkmcnt(0)
	s_barrier
	v_mul_u32_u24_sdwa v63, v29, s48 dst_sel:DWORD dst_unused:UNUSED_PAD src0_sel:WORD_0 src1_sel:DWORD
	v_mul_u32_u24_sdwa v29, v29, s48 dst_sel:DWORD dst_unused:UNUSED_PAD src0_sel:WORD_1 src1_sel:DWORD
	v_pk_fma_f16 v55, v24, v29, v22
	v_pk_fma_f16 v71, v25, v29, v23
	v_add_co_u32_e32 v22, vcc, s6, v80
	v_mov_b32_e32 v23, s7
	v_mul_u32_u24_sdwa v36, v26, s48 dst_sel:DWORD dst_unused:UNUSED_PAD src0_sel:WORD_0 src1_sel:DWORD
	v_mul_u32_u24_sdwa v26, v26, s48 dst_sel:DWORD dst_unused:UNUSED_PAD src0_sel:WORD_1 src1_sel:DWORD
	v_mul_u32_u24_sdwa v42, v27, s48 dst_sel:DWORD dst_unused:UNUSED_PAD src0_sel:WORD_0 src1_sel:DWORD
	v_mul_u32_u24_sdwa v27, v27, s48 dst_sel:DWORD dst_unused:UNUSED_PAD src0_sel:WORD_1 src1_sel:DWORD
	;; [unrolled: 2-line block ×3, first 2 shown]
	v_addc_co_u32_e32 v23, vcc, v81, v23, vcc
	v_pk_fma_f16 v19, v24, v36, v44
	v_pk_fma_f16 v20, v24, v26, v45
	;; [unrolled: 1-line block ×14, first 2 shown]
	global_load_dwordx4 v[22:25], v[22:23], off
	s_or_b32 s6, s16, 32
	s_mul_hi_i32 s7, s6, s8
	s_mul_i32 s6, s6, s8
	s_lshl_b64 s[6:7], s[6:7], 2
	s_waitcnt vmcnt(0)
	ds_write_b128 v79, v[22:25]
	s_waitcnt lgkmcnt(0)
	s_barrier
	ds_read2_b64 v[22:25], v82 offset1:32
	ds_read_b128 v[26:29], v78 offset:256
	ds_read_b128 v[30:33], v78 offset:272
	;; [unrolled: 1-line block ×4, first 2 shown]
	s_waitcnt lgkmcnt(3)
	v_mul_u32_u24_sdwa v72, v26, s48 dst_sel:DWORD dst_unused:UNUSED_PAD src0_sel:WORD_0 src1_sel:DWORD
	v_mul_u32_u24_sdwa v26, v26, s48 dst_sel:DWORD dst_unused:UNUSED_PAD src0_sel:WORD_1 src1_sel:DWORD
	v_mul_u32_u24_sdwa v89, v27, s48 dst_sel:DWORD dst_unused:UNUSED_PAD src0_sel:WORD_0 src1_sel:DWORD
	v_mul_u32_u24_sdwa v27, v27, s48 dst_sel:DWORD dst_unused:UNUSED_PAD src0_sel:WORD_1 src1_sel:DWORD
	;; [unrolled: 2-line block ×4, first 2 shown]
	v_pk_fma_f16 v19, v22, v72, v19
	v_pk_fma_f16 v20, v22, v26, v20
	;; [unrolled: 1-line block ×16, first 2 shown]
	s_waitcnt lgkmcnt(2)
	v_mul_u32_u24_sdwa v29, v30, s48 dst_sel:DWORD dst_unused:UNUSED_PAD src0_sel:WORD_0 src1_sel:DWORD
	v_mul_u32_u24_sdwa v30, v30, s48 dst_sel:DWORD dst_unused:UNUSED_PAD src0_sel:WORD_1 src1_sel:DWORD
	v_mul_u32_u24_sdwa v59, v31, s48 dst_sel:DWORD dst_unused:UNUSED_PAD src0_sel:WORD_0 src1_sel:DWORD
	v_mul_u32_u24_sdwa v31, v31, s48 dst_sel:DWORD dst_unused:UNUSED_PAD src0_sel:WORD_1 src1_sel:DWORD
	;; [unrolled: 2-line block ×4, first 2 shown]
	v_pk_fma_f16 v19, v24, v29, v19
	v_pk_fma_f16 v20, v24, v30, v20
	;; [unrolled: 1-line block ×16, first 2 shown]
	ds_read2_b64 v[22:25], v82 offset0:64 offset1:96
	s_waitcnt lgkmcnt(2)
	v_mul_u32_u24_sdwa v55, v34, s48 dst_sel:DWORD dst_unused:UNUSED_PAD src0_sel:WORD_0 src1_sel:DWORD
	v_mul_u32_u24_sdwa v34, v34, s48 dst_sel:DWORD dst_unused:UNUSED_PAD src0_sel:WORD_1 src1_sel:DWORD
	v_mul_u32_u24_sdwa v56, v35, s48 dst_sel:DWORD dst_unused:UNUSED_PAD src0_sel:WORD_0 src1_sel:DWORD
	v_mul_u32_u24_sdwa v35, v35, s48 dst_sel:DWORD dst_unused:UNUSED_PAD src0_sel:WORD_1 src1_sel:DWORD
	v_mul_u32_u24_sdwa v57, v36, s48 dst_sel:DWORD dst_unused:UNUSED_PAD src0_sel:WORD_0 src1_sel:DWORD
	v_mul_u32_u24_sdwa v36, v36, s48 dst_sel:DWORD dst_unused:UNUSED_PAD src0_sel:WORD_1 src1_sel:DWORD
	v_mul_u32_u24_sdwa v58, v37, s48 dst_sel:DWORD dst_unused:UNUSED_PAD src0_sel:WORD_0 src1_sel:DWORD
	v_mul_u32_u24_sdwa v37, v37, s48 dst_sel:DWORD dst_unused:UNUSED_PAD src0_sel:WORD_1 src1_sel:DWORD
	s_waitcnt lgkmcnt(0)
	v_pk_fma_f16 v19, v22, v55, v19
	v_pk_fma_f16 v20, v22, v34, v20
	;; [unrolled: 1-line block ×16, first 2 shown]
	v_mul_u32_u24_sdwa v33, v42, s48 dst_sel:DWORD dst_unused:UNUSED_PAD src0_sel:WORD_0 src1_sel:DWORD
	v_mul_u32_u24_sdwa v34, v42, s48 dst_sel:DWORD dst_unused:UNUSED_PAD src0_sel:WORD_1 src1_sel:DWORD
	v_mul_u32_u24_sdwa v35, v43, s48 dst_sel:DWORD dst_unused:UNUSED_PAD src0_sel:WORD_0 src1_sel:DWORD
	v_mul_u32_u24_sdwa v36, v43, s48 dst_sel:DWORD dst_unused:UNUSED_PAD src0_sel:WORD_1 src1_sel:DWORD
	;; [unrolled: 2-line block ×4, first 2 shown]
	v_pk_fma_f16 v19, v24, v33, v19
	v_pk_fma_f16 v20, v24, v34, v20
	;; [unrolled: 1-line block ×16, first 2 shown]
	ds_read2_b64 v[22:25], v82 offset0:128 offset1:160
	ds_read_b128 v[26:29], v78 offset:320
	s_waitcnt lgkmcnt(0)
	v_mul_u32_u24_sdwa v42, v26, s48 dst_sel:DWORD dst_unused:UNUSED_PAD src0_sel:WORD_0 src1_sel:DWORD
	v_mul_u32_u24_sdwa v26, v26, s48 dst_sel:DWORD dst_unused:UNUSED_PAD src0_sel:WORD_1 src1_sel:DWORD
	v_mul_u32_u24_sdwa v43, v27, s48 dst_sel:DWORD dst_unused:UNUSED_PAD src0_sel:WORD_0 src1_sel:DWORD
	v_mul_u32_u24_sdwa v27, v27, s48 dst_sel:DWORD dst_unused:UNUSED_PAD src0_sel:WORD_1 src1_sel:DWORD
	;; [unrolled: 2-line block ×4, first 2 shown]
	v_pk_fma_f16 v19, v22, v42, v19
	v_pk_fma_f16 v20, v22, v26, v20
	;; [unrolled: 1-line block ×16, first 2 shown]
	ds_read_b128 v[26:29], v78 offset:336
	s_waitcnt lgkmcnt(0)
	v_mul_u32_u24_sdwa v37, v26, s48 dst_sel:DWORD dst_unused:UNUSED_PAD src0_sel:WORD_0 src1_sel:DWORD
	v_mul_u32_u24_sdwa v26, v26, s48 dst_sel:DWORD dst_unused:UNUSED_PAD src0_sel:WORD_1 src1_sel:DWORD
	v_mul_u32_u24_sdwa v42, v27, s48 dst_sel:DWORD dst_unused:UNUSED_PAD src0_sel:WORD_0 src1_sel:DWORD
	v_mul_u32_u24_sdwa v27, v27, s48 dst_sel:DWORD dst_unused:UNUSED_PAD src0_sel:WORD_1 src1_sel:DWORD
	;; [unrolled: 2-line block ×4, first 2 shown]
	v_pk_fma_f16 v19, v24, v37, v19
	v_pk_fma_f16 v20, v24, v26, v20
	;; [unrolled: 1-line block ×16, first 2 shown]
	ds_read2_b64 v[22:25], v82 offset0:192 offset1:224
	ds_read_b128 v[26:29], v78 offset:352
	s_waitcnt lgkmcnt(0)
	v_mul_u32_u24_sdwa v42, v26, s48 dst_sel:DWORD dst_unused:UNUSED_PAD src0_sel:WORD_0 src1_sel:DWORD
	v_mul_u32_u24_sdwa v26, v26, s48 dst_sel:DWORD dst_unused:UNUSED_PAD src0_sel:WORD_1 src1_sel:DWORD
	v_mul_u32_u24_sdwa v43, v27, s48 dst_sel:DWORD dst_unused:UNUSED_PAD src0_sel:WORD_0 src1_sel:DWORD
	v_mul_u32_u24_sdwa v27, v27, s48 dst_sel:DWORD dst_unused:UNUSED_PAD src0_sel:WORD_1 src1_sel:DWORD
	;; [unrolled: 2-line block ×4, first 2 shown]
	v_pk_fma_f16 v19, v22, v42, v19
	v_pk_fma_f16 v20, v22, v26, v20
	;; [unrolled: 1-line block ×16, first 2 shown]
	ds_read_b128 v[26:29], v78 offset:368
	s_waitcnt lgkmcnt(0)
	v_mul_u32_u24_sdwa v37, v26, s48 dst_sel:DWORD dst_unused:UNUSED_PAD src0_sel:WORD_0 src1_sel:DWORD
	v_mul_u32_u24_sdwa v26, v26, s48 dst_sel:DWORD dst_unused:UNUSED_PAD src0_sel:WORD_1 src1_sel:DWORD
	v_mul_u32_u24_sdwa v42, v27, s48 dst_sel:DWORD dst_unused:UNUSED_PAD src0_sel:WORD_0 src1_sel:DWORD
	v_mul_u32_u24_sdwa v27, v27, s48 dst_sel:DWORD dst_unused:UNUSED_PAD src0_sel:WORD_1 src1_sel:DWORD
	;; [unrolled: 2-line block ×4, first 2 shown]
	v_pk_fma_f16 v19, v24, v37, v19
	v_pk_fma_f16 v20, v24, v26, v20
	;; [unrolled: 1-line block ×16, first 2 shown]
	ds_read2_b64 v[22:25], v49 offset1:32
	ds_read_b128 v[26:29], v78 offset:384
	s_waitcnt lgkmcnt(0)
	v_mul_u32_u24_sdwa v42, v26, s48 dst_sel:DWORD dst_unused:UNUSED_PAD src0_sel:WORD_0 src1_sel:DWORD
	v_mul_u32_u24_sdwa v26, v26, s48 dst_sel:DWORD dst_unused:UNUSED_PAD src0_sel:WORD_1 src1_sel:DWORD
	v_mul_u32_u24_sdwa v43, v27, s48 dst_sel:DWORD dst_unused:UNUSED_PAD src0_sel:WORD_0 src1_sel:DWORD
	v_mul_u32_u24_sdwa v27, v27, s48 dst_sel:DWORD dst_unused:UNUSED_PAD src0_sel:WORD_1 src1_sel:DWORD
	v_mul_u32_u24_sdwa v44, v28, s48 dst_sel:DWORD dst_unused:UNUSED_PAD src0_sel:WORD_0 src1_sel:DWORD
	v_mul_u32_u24_sdwa v28, v28, s48 dst_sel:DWORD dst_unused:UNUSED_PAD src0_sel:WORD_1 src1_sel:DWORD
	v_mul_u32_u24_sdwa v55, v29, s48 dst_sel:DWORD dst_unused:UNUSED_PAD src0_sel:WORD_0 src1_sel:DWORD
	v_mul_u32_u24_sdwa v29, v29, s48 dst_sel:DWORD dst_unused:UNUSED_PAD src0_sel:WORD_1 src1_sel:DWORD
	v_pk_fma_f16 v19, v22, v42, v19
	v_pk_fma_f16 v20, v22, v26, v20
	v_pk_fma_f16 v45, v22, v43, v45
	v_pk_fma_f16 v50, v22, v27, v50
	v_pk_fma_f16 v51, v22, v44, v51
	v_pk_fma_f16 v52, v22, v28, v52
	v_pk_fma_f16 v53, v22, v55, v53
	v_pk_fma_f16 v22, v22, v29, v54
	v_pk_fma_f16 v33, v23, v42, v33
	v_pk_fma_f16 v34, v23, v26, v34
	v_pk_fma_f16 v30, v23, v43, v30
	v_pk_fma_f16 v35, v23, v27, v35
	v_pk_fma_f16 v31, v23, v44, v31
	v_pk_fma_f16 v36, v23, v28, v36
	v_pk_fma_f16 v32, v23, v55, v32
	v_pk_fma_f16 v23, v23, v29, v37
	ds_read_b128 v[26:29], v78 offset:400
	s_waitcnt lgkmcnt(0)
	v_mul_u32_u24_sdwa v37, v26, s48 dst_sel:DWORD dst_unused:UNUSED_PAD src0_sel:WORD_0 src1_sel:DWORD
	v_mul_u32_u24_sdwa v26, v26, s48 dst_sel:DWORD dst_unused:UNUSED_PAD src0_sel:WORD_1 src1_sel:DWORD
	v_mul_u32_u24_sdwa v42, v27, s48 dst_sel:DWORD dst_unused:UNUSED_PAD src0_sel:WORD_0 src1_sel:DWORD
	v_mul_u32_u24_sdwa v27, v27, s48 dst_sel:DWORD dst_unused:UNUSED_PAD src0_sel:WORD_1 src1_sel:DWORD
	v_mul_u32_u24_sdwa v43, v28, s48 dst_sel:DWORD dst_unused:UNUSED_PAD src0_sel:WORD_0 src1_sel:DWORD
	v_mul_u32_u24_sdwa v28, v28, s48 dst_sel:DWORD dst_unused:UNUSED_PAD src0_sel:WORD_1 src1_sel:DWORD
	v_mul_u32_u24_sdwa v44, v29, s48 dst_sel:DWORD dst_unused:UNUSED_PAD src0_sel:WORD_0 src1_sel:DWORD
	v_mul_u32_u24_sdwa v29, v29, s48 dst_sel:DWORD dst_unused:UNUSED_PAD src0_sel:WORD_1 src1_sel:DWORD
	v_pk_fma_f16 v19, v24, v37, v19
	v_pk_fma_f16 v20, v24, v26, v20
	v_pk_fma_f16 v45, v24, v42, v45
	v_pk_fma_f16 v50, v24, v27, v50
	v_pk_fma_f16 v51, v24, v43, v51
	v_pk_fma_f16 v52, v24, v28, v52
	v_pk_fma_f16 v53, v24, v44, v53
	v_pk_fma_f16 v54, v24, v29, v22
	v_pk_fma_f16 v33, v25, v37, v33
	v_pk_fma_f16 v34, v25, v26, v34
	v_pk_fma_f16 v30, v25, v42, v30
	v_pk_fma_f16 v35, v25, v27, v35
	v_pk_fma_f16 v31, v25, v43, v31
	v_pk_fma_f16 v36, v25, v28, v36
	v_pk_fma_f16 v32, v25, v44, v32
	v_pk_fma_f16 v37, v25, v29, v23
	ds_read2_b64 v[22:25], v49 offset0:64 offset1:96
	ds_read_b128 v[26:29], v78 offset:416
	s_waitcnt lgkmcnt(0)
	v_mul_u32_u24_sdwa v42, v26, s48 dst_sel:DWORD dst_unused:UNUSED_PAD src0_sel:WORD_0 src1_sel:DWORD
	v_mul_u32_u24_sdwa v26, v26, s48 dst_sel:DWORD dst_unused:UNUSED_PAD src0_sel:WORD_1 src1_sel:DWORD
	v_mul_u32_u24_sdwa v43, v27, s48 dst_sel:DWORD dst_unused:UNUSED_PAD src0_sel:WORD_0 src1_sel:DWORD
	v_mul_u32_u24_sdwa v27, v27, s48 dst_sel:DWORD dst_unused:UNUSED_PAD src0_sel:WORD_1 src1_sel:DWORD
	v_mul_u32_u24_sdwa v44, v28, s48 dst_sel:DWORD dst_unused:UNUSED_PAD src0_sel:WORD_0 src1_sel:DWORD
	v_mul_u32_u24_sdwa v28, v28, s48 dst_sel:DWORD dst_unused:UNUSED_PAD src0_sel:WORD_1 src1_sel:DWORD
	v_mul_u32_u24_sdwa v55, v29, s48 dst_sel:DWORD dst_unused:UNUSED_PAD src0_sel:WORD_0 src1_sel:DWORD
	v_mul_u32_u24_sdwa v29, v29, s48 dst_sel:DWORD dst_unused:UNUSED_PAD src0_sel:WORD_1 src1_sel:DWORD
	v_pk_fma_f16 v19, v22, v42, v19
	v_pk_fma_f16 v20, v22, v26, v20
	v_pk_fma_f16 v45, v22, v43, v45
	v_pk_fma_f16 v50, v22, v27, v50
	v_pk_fma_f16 v51, v22, v44, v51
	v_pk_fma_f16 v52, v22, v28, v52
	v_pk_fma_f16 v53, v22, v55, v53
	v_pk_fma_f16 v22, v22, v29, v54
	v_pk_fma_f16 v33, v23, v42, v33
	v_pk_fma_f16 v34, v23, v26, v34
	v_pk_fma_f16 v30, v23, v43, v30
	v_pk_fma_f16 v35, v23, v27, v35
	v_pk_fma_f16 v31, v23, v44, v31
	v_pk_fma_f16 v36, v23, v28, v36
	v_pk_fma_f16 v32, v23, v55, v32
	v_pk_fma_f16 v23, v23, v29, v37
	ds_read_b128 v[26:29], v78 offset:432
	s_waitcnt lgkmcnt(0)
	v_mul_u32_u24_sdwa v37, v26, s48 dst_sel:DWORD dst_unused:UNUSED_PAD src0_sel:WORD_0 src1_sel:DWORD
	v_mul_u32_u24_sdwa v26, v26, s48 dst_sel:DWORD dst_unused:UNUSED_PAD src0_sel:WORD_1 src1_sel:DWORD
	v_mul_u32_u24_sdwa v42, v27, s48 dst_sel:DWORD dst_unused:UNUSED_PAD src0_sel:WORD_0 src1_sel:DWORD
	v_mul_u32_u24_sdwa v27, v27, s48 dst_sel:DWORD dst_unused:UNUSED_PAD src0_sel:WORD_1 src1_sel:DWORD
	v_mul_u32_u24_sdwa v43, v28, s48 dst_sel:DWORD dst_unused:UNUSED_PAD src0_sel:WORD_0 src1_sel:DWORD
	v_mul_u32_u24_sdwa v28, v28, s48 dst_sel:DWORD dst_unused:UNUSED_PAD src0_sel:WORD_1 src1_sel:DWORD
	v_mul_u32_u24_sdwa v44, v29, s48 dst_sel:DWORD dst_unused:UNUSED_PAD src0_sel:WORD_0 src1_sel:DWORD
	v_mul_u32_u24_sdwa v29, v29, s48 dst_sel:DWORD dst_unused:UNUSED_PAD src0_sel:WORD_1 src1_sel:DWORD
	v_pk_fma_f16 v19, v24, v37, v19
	v_pk_fma_f16 v20, v24, v26, v20
	v_pk_fma_f16 v45, v24, v42, v45
	v_pk_fma_f16 v50, v24, v27, v50
	v_pk_fma_f16 v51, v24, v43, v51
	v_pk_fma_f16 v52, v24, v28, v52
	v_pk_fma_f16 v53, v24, v44, v53
	v_pk_fma_f16 v54, v24, v29, v22
	v_pk_fma_f16 v33, v25, v37, v33
	v_pk_fma_f16 v34, v25, v26, v34
	v_pk_fma_f16 v30, v25, v42, v30
	v_pk_fma_f16 v35, v25, v27, v35
	v_pk_fma_f16 v31, v25, v43, v31
	v_pk_fma_f16 v36, v25, v28, v36
	v_pk_fma_f16 v32, v25, v44, v32
	v_pk_fma_f16 v37, v25, v29, v23
	ds_read2_b64 v[22:25], v49 offset0:128 offset1:160
	;; [unrolled: 53-line block ×3, first 2 shown]
	ds_read_b128 v[26:29], v78 offset:480
	s_waitcnt lgkmcnt(0)
	v_mul_u32_u24_sdwa v42, v26, s48 dst_sel:DWORD dst_unused:UNUSED_PAD src0_sel:WORD_0 src1_sel:DWORD
	v_mul_u32_u24_sdwa v26, v26, s48 dst_sel:DWORD dst_unused:UNUSED_PAD src0_sel:WORD_1 src1_sel:DWORD
	v_mul_u32_u24_sdwa v43, v27, s48 dst_sel:DWORD dst_unused:UNUSED_PAD src0_sel:WORD_0 src1_sel:DWORD
	v_mul_u32_u24_sdwa v27, v27, s48 dst_sel:DWORD dst_unused:UNUSED_PAD src0_sel:WORD_1 src1_sel:DWORD
	;; [unrolled: 2-line block ×4, first 2 shown]
	v_pk_fma_f16 v19, v22, v42, v19
	v_pk_fma_f16 v20, v22, v26, v20
	;; [unrolled: 1-line block ×16, first 2 shown]
	ds_read_b128 v[26:29], v78 offset:496
	s_waitcnt lgkmcnt(0)
	s_barrier
	v_mul_u32_u24_sdwa v44, v29, s48 dst_sel:DWORD dst_unused:UNUSED_PAD src0_sel:WORD_0 src1_sel:DWORD
	v_mul_u32_u24_sdwa v29, v29, s48 dst_sel:DWORD dst_unused:UNUSED_PAD src0_sel:WORD_1 src1_sel:DWORD
	v_pk_fma_f16 v55, v24, v29, v22
	v_pk_fma_f16 v71, v25, v29, v23
	v_add_co_u32_e32 v22, vcc, s6, v80
	v_mov_b32_e32 v23, s7
	v_mul_u32_u24_sdwa v37, v26, s48 dst_sel:DWORD dst_unused:UNUSED_PAD src0_sel:WORD_0 src1_sel:DWORD
	v_mul_u32_u24_sdwa v26, v26, s48 dst_sel:DWORD dst_unused:UNUSED_PAD src0_sel:WORD_1 src1_sel:DWORD
	v_mul_u32_u24_sdwa v42, v27, s48 dst_sel:DWORD dst_unused:UNUSED_PAD src0_sel:WORD_0 src1_sel:DWORD
	v_mul_u32_u24_sdwa v27, v27, s48 dst_sel:DWORD dst_unused:UNUSED_PAD src0_sel:WORD_1 src1_sel:DWORD
	;; [unrolled: 2-line block ×3, first 2 shown]
	v_addc_co_u32_e32 v23, vcc, v81, v23, vcc
	v_pk_fma_f16 v19, v24, v37, v19
	v_pk_fma_f16 v20, v24, v26, v20
	;; [unrolled: 1-line block ×14, first 2 shown]
	global_load_dwordx4 v[22:25], v[22:23], off
	s_or_b32 s6, s16, 48
	s_mul_hi_i32 s7, s6, s8
	s_mul_i32 s6, s6, s8
	s_lshl_b64 s[6:7], s[6:7], 2
	s_waitcnt vmcnt(0)
	ds_write_b128 v79, v[22:25]
	s_waitcnt lgkmcnt(0)
	s_barrier
	ds_read2_b64 v[22:25], v82 offset1:32
	ds_read_b128 v[26:29], v78 offset:512
	ds_read_b128 v[30:33], v78 offset:528
	;; [unrolled: 1-line block ×4, first 2 shown]
	s_waitcnt lgkmcnt(3)
	v_mul_u32_u24_sdwa v72, v26, s48 dst_sel:DWORD dst_unused:UNUSED_PAD src0_sel:WORD_0 src1_sel:DWORD
	v_mul_u32_u24_sdwa v26, v26, s48 dst_sel:DWORD dst_unused:UNUSED_PAD src0_sel:WORD_1 src1_sel:DWORD
	v_mul_u32_u24_sdwa v89, v27, s48 dst_sel:DWORD dst_unused:UNUSED_PAD src0_sel:WORD_0 src1_sel:DWORD
	v_mul_u32_u24_sdwa v27, v27, s48 dst_sel:DWORD dst_unused:UNUSED_PAD src0_sel:WORD_1 src1_sel:DWORD
	;; [unrolled: 2-line block ×4, first 2 shown]
	v_pk_fma_f16 v19, v22, v72, v19
	v_pk_fma_f16 v20, v22, v26, v20
	;; [unrolled: 1-line block ×16, first 2 shown]
	s_waitcnt lgkmcnt(2)
	v_mul_u32_u24_sdwa v29, v30, s48 dst_sel:DWORD dst_unused:UNUSED_PAD src0_sel:WORD_0 src1_sel:DWORD
	v_mul_u32_u24_sdwa v30, v30, s48 dst_sel:DWORD dst_unused:UNUSED_PAD src0_sel:WORD_1 src1_sel:DWORD
	v_mul_u32_u24_sdwa v59, v31, s48 dst_sel:DWORD dst_unused:UNUSED_PAD src0_sel:WORD_0 src1_sel:DWORD
	v_mul_u32_u24_sdwa v31, v31, s48 dst_sel:DWORD dst_unused:UNUSED_PAD src0_sel:WORD_1 src1_sel:DWORD
	;; [unrolled: 2-line block ×4, first 2 shown]
	v_pk_fma_f16 v19, v24, v29, v19
	v_pk_fma_f16 v20, v24, v30, v20
	;; [unrolled: 1-line block ×16, first 2 shown]
	ds_read2_b64 v[22:25], v82 offset0:64 offset1:96
	s_waitcnt lgkmcnt(2)
	v_mul_u32_u24_sdwa v55, v34, s48 dst_sel:DWORD dst_unused:UNUSED_PAD src0_sel:WORD_0 src1_sel:DWORD
	v_mul_u32_u24_sdwa v34, v34, s48 dst_sel:DWORD dst_unused:UNUSED_PAD src0_sel:WORD_1 src1_sel:DWORD
	v_mul_u32_u24_sdwa v56, v35, s48 dst_sel:DWORD dst_unused:UNUSED_PAD src0_sel:WORD_0 src1_sel:DWORD
	v_mul_u32_u24_sdwa v35, v35, s48 dst_sel:DWORD dst_unused:UNUSED_PAD src0_sel:WORD_1 src1_sel:DWORD
	;; [unrolled: 2-line block ×4, first 2 shown]
	s_waitcnt lgkmcnt(0)
	v_pk_fma_f16 v19, v22, v55, v19
	v_pk_fma_f16 v20, v22, v34, v20
	;; [unrolled: 1-line block ×16, first 2 shown]
	v_mul_u32_u24_sdwa v33, v42, s48 dst_sel:DWORD dst_unused:UNUSED_PAD src0_sel:WORD_0 src1_sel:DWORD
	v_mul_u32_u24_sdwa v34, v42, s48 dst_sel:DWORD dst_unused:UNUSED_PAD src0_sel:WORD_1 src1_sel:DWORD
	v_mul_u32_u24_sdwa v35, v43, s48 dst_sel:DWORD dst_unused:UNUSED_PAD src0_sel:WORD_0 src1_sel:DWORD
	v_mul_u32_u24_sdwa v36, v43, s48 dst_sel:DWORD dst_unused:UNUSED_PAD src0_sel:WORD_1 src1_sel:DWORD
	;; [unrolled: 2-line block ×4, first 2 shown]
	v_pk_fma_f16 v19, v24, v33, v19
	v_pk_fma_f16 v20, v24, v34, v20
	;; [unrolled: 1-line block ×16, first 2 shown]
	ds_read2_b64 v[22:25], v82 offset0:128 offset1:160
	ds_read_b128 v[26:29], v78 offset:576
	s_waitcnt lgkmcnt(0)
	v_mul_u32_u24_sdwa v42, v26, s48 dst_sel:DWORD dst_unused:UNUSED_PAD src0_sel:WORD_0 src1_sel:DWORD
	v_mul_u32_u24_sdwa v26, v26, s48 dst_sel:DWORD dst_unused:UNUSED_PAD src0_sel:WORD_1 src1_sel:DWORD
	v_mul_u32_u24_sdwa v43, v27, s48 dst_sel:DWORD dst_unused:UNUSED_PAD src0_sel:WORD_0 src1_sel:DWORD
	v_mul_u32_u24_sdwa v27, v27, s48 dst_sel:DWORD dst_unused:UNUSED_PAD src0_sel:WORD_1 src1_sel:DWORD
	;; [unrolled: 2-line block ×4, first 2 shown]
	v_pk_fma_f16 v19, v22, v42, v19
	v_pk_fma_f16 v20, v22, v26, v20
	;; [unrolled: 1-line block ×16, first 2 shown]
	ds_read_b128 v[26:29], v78 offset:592
	s_waitcnt lgkmcnt(0)
	v_mul_u32_u24_sdwa v37, v26, s48 dst_sel:DWORD dst_unused:UNUSED_PAD src0_sel:WORD_0 src1_sel:DWORD
	v_mul_u32_u24_sdwa v26, v26, s48 dst_sel:DWORD dst_unused:UNUSED_PAD src0_sel:WORD_1 src1_sel:DWORD
	v_mul_u32_u24_sdwa v42, v27, s48 dst_sel:DWORD dst_unused:UNUSED_PAD src0_sel:WORD_0 src1_sel:DWORD
	v_mul_u32_u24_sdwa v27, v27, s48 dst_sel:DWORD dst_unused:UNUSED_PAD src0_sel:WORD_1 src1_sel:DWORD
	;; [unrolled: 2-line block ×4, first 2 shown]
	v_pk_fma_f16 v19, v24, v37, v19
	v_pk_fma_f16 v20, v24, v26, v20
	;; [unrolled: 1-line block ×16, first 2 shown]
	ds_read2_b64 v[22:25], v82 offset0:192 offset1:224
	ds_read_b128 v[26:29], v78 offset:608
	s_waitcnt lgkmcnt(0)
	v_mul_u32_u24_sdwa v42, v26, s48 dst_sel:DWORD dst_unused:UNUSED_PAD src0_sel:WORD_0 src1_sel:DWORD
	v_mul_u32_u24_sdwa v26, v26, s48 dst_sel:DWORD dst_unused:UNUSED_PAD src0_sel:WORD_1 src1_sel:DWORD
	v_mul_u32_u24_sdwa v43, v27, s48 dst_sel:DWORD dst_unused:UNUSED_PAD src0_sel:WORD_0 src1_sel:DWORD
	v_mul_u32_u24_sdwa v27, v27, s48 dst_sel:DWORD dst_unused:UNUSED_PAD src0_sel:WORD_1 src1_sel:DWORD
	;; [unrolled: 2-line block ×4, first 2 shown]
	v_pk_fma_f16 v19, v22, v42, v19
	v_pk_fma_f16 v20, v22, v26, v20
	;; [unrolled: 1-line block ×16, first 2 shown]
	ds_read_b128 v[26:29], v78 offset:624
	s_waitcnt lgkmcnt(0)
	v_mul_u32_u24_sdwa v37, v26, s48 dst_sel:DWORD dst_unused:UNUSED_PAD src0_sel:WORD_0 src1_sel:DWORD
	v_mul_u32_u24_sdwa v26, v26, s48 dst_sel:DWORD dst_unused:UNUSED_PAD src0_sel:WORD_1 src1_sel:DWORD
	v_mul_u32_u24_sdwa v42, v27, s48 dst_sel:DWORD dst_unused:UNUSED_PAD src0_sel:WORD_0 src1_sel:DWORD
	v_mul_u32_u24_sdwa v27, v27, s48 dst_sel:DWORD dst_unused:UNUSED_PAD src0_sel:WORD_1 src1_sel:DWORD
	;; [unrolled: 2-line block ×4, first 2 shown]
	v_pk_fma_f16 v19, v24, v37, v19
	v_pk_fma_f16 v20, v24, v26, v20
	;; [unrolled: 1-line block ×16, first 2 shown]
	ds_read2_b64 v[22:25], v49 offset1:32
	ds_read_b128 v[26:29], v78 offset:640
	s_waitcnt lgkmcnt(0)
	v_mul_u32_u24_sdwa v42, v26, s48 dst_sel:DWORD dst_unused:UNUSED_PAD src0_sel:WORD_0 src1_sel:DWORD
	v_mul_u32_u24_sdwa v26, v26, s48 dst_sel:DWORD dst_unused:UNUSED_PAD src0_sel:WORD_1 src1_sel:DWORD
	v_mul_u32_u24_sdwa v43, v27, s48 dst_sel:DWORD dst_unused:UNUSED_PAD src0_sel:WORD_0 src1_sel:DWORD
	v_mul_u32_u24_sdwa v27, v27, s48 dst_sel:DWORD dst_unused:UNUSED_PAD src0_sel:WORD_1 src1_sel:DWORD
	v_mul_u32_u24_sdwa v44, v28, s48 dst_sel:DWORD dst_unused:UNUSED_PAD src0_sel:WORD_0 src1_sel:DWORD
	v_mul_u32_u24_sdwa v28, v28, s48 dst_sel:DWORD dst_unused:UNUSED_PAD src0_sel:WORD_1 src1_sel:DWORD
	v_mul_u32_u24_sdwa v55, v29, s48 dst_sel:DWORD dst_unused:UNUSED_PAD src0_sel:WORD_0 src1_sel:DWORD
	v_mul_u32_u24_sdwa v29, v29, s48 dst_sel:DWORD dst_unused:UNUSED_PAD src0_sel:WORD_1 src1_sel:DWORD
	v_pk_fma_f16 v19, v22, v42, v19
	v_pk_fma_f16 v20, v22, v26, v20
	v_pk_fma_f16 v45, v22, v43, v45
	v_pk_fma_f16 v50, v22, v27, v50
	v_pk_fma_f16 v51, v22, v44, v51
	v_pk_fma_f16 v52, v22, v28, v52
	v_pk_fma_f16 v53, v22, v55, v53
	v_pk_fma_f16 v22, v22, v29, v54
	v_pk_fma_f16 v33, v23, v42, v33
	v_pk_fma_f16 v34, v23, v26, v34
	v_pk_fma_f16 v30, v23, v43, v30
	v_pk_fma_f16 v35, v23, v27, v35
	v_pk_fma_f16 v31, v23, v44, v31
	v_pk_fma_f16 v36, v23, v28, v36
	v_pk_fma_f16 v32, v23, v55, v32
	v_pk_fma_f16 v23, v23, v29, v37
	ds_read_b128 v[26:29], v78 offset:656
	s_waitcnt lgkmcnt(0)
	v_mul_u32_u24_sdwa v37, v26, s48 dst_sel:DWORD dst_unused:UNUSED_PAD src0_sel:WORD_0 src1_sel:DWORD
	v_mul_u32_u24_sdwa v26, v26, s48 dst_sel:DWORD dst_unused:UNUSED_PAD src0_sel:WORD_1 src1_sel:DWORD
	v_mul_u32_u24_sdwa v42, v27, s48 dst_sel:DWORD dst_unused:UNUSED_PAD src0_sel:WORD_0 src1_sel:DWORD
	v_mul_u32_u24_sdwa v27, v27, s48 dst_sel:DWORD dst_unused:UNUSED_PAD src0_sel:WORD_1 src1_sel:DWORD
	v_mul_u32_u24_sdwa v43, v28, s48 dst_sel:DWORD dst_unused:UNUSED_PAD src0_sel:WORD_0 src1_sel:DWORD
	v_mul_u32_u24_sdwa v28, v28, s48 dst_sel:DWORD dst_unused:UNUSED_PAD src0_sel:WORD_1 src1_sel:DWORD
	v_mul_u32_u24_sdwa v44, v29, s48 dst_sel:DWORD dst_unused:UNUSED_PAD src0_sel:WORD_0 src1_sel:DWORD
	v_mul_u32_u24_sdwa v29, v29, s48 dst_sel:DWORD dst_unused:UNUSED_PAD src0_sel:WORD_1 src1_sel:DWORD
	v_pk_fma_f16 v19, v24, v37, v19
	v_pk_fma_f16 v20, v24, v26, v20
	v_pk_fma_f16 v45, v24, v42, v45
	v_pk_fma_f16 v50, v24, v27, v50
	v_pk_fma_f16 v51, v24, v43, v51
	v_pk_fma_f16 v52, v24, v28, v52
	v_pk_fma_f16 v53, v24, v44, v53
	v_pk_fma_f16 v54, v24, v29, v22
	v_pk_fma_f16 v33, v25, v37, v33
	v_pk_fma_f16 v34, v25, v26, v34
	v_pk_fma_f16 v30, v25, v42, v30
	v_pk_fma_f16 v35, v25, v27, v35
	v_pk_fma_f16 v31, v25, v43, v31
	v_pk_fma_f16 v36, v25, v28, v36
	v_pk_fma_f16 v32, v25, v44, v32
	v_pk_fma_f16 v37, v25, v29, v23
	ds_read2_b64 v[22:25], v49 offset0:64 offset1:96
	ds_read_b128 v[26:29], v78 offset:672
	s_waitcnt lgkmcnt(0)
	v_mul_u32_u24_sdwa v42, v26, s48 dst_sel:DWORD dst_unused:UNUSED_PAD src0_sel:WORD_0 src1_sel:DWORD
	v_mul_u32_u24_sdwa v26, v26, s48 dst_sel:DWORD dst_unused:UNUSED_PAD src0_sel:WORD_1 src1_sel:DWORD
	v_mul_u32_u24_sdwa v43, v27, s48 dst_sel:DWORD dst_unused:UNUSED_PAD src0_sel:WORD_0 src1_sel:DWORD
	v_mul_u32_u24_sdwa v27, v27, s48 dst_sel:DWORD dst_unused:UNUSED_PAD src0_sel:WORD_1 src1_sel:DWORD
	v_mul_u32_u24_sdwa v44, v28, s48 dst_sel:DWORD dst_unused:UNUSED_PAD src0_sel:WORD_0 src1_sel:DWORD
	v_mul_u32_u24_sdwa v28, v28, s48 dst_sel:DWORD dst_unused:UNUSED_PAD src0_sel:WORD_1 src1_sel:DWORD
	v_mul_u32_u24_sdwa v55, v29, s48 dst_sel:DWORD dst_unused:UNUSED_PAD src0_sel:WORD_0 src1_sel:DWORD
	v_mul_u32_u24_sdwa v29, v29, s48 dst_sel:DWORD dst_unused:UNUSED_PAD src0_sel:WORD_1 src1_sel:DWORD
	v_pk_fma_f16 v19, v22, v42, v19
	v_pk_fma_f16 v20, v22, v26, v20
	v_pk_fma_f16 v45, v22, v43, v45
	v_pk_fma_f16 v50, v22, v27, v50
	v_pk_fma_f16 v51, v22, v44, v51
	v_pk_fma_f16 v52, v22, v28, v52
	v_pk_fma_f16 v53, v22, v55, v53
	v_pk_fma_f16 v22, v22, v29, v54
	v_pk_fma_f16 v33, v23, v42, v33
	v_pk_fma_f16 v34, v23, v26, v34
	v_pk_fma_f16 v30, v23, v43, v30
	v_pk_fma_f16 v35, v23, v27, v35
	v_pk_fma_f16 v31, v23, v44, v31
	v_pk_fma_f16 v36, v23, v28, v36
	v_pk_fma_f16 v32, v23, v55, v32
	v_pk_fma_f16 v23, v23, v29, v37
	ds_read_b128 v[26:29], v78 offset:688
	s_waitcnt lgkmcnt(0)
	v_mul_u32_u24_sdwa v37, v26, s48 dst_sel:DWORD dst_unused:UNUSED_PAD src0_sel:WORD_0 src1_sel:DWORD
	v_mul_u32_u24_sdwa v26, v26, s48 dst_sel:DWORD dst_unused:UNUSED_PAD src0_sel:WORD_1 src1_sel:DWORD
	v_mul_u32_u24_sdwa v42, v27, s48 dst_sel:DWORD dst_unused:UNUSED_PAD src0_sel:WORD_0 src1_sel:DWORD
	v_mul_u32_u24_sdwa v27, v27, s48 dst_sel:DWORD dst_unused:UNUSED_PAD src0_sel:WORD_1 src1_sel:DWORD
	v_mul_u32_u24_sdwa v43, v28, s48 dst_sel:DWORD dst_unused:UNUSED_PAD src0_sel:WORD_0 src1_sel:DWORD
	v_mul_u32_u24_sdwa v28, v28, s48 dst_sel:DWORD dst_unused:UNUSED_PAD src0_sel:WORD_1 src1_sel:DWORD
	v_mul_u32_u24_sdwa v44, v29, s48 dst_sel:DWORD dst_unused:UNUSED_PAD src0_sel:WORD_0 src1_sel:DWORD
	v_mul_u32_u24_sdwa v29, v29, s48 dst_sel:DWORD dst_unused:UNUSED_PAD src0_sel:WORD_1 src1_sel:DWORD
	v_pk_fma_f16 v19, v24, v37, v19
	v_pk_fma_f16 v20, v24, v26, v20
	v_pk_fma_f16 v45, v24, v42, v45
	v_pk_fma_f16 v50, v24, v27, v50
	v_pk_fma_f16 v51, v24, v43, v51
	v_pk_fma_f16 v52, v24, v28, v52
	v_pk_fma_f16 v53, v24, v44, v53
	v_pk_fma_f16 v54, v24, v29, v22
	v_pk_fma_f16 v33, v25, v37, v33
	v_pk_fma_f16 v34, v25, v26, v34
	v_pk_fma_f16 v30, v25, v42, v30
	v_pk_fma_f16 v35, v25, v27, v35
	v_pk_fma_f16 v31, v25, v43, v31
	v_pk_fma_f16 v36, v25, v28, v36
	v_pk_fma_f16 v32, v25, v44, v32
	v_pk_fma_f16 v37, v25, v29, v23
	ds_read2_b64 v[22:25], v49 offset0:128 offset1:160
	;; [unrolled: 53-line block ×3, first 2 shown]
	ds_read_b128 v[26:29], v78 offset:736
	s_waitcnt lgkmcnt(0)
	v_mul_u32_u24_sdwa v42, v26, s48 dst_sel:DWORD dst_unused:UNUSED_PAD src0_sel:WORD_0 src1_sel:DWORD
	v_mul_u32_u24_sdwa v26, v26, s48 dst_sel:DWORD dst_unused:UNUSED_PAD src0_sel:WORD_1 src1_sel:DWORD
	v_mul_u32_u24_sdwa v43, v27, s48 dst_sel:DWORD dst_unused:UNUSED_PAD src0_sel:WORD_0 src1_sel:DWORD
	v_mul_u32_u24_sdwa v27, v27, s48 dst_sel:DWORD dst_unused:UNUSED_PAD src0_sel:WORD_1 src1_sel:DWORD
	;; [unrolled: 2-line block ×4, first 2 shown]
	v_pk_fma_f16 v19, v22, v42, v19
	v_pk_fma_f16 v20, v22, v26, v20
	;; [unrolled: 1-line block ×16, first 2 shown]
	ds_read_b128 v[26:29], v78 offset:752
	s_waitcnt lgkmcnt(0)
	s_barrier
	v_mul_u32_u24_sdwa v44, v29, s48 dst_sel:DWORD dst_unused:UNUSED_PAD src0_sel:WORD_0 src1_sel:DWORD
	v_mul_u32_u24_sdwa v29, v29, s48 dst_sel:DWORD dst_unused:UNUSED_PAD src0_sel:WORD_1 src1_sel:DWORD
	v_pk_fma_f16 v55, v24, v29, v22
	v_pk_fma_f16 v71, v25, v29, v23
	v_add_co_u32_e32 v22, vcc, s6, v80
	v_mov_b32_e32 v23, s7
	v_mul_u32_u24_sdwa v37, v26, s48 dst_sel:DWORD dst_unused:UNUSED_PAD src0_sel:WORD_0 src1_sel:DWORD
	v_mul_u32_u24_sdwa v26, v26, s48 dst_sel:DWORD dst_unused:UNUSED_PAD src0_sel:WORD_1 src1_sel:DWORD
	v_mul_u32_u24_sdwa v42, v27, s48 dst_sel:DWORD dst_unused:UNUSED_PAD src0_sel:WORD_0 src1_sel:DWORD
	v_mul_u32_u24_sdwa v27, v27, s48 dst_sel:DWORD dst_unused:UNUSED_PAD src0_sel:WORD_1 src1_sel:DWORD
	v_mul_u32_u24_sdwa v43, v28, s48 dst_sel:DWORD dst_unused:UNUSED_PAD src0_sel:WORD_0 src1_sel:DWORD
	v_mul_u32_u24_sdwa v28, v28, s48 dst_sel:DWORD dst_unused:UNUSED_PAD src0_sel:WORD_1 src1_sel:DWORD
	v_addc_co_u32_e32 v23, vcc, v81, v23, vcc
	v_pk_fma_f16 v19, v24, v37, v19
	v_pk_fma_f16 v20, v24, v26, v20
	;; [unrolled: 1-line block ×14, first 2 shown]
	global_load_dwordx4 v[22:25], v[22:23], off
	s_waitcnt vmcnt(0)
	ds_write_b128 v79, v[22:25]
	s_waitcnt lgkmcnt(0)
	s_barrier
	ds_read2_b64 v[22:25], v82 offset1:32
	ds_read_b128 v[26:29], v78 offset:768
	ds_read_b128 v[30:33], v78 offset:784
	;; [unrolled: 1-line block ×4, first 2 shown]
	s_waitcnt lgkmcnt(3)
	v_mul_u32_u24_sdwa v72, v26, s48 dst_sel:DWORD dst_unused:UNUSED_PAD src0_sel:WORD_0 src1_sel:DWORD
	v_mul_u32_u24_sdwa v26, v26, s48 dst_sel:DWORD dst_unused:UNUSED_PAD src0_sel:WORD_1 src1_sel:DWORD
	v_mul_u32_u24_sdwa v89, v27, s48 dst_sel:DWORD dst_unused:UNUSED_PAD src0_sel:WORD_0 src1_sel:DWORD
	v_mul_u32_u24_sdwa v27, v27, s48 dst_sel:DWORD dst_unused:UNUSED_PAD src0_sel:WORD_1 src1_sel:DWORD
	;; [unrolled: 2-line block ×4, first 2 shown]
	v_pk_fma_f16 v19, v22, v72, v19
	v_pk_fma_f16 v20, v22, v26, v20
	;; [unrolled: 1-line block ×16, first 2 shown]
	s_waitcnt lgkmcnt(2)
	v_mul_u32_u24_sdwa v29, v30, s48 dst_sel:DWORD dst_unused:UNUSED_PAD src0_sel:WORD_0 src1_sel:DWORD
	v_mul_u32_u24_sdwa v30, v30, s48 dst_sel:DWORD dst_unused:UNUSED_PAD src0_sel:WORD_1 src1_sel:DWORD
	v_mul_u32_u24_sdwa v59, v31, s48 dst_sel:DWORD dst_unused:UNUSED_PAD src0_sel:WORD_0 src1_sel:DWORD
	v_mul_u32_u24_sdwa v31, v31, s48 dst_sel:DWORD dst_unused:UNUSED_PAD src0_sel:WORD_1 src1_sel:DWORD
	;; [unrolled: 2-line block ×4, first 2 shown]
	v_pk_fma_f16 v19, v24, v29, v19
	v_pk_fma_f16 v20, v24, v30, v20
	;; [unrolled: 1-line block ×16, first 2 shown]
	ds_read2_b64 v[22:25], v82 offset0:64 offset1:96
	s_waitcnt lgkmcnt(2)
	v_mul_u32_u24_sdwa v55, v34, s48 dst_sel:DWORD dst_unused:UNUSED_PAD src0_sel:WORD_0 src1_sel:DWORD
	v_mul_u32_u24_sdwa v34, v34, s48 dst_sel:DWORD dst_unused:UNUSED_PAD src0_sel:WORD_1 src1_sel:DWORD
	v_mul_u32_u24_sdwa v56, v35, s48 dst_sel:DWORD dst_unused:UNUSED_PAD src0_sel:WORD_0 src1_sel:DWORD
	v_mul_u32_u24_sdwa v35, v35, s48 dst_sel:DWORD dst_unused:UNUSED_PAD src0_sel:WORD_1 src1_sel:DWORD
	;; [unrolled: 2-line block ×4, first 2 shown]
	s_waitcnt lgkmcnt(0)
	v_pk_fma_f16 v19, v22, v55, v19
	v_pk_fma_f16 v20, v22, v34, v20
	;; [unrolled: 1-line block ×16, first 2 shown]
	v_mul_u32_u24_sdwa v33, v42, s48 dst_sel:DWORD dst_unused:UNUSED_PAD src0_sel:WORD_0 src1_sel:DWORD
	v_mul_u32_u24_sdwa v34, v42, s48 dst_sel:DWORD dst_unused:UNUSED_PAD src0_sel:WORD_1 src1_sel:DWORD
	v_mul_u32_u24_sdwa v35, v43, s48 dst_sel:DWORD dst_unused:UNUSED_PAD src0_sel:WORD_0 src1_sel:DWORD
	v_mul_u32_u24_sdwa v36, v43, s48 dst_sel:DWORD dst_unused:UNUSED_PAD src0_sel:WORD_1 src1_sel:DWORD
	;; [unrolled: 2-line block ×4, first 2 shown]
	v_pk_fma_f16 v19, v24, v33, v19
	v_pk_fma_f16 v20, v24, v34, v20
	;; [unrolled: 1-line block ×16, first 2 shown]
	ds_read2_b64 v[22:25], v82 offset0:128 offset1:160
	ds_read_b128 v[26:29], v78 offset:832
	s_waitcnt lgkmcnt(0)
	v_mul_u32_u24_sdwa v42, v26, s48 dst_sel:DWORD dst_unused:UNUSED_PAD src0_sel:WORD_0 src1_sel:DWORD
	v_mul_u32_u24_sdwa v26, v26, s48 dst_sel:DWORD dst_unused:UNUSED_PAD src0_sel:WORD_1 src1_sel:DWORD
	v_mul_u32_u24_sdwa v43, v27, s48 dst_sel:DWORD dst_unused:UNUSED_PAD src0_sel:WORD_0 src1_sel:DWORD
	v_mul_u32_u24_sdwa v27, v27, s48 dst_sel:DWORD dst_unused:UNUSED_PAD src0_sel:WORD_1 src1_sel:DWORD
	;; [unrolled: 2-line block ×4, first 2 shown]
	v_pk_fma_f16 v19, v22, v42, v19
	v_pk_fma_f16 v20, v22, v26, v20
	;; [unrolled: 1-line block ×16, first 2 shown]
	ds_read_b128 v[26:29], v78 offset:848
	s_waitcnt lgkmcnt(0)
	v_mul_u32_u24_sdwa v37, v26, s48 dst_sel:DWORD dst_unused:UNUSED_PAD src0_sel:WORD_0 src1_sel:DWORD
	v_mul_u32_u24_sdwa v26, v26, s48 dst_sel:DWORD dst_unused:UNUSED_PAD src0_sel:WORD_1 src1_sel:DWORD
	v_mul_u32_u24_sdwa v42, v27, s48 dst_sel:DWORD dst_unused:UNUSED_PAD src0_sel:WORD_0 src1_sel:DWORD
	v_mul_u32_u24_sdwa v27, v27, s48 dst_sel:DWORD dst_unused:UNUSED_PAD src0_sel:WORD_1 src1_sel:DWORD
	;; [unrolled: 2-line block ×4, first 2 shown]
	v_pk_fma_f16 v19, v24, v37, v19
	v_pk_fma_f16 v20, v24, v26, v20
	;; [unrolled: 1-line block ×16, first 2 shown]
	ds_read2_b64 v[22:25], v82 offset0:192 offset1:224
	ds_read_b128 v[26:29], v78 offset:864
	s_waitcnt lgkmcnt(0)
	v_mul_u32_u24_sdwa v42, v26, s48 dst_sel:DWORD dst_unused:UNUSED_PAD src0_sel:WORD_0 src1_sel:DWORD
	v_mul_u32_u24_sdwa v26, v26, s48 dst_sel:DWORD dst_unused:UNUSED_PAD src0_sel:WORD_1 src1_sel:DWORD
	v_mul_u32_u24_sdwa v43, v27, s48 dst_sel:DWORD dst_unused:UNUSED_PAD src0_sel:WORD_0 src1_sel:DWORD
	v_mul_u32_u24_sdwa v27, v27, s48 dst_sel:DWORD dst_unused:UNUSED_PAD src0_sel:WORD_1 src1_sel:DWORD
	;; [unrolled: 2-line block ×4, first 2 shown]
	v_pk_fma_f16 v19, v22, v42, v19
	v_pk_fma_f16 v20, v22, v26, v20
	;; [unrolled: 1-line block ×16, first 2 shown]
	ds_read_b128 v[26:29], v78 offset:880
	s_waitcnt lgkmcnt(0)
	v_mul_u32_u24_sdwa v37, v26, s48 dst_sel:DWORD dst_unused:UNUSED_PAD src0_sel:WORD_0 src1_sel:DWORD
	v_mul_u32_u24_sdwa v26, v26, s48 dst_sel:DWORD dst_unused:UNUSED_PAD src0_sel:WORD_1 src1_sel:DWORD
	v_mul_u32_u24_sdwa v42, v27, s48 dst_sel:DWORD dst_unused:UNUSED_PAD src0_sel:WORD_0 src1_sel:DWORD
	v_mul_u32_u24_sdwa v27, v27, s48 dst_sel:DWORD dst_unused:UNUSED_PAD src0_sel:WORD_1 src1_sel:DWORD
	;; [unrolled: 2-line block ×4, first 2 shown]
	v_pk_fma_f16 v19, v24, v37, v19
	v_pk_fma_f16 v20, v24, v26, v20
	;; [unrolled: 1-line block ×16, first 2 shown]
	ds_read2_b64 v[22:25], v49 offset1:32
	ds_read_b128 v[26:29], v78 offset:896
	s_waitcnt lgkmcnt(0)
	v_mul_u32_u24_sdwa v42, v26, s48 dst_sel:DWORD dst_unused:UNUSED_PAD src0_sel:WORD_0 src1_sel:DWORD
	v_mul_u32_u24_sdwa v26, v26, s48 dst_sel:DWORD dst_unused:UNUSED_PAD src0_sel:WORD_1 src1_sel:DWORD
	v_mul_u32_u24_sdwa v43, v27, s48 dst_sel:DWORD dst_unused:UNUSED_PAD src0_sel:WORD_0 src1_sel:DWORD
	v_mul_u32_u24_sdwa v27, v27, s48 dst_sel:DWORD dst_unused:UNUSED_PAD src0_sel:WORD_1 src1_sel:DWORD
	v_mul_u32_u24_sdwa v44, v28, s48 dst_sel:DWORD dst_unused:UNUSED_PAD src0_sel:WORD_0 src1_sel:DWORD
	v_mul_u32_u24_sdwa v28, v28, s48 dst_sel:DWORD dst_unused:UNUSED_PAD src0_sel:WORD_1 src1_sel:DWORD
	v_mul_u32_u24_sdwa v55, v29, s48 dst_sel:DWORD dst_unused:UNUSED_PAD src0_sel:WORD_0 src1_sel:DWORD
	v_mul_u32_u24_sdwa v29, v29, s48 dst_sel:DWORD dst_unused:UNUSED_PAD src0_sel:WORD_1 src1_sel:DWORD
	v_pk_fma_f16 v19, v22, v42, v19
	v_pk_fma_f16 v20, v22, v26, v20
	v_pk_fma_f16 v45, v22, v43, v45
	v_pk_fma_f16 v50, v22, v27, v50
	v_pk_fma_f16 v51, v22, v44, v51
	v_pk_fma_f16 v52, v22, v28, v52
	v_pk_fma_f16 v53, v22, v55, v53
	v_pk_fma_f16 v22, v22, v29, v54
	v_pk_fma_f16 v33, v23, v42, v33
	v_pk_fma_f16 v34, v23, v26, v34
	v_pk_fma_f16 v30, v23, v43, v30
	v_pk_fma_f16 v35, v23, v27, v35
	v_pk_fma_f16 v31, v23, v44, v31
	v_pk_fma_f16 v36, v23, v28, v36
	v_pk_fma_f16 v32, v23, v55, v32
	v_pk_fma_f16 v23, v23, v29, v37
	ds_read_b128 v[26:29], v78 offset:912
	s_waitcnt lgkmcnt(0)
	v_mul_u32_u24_sdwa v37, v26, s48 dst_sel:DWORD dst_unused:UNUSED_PAD src0_sel:WORD_0 src1_sel:DWORD
	v_mul_u32_u24_sdwa v26, v26, s48 dst_sel:DWORD dst_unused:UNUSED_PAD src0_sel:WORD_1 src1_sel:DWORD
	v_mul_u32_u24_sdwa v42, v27, s48 dst_sel:DWORD dst_unused:UNUSED_PAD src0_sel:WORD_0 src1_sel:DWORD
	v_mul_u32_u24_sdwa v27, v27, s48 dst_sel:DWORD dst_unused:UNUSED_PAD src0_sel:WORD_1 src1_sel:DWORD
	v_mul_u32_u24_sdwa v43, v28, s48 dst_sel:DWORD dst_unused:UNUSED_PAD src0_sel:WORD_0 src1_sel:DWORD
	v_mul_u32_u24_sdwa v28, v28, s48 dst_sel:DWORD dst_unused:UNUSED_PAD src0_sel:WORD_1 src1_sel:DWORD
	v_mul_u32_u24_sdwa v44, v29, s48 dst_sel:DWORD dst_unused:UNUSED_PAD src0_sel:WORD_0 src1_sel:DWORD
	v_mul_u32_u24_sdwa v29, v29, s48 dst_sel:DWORD dst_unused:UNUSED_PAD src0_sel:WORD_1 src1_sel:DWORD
	v_pk_fma_f16 v19, v24, v37, v19
	v_pk_fma_f16 v20, v24, v26, v20
	v_pk_fma_f16 v45, v24, v42, v45
	v_pk_fma_f16 v50, v24, v27, v50
	v_pk_fma_f16 v51, v24, v43, v51
	v_pk_fma_f16 v52, v24, v28, v52
	v_pk_fma_f16 v53, v24, v44, v53
	v_pk_fma_f16 v54, v24, v29, v22
	v_pk_fma_f16 v33, v25, v37, v33
	v_pk_fma_f16 v34, v25, v26, v34
	v_pk_fma_f16 v30, v25, v42, v30
	v_pk_fma_f16 v35, v25, v27, v35
	v_pk_fma_f16 v31, v25, v43, v31
	v_pk_fma_f16 v36, v25, v28, v36
	v_pk_fma_f16 v32, v25, v44, v32
	v_pk_fma_f16 v37, v25, v29, v23
	ds_read2_b64 v[22:25], v49 offset0:64 offset1:96
	ds_read_b128 v[26:29], v78 offset:928
	s_waitcnt lgkmcnt(0)
	v_mul_u32_u24_sdwa v42, v26, s48 dst_sel:DWORD dst_unused:UNUSED_PAD src0_sel:WORD_0 src1_sel:DWORD
	v_mul_u32_u24_sdwa v26, v26, s48 dst_sel:DWORD dst_unused:UNUSED_PAD src0_sel:WORD_1 src1_sel:DWORD
	v_mul_u32_u24_sdwa v43, v27, s48 dst_sel:DWORD dst_unused:UNUSED_PAD src0_sel:WORD_0 src1_sel:DWORD
	v_mul_u32_u24_sdwa v27, v27, s48 dst_sel:DWORD dst_unused:UNUSED_PAD src0_sel:WORD_1 src1_sel:DWORD
	v_mul_u32_u24_sdwa v44, v28, s48 dst_sel:DWORD dst_unused:UNUSED_PAD src0_sel:WORD_0 src1_sel:DWORD
	v_mul_u32_u24_sdwa v28, v28, s48 dst_sel:DWORD dst_unused:UNUSED_PAD src0_sel:WORD_1 src1_sel:DWORD
	v_mul_u32_u24_sdwa v55, v29, s48 dst_sel:DWORD dst_unused:UNUSED_PAD src0_sel:WORD_0 src1_sel:DWORD
	v_mul_u32_u24_sdwa v29, v29, s48 dst_sel:DWORD dst_unused:UNUSED_PAD src0_sel:WORD_1 src1_sel:DWORD
	v_pk_fma_f16 v19, v22, v42, v19
	v_pk_fma_f16 v20, v22, v26, v20
	v_pk_fma_f16 v45, v22, v43, v45
	v_pk_fma_f16 v50, v22, v27, v50
	v_pk_fma_f16 v51, v22, v44, v51
	v_pk_fma_f16 v52, v22, v28, v52
	v_pk_fma_f16 v53, v22, v55, v53
	v_pk_fma_f16 v22, v22, v29, v54
	v_pk_fma_f16 v33, v23, v42, v33
	v_pk_fma_f16 v34, v23, v26, v34
	v_pk_fma_f16 v30, v23, v43, v30
	v_pk_fma_f16 v35, v23, v27, v35
	v_pk_fma_f16 v31, v23, v44, v31
	v_pk_fma_f16 v36, v23, v28, v36
	v_pk_fma_f16 v32, v23, v55, v32
	v_pk_fma_f16 v23, v23, v29, v37
	ds_read_b128 v[26:29], v78 offset:944
	s_waitcnt lgkmcnt(0)
	v_mul_u32_u24_sdwa v37, v26, s48 dst_sel:DWORD dst_unused:UNUSED_PAD src0_sel:WORD_0 src1_sel:DWORD
	v_mul_u32_u24_sdwa v26, v26, s48 dst_sel:DWORD dst_unused:UNUSED_PAD src0_sel:WORD_1 src1_sel:DWORD
	v_mul_u32_u24_sdwa v42, v27, s48 dst_sel:DWORD dst_unused:UNUSED_PAD src0_sel:WORD_0 src1_sel:DWORD
	v_mul_u32_u24_sdwa v27, v27, s48 dst_sel:DWORD dst_unused:UNUSED_PAD src0_sel:WORD_1 src1_sel:DWORD
	v_mul_u32_u24_sdwa v43, v28, s48 dst_sel:DWORD dst_unused:UNUSED_PAD src0_sel:WORD_0 src1_sel:DWORD
	v_mul_u32_u24_sdwa v28, v28, s48 dst_sel:DWORD dst_unused:UNUSED_PAD src0_sel:WORD_1 src1_sel:DWORD
	v_mul_u32_u24_sdwa v44, v29, s48 dst_sel:DWORD dst_unused:UNUSED_PAD src0_sel:WORD_0 src1_sel:DWORD
	v_mul_u32_u24_sdwa v29, v29, s48 dst_sel:DWORD dst_unused:UNUSED_PAD src0_sel:WORD_1 src1_sel:DWORD
	v_pk_fma_f16 v19, v24, v37, v19
	v_pk_fma_f16 v20, v24, v26, v20
	v_pk_fma_f16 v45, v24, v42, v45
	v_pk_fma_f16 v50, v24, v27, v50
	v_pk_fma_f16 v51, v24, v43, v51
	v_pk_fma_f16 v52, v24, v28, v52
	v_pk_fma_f16 v53, v24, v44, v53
	v_pk_fma_f16 v54, v24, v29, v22
	v_pk_fma_f16 v33, v25, v37, v33
	v_pk_fma_f16 v34, v25, v26, v34
	v_pk_fma_f16 v30, v25, v42, v30
	v_pk_fma_f16 v35, v25, v27, v35
	v_pk_fma_f16 v31, v25, v43, v31
	v_pk_fma_f16 v36, v25, v28, v36
	v_pk_fma_f16 v32, v25, v44, v32
	v_pk_fma_f16 v37, v25, v29, v23
	ds_read2_b64 v[22:25], v49 offset0:128 offset1:160
	ds_read_b128 v[26:29], v78 offset:960
	s_waitcnt lgkmcnt(0)
	v_mul_u32_u24_sdwa v42, v26, s48 dst_sel:DWORD dst_unused:UNUSED_PAD src0_sel:WORD_0 src1_sel:DWORD
	v_mul_u32_u24_sdwa v26, v26, s48 dst_sel:DWORD dst_unused:UNUSED_PAD src0_sel:WORD_1 src1_sel:DWORD
	v_mul_u32_u24_sdwa v43, v27, s48 dst_sel:DWORD dst_unused:UNUSED_PAD src0_sel:WORD_0 src1_sel:DWORD
	v_mul_u32_u24_sdwa v27, v27, s48 dst_sel:DWORD dst_unused:UNUSED_PAD src0_sel:WORD_1 src1_sel:DWORD
	v_mul_u32_u24_sdwa v44, v28, s48 dst_sel:DWORD dst_unused:UNUSED_PAD src0_sel:WORD_0 src1_sel:DWORD
	v_mul_u32_u24_sdwa v28, v28, s48 dst_sel:DWORD dst_unused:UNUSED_PAD src0_sel:WORD_1 src1_sel:DWORD
	v_mul_u32_u24_sdwa v55, v29, s48 dst_sel:DWORD dst_unused:UNUSED_PAD src0_sel:WORD_0 src1_sel:DWORD
	v_mul_u32_u24_sdwa v29, v29, s48 dst_sel:DWORD dst_unused:UNUSED_PAD src0_sel:WORD_1 src1_sel:DWORD
	v_pk_fma_f16 v19, v22, v42, v19
	v_pk_fma_f16 v20, v22, v26, v20
	v_pk_fma_f16 v45, v22, v43, v45
	v_pk_fma_f16 v50, v22, v27, v50
	v_pk_fma_f16 v51, v22, v44, v51
	v_pk_fma_f16 v52, v22, v28, v52
	v_pk_fma_f16 v53, v22, v55, v53
	v_pk_fma_f16 v22, v22, v29, v54
	v_pk_fma_f16 v33, v23, v42, v33
	v_pk_fma_f16 v34, v23, v26, v34
	v_pk_fma_f16 v30, v23, v43, v30
	v_pk_fma_f16 v35, v23, v27, v35
	v_pk_fma_f16 v31, v23, v44, v31
	v_pk_fma_f16 v36, v23, v28, v36
	v_pk_fma_f16 v32, v23, v55, v32
	v_pk_fma_f16 v23, v23, v29, v37
	ds_read_b128 v[26:29], v78 offset:976
	s_waitcnt lgkmcnt(0)
	v_mul_u32_u24_sdwa v37, v26, s48 dst_sel:DWORD dst_unused:UNUSED_PAD src0_sel:WORD_0 src1_sel:DWORD
	v_mul_u32_u24_sdwa v26, v26, s48 dst_sel:DWORD dst_unused:UNUSED_PAD src0_sel:WORD_1 src1_sel:DWORD
	v_mul_u32_u24_sdwa v42, v27, s48 dst_sel:DWORD dst_unused:UNUSED_PAD src0_sel:WORD_0 src1_sel:DWORD
	v_mul_u32_u24_sdwa v27, v27, s48 dst_sel:DWORD dst_unused:UNUSED_PAD src0_sel:WORD_1 src1_sel:DWORD
	v_mul_u32_u24_sdwa v43, v28, s48 dst_sel:DWORD dst_unused:UNUSED_PAD src0_sel:WORD_0 src1_sel:DWORD
	v_mul_u32_u24_sdwa v28, v28, s48 dst_sel:DWORD dst_unused:UNUSED_PAD src0_sel:WORD_1 src1_sel:DWORD
	v_mul_u32_u24_sdwa v44, v29, s48 dst_sel:DWORD dst_unused:UNUSED_PAD src0_sel:WORD_0 src1_sel:DWORD
	v_mul_u32_u24_sdwa v29, v29, s48 dst_sel:DWORD dst_unused:UNUSED_PAD src0_sel:WORD_1 src1_sel:DWORD
	v_pk_fma_f16 v19, v24, v37, v19
	v_pk_fma_f16 v20, v24, v26, v20
	v_pk_fma_f16 v45, v24, v42, v45
	v_pk_fma_f16 v50, v24, v27, v50
	v_pk_fma_f16 v51, v24, v43, v51
	v_pk_fma_f16 v52, v24, v28, v52
	v_pk_fma_f16 v53, v24, v44, v53
	v_pk_fma_f16 v54, v24, v29, v22
	v_pk_fma_f16 v33, v25, v37, v33
	v_pk_fma_f16 v34, v25, v26, v34
	v_pk_fma_f16 v30, v25, v42, v30
	v_pk_fma_f16 v35, v25, v27, v35
	v_pk_fma_f16 v31, v25, v43, v31
	v_pk_fma_f16 v36, v25, v28, v36
	v_pk_fma_f16 v32, v25, v44, v32
	v_pk_fma_f16 v37, v25, v29, v23
	ds_read2_b64 v[22:25], v49 offset0:192 offset1:224
	ds_read_b128 v[26:29], v78 offset:992
	s_waitcnt lgkmcnt(0)
	v_mul_u32_u24_sdwa v42, v26, s48 dst_sel:DWORD dst_unused:UNUSED_PAD src0_sel:WORD_0 src1_sel:DWORD
	v_mul_u32_u24_sdwa v26, v26, s48 dst_sel:DWORD dst_unused:UNUSED_PAD src0_sel:WORD_1 src1_sel:DWORD
	v_mul_u32_u24_sdwa v43, v27, s48 dst_sel:DWORD dst_unused:UNUSED_PAD src0_sel:WORD_0 src1_sel:DWORD
	v_mul_u32_u24_sdwa v27, v27, s48 dst_sel:DWORD dst_unused:UNUSED_PAD src0_sel:WORD_1 src1_sel:DWORD
	;; [unrolled: 2-line block ×4, first 2 shown]
	v_pk_fma_f16 v19, v22, v42, v19
	v_pk_fma_f16 v20, v22, v26, v20
	;; [unrolled: 1-line block ×16, first 2 shown]
	ds_read_b128 v[26:29], v78 offset:1008
	s_waitcnt lgkmcnt(0)
	s_barrier
	s_load_dword s6, s[12:13], 0x4
	v_mul_u32_u24_sdwa v37, v26, s48 dst_sel:DWORD dst_unused:UNUSED_PAD src0_sel:WORD_0 src1_sel:DWORD
	v_mul_u32_u24_sdwa v26, v26, s48 dst_sel:DWORD dst_unused:UNUSED_PAD src0_sel:WORD_1 src1_sel:DWORD
	v_mul_u32_u24_sdwa v42, v27, s48 dst_sel:DWORD dst_unused:UNUSED_PAD src0_sel:WORD_0 src1_sel:DWORD
	v_mul_u32_u24_sdwa v27, v27, s48 dst_sel:DWORD dst_unused:UNUSED_PAD src0_sel:WORD_1 src1_sel:DWORD
	s_waitcnt lgkmcnt(0)
	s_lshl_b32 s6, s6, 6
	v_mul_u32_u24_sdwa v43, v28, s48 dst_sel:DWORD dst_unused:UNUSED_PAD src0_sel:WORD_0 src1_sel:DWORD
	v_mul_u32_u24_sdwa v28, v28, s48 dst_sel:DWORD dst_unused:UNUSED_PAD src0_sel:WORD_1 src1_sel:DWORD
	v_mul_u32_u24_sdwa v44, v29, s48 dst_sel:DWORD dst_unused:UNUSED_PAD src0_sel:WORD_0 src1_sel:DWORD
	v_mul_u32_u24_sdwa v29, v29, s48 dst_sel:DWORD dst_unused:UNUSED_PAD src0_sel:WORD_1 src1_sel:DWORD
	s_add_i32 s16, s6, s16
	v_pk_fma_f16 v71, v24, v37, v19
	v_pk_fma_f16 v62, v24, v26, v20
	;; [unrolled: 1-line block ×16, first 2 shown]
	s_cmp_lt_i32 s16, s39
	s_cbranch_scc0 .LBB86_116
; %bb.105:                              ;   in Loop: Header=BB86_8 Depth=1
	v_mov_b32_e32 v104, v2
	v_mov_b32_e32 v103, v3
	;; [unrolled: 1-line block ×16, first 2 shown]
	s_branch .LBB86_8
.LBB86_106:                             ;   in Loop: Header=BB86_8 Depth=1
	v_mov_b32_e32 v111, 0
	v_cmp_nlt_f32_e64 s[14:15], |v110|, s43
                                        ; implicit-def: $vgpr6
	s_and_saveexec_b64 s[50:51], s[14:15]
	s_xor_b64 s[14:15], exec, s[50:51]
	s_cbranch_execz .LBB86_15
	s_branch .LBB86_14
.LBB86_107:                             ;   in Loop: Header=BB86_8 Depth=1
	v_mov_b32_e32 v109, 0
	v_cmp_nlt_f32_e64 s[14:15], |v108|, s43
                                        ; implicit-def: $vgpr6
	s_and_saveexec_b64 s[50:51], s[14:15]
	s_xor_b64 s[14:15], exec, s[50:51]
	s_cbranch_execz .LBB86_27
	s_branch .LBB86_26
.LBB86_108:                             ;   in Loop: Header=BB86_8 Depth=1
	v_mov_b32_e32 v107, 0
	v_cmp_nlt_f32_e64 s[14:15], |v106|, s43
                                        ; implicit-def: $vgpr6
	s_and_saveexec_b64 s[50:51], s[14:15]
	s_xor_b64 s[14:15], exec, s[50:51]
	s_cbranch_execz .LBB86_39
	s_branch .LBB86_38
.LBB86_109:                             ;   in Loop: Header=BB86_8 Depth=1
	v_mov_b32_e32 v105, 0
	v_cmp_nlt_f32_e64 s[14:15], |v70|, s43
                                        ; implicit-def: $vgpr6
	s_and_saveexec_b64 s[50:51], s[14:15]
	s_xor_b64 s[14:15], exec, s[50:51]
	s_cbranch_execz .LBB86_51
	s_branch .LBB86_50
.LBB86_110:                             ;   in Loop: Header=BB86_8 Depth=1
	v_mov_b32_e32 v118, 0
	v_cmp_nlt_f32_e64 s[14:15], |v68|, s43
                                        ; implicit-def: $vgpr7
	s_and_saveexec_b64 s[50:51], s[14:15]
	s_xor_b64 s[14:15], exec, s[50:51]
	s_cbranch_execz .LBB86_63
	s_branch .LBB86_62
.LBB86_111:                             ;   in Loop: Header=BB86_8 Depth=1
	v_mov_b32_e32 v68, 0
	v_cmp_nlt_f32_e64 s[14:15], |v66|, s43
                                        ; implicit-def: $vgpr70
	s_and_saveexec_b64 s[50:51], s[14:15]
	s_xor_b64 s[14:15], exec, s[50:51]
	s_cbranch_execz .LBB86_75
	s_branch .LBB86_74
.LBB86_112:                             ;   in Loop: Header=BB86_8 Depth=1
	v_mov_b32_e32 v121, 0
	v_cmp_nlt_f32_e64 s[14:15], |v64|, s43
                                        ; implicit-def: $vgpr70
	s_and_saveexec_b64 s[50:51], s[14:15]
	s_xor_b64 s[14:15], exec, s[50:51]
	s_cbranch_execz .LBB86_87
	s_branch .LBB86_86
.LBB86_113:                             ;   in Loop: Header=BB86_8 Depth=1
	v_mov_b32_e32 v61, 0
	v_cmp_nlt_f32_e64 s[14:15], |v9|, s43
                                        ; implicit-def: $vgpr4
	s_and_saveexec_b64 s[50:51], s[14:15]
	s_xor_b64 s[14:15], exec, s[50:51]
	s_cbranch_execz .LBB86_99
	s_branch .LBB86_98
.LBB86_114:
	v_mov_b32_e32 v71, 0
	v_mov_b32_e32 v9, 0xfeffffff
	;; [unrolled: 1-line block ×31, first 2 shown]
	s_cmp_gt_i32 s42, s16
	s_cbranch_scc0 .LBB86_117
.LBB86_115:
                                        ; implicit-def: $vgpr77
                                        ; implicit-def: $vgpr78
                                        ; implicit-def: $vgpr79
                                        ; implicit-def: $vgpr82
                                        ; implicit-def: $vgpr80
                                        ; implicit-def: $vgpr83
                                        ; implicit-def: $vgpr81
                                        ; implicit-def: $vgpr10_vgpr11_vgpr12_vgpr13_vgpr14_vgpr15_vgpr16_vgpr17
	s_branch .LBB86_118
.LBB86_116:
	buffer_load_dword v115, off, s[0:3], 0 offset:24 ; 4-byte Folded Reload
	buffer_load_dword v116, off, s[0:3], 0 offset:16 ; 4-byte Folded Reload
	buffer_load_dword v119, off, s[0:3], 0 offset:20 ; 4-byte Folded Reload
	buffer_load_dword v20, off, s[0:3], 0 offset:28 ; 4-byte Folded Reload
	v_or_b32_e32 v108, 7, v39
	v_mov_b32_e32 v109, v47
	v_or_b32_e32 v110, 6, v39
	v_mov_b32_e32 v111, v73
	v_or_b32_e32 v112, 5, v39
	v_or_b32_e32 v113, 4, v39
	v_lshlrev_b32_e32 v114, 2, v0
	v_or_b32_e32 v117, 3, v39
	v_or_b32_e32 v118, 2, v39
	;; [unrolled: 1-line block ×3, first 2 shown]
	v_mov_b32_e32 v121, v74
	v_lshrrev_b32_e32 v122, 4, v0
	v_or_b32_e32 v123, 7, v41
	v_or_b32_e32 v124, 6, v41
	;; [unrolled: 1-line block ×4, first 2 shown]
	v_mbcnt_lo_u32_b32 v19, -1, 0
	v_lshrrev_b32_e32 v22, 2, v0
	s_cmp_gt_i32 s42, s16
	s_cbranch_scc1 .LBB86_115
.LBB86_117:
	v_mbcnt_hi_u32_b32 v77, -1, v19
	v_and_b32_e32 v10, 0x60, v77
	v_add_u32_e32 v78, 32, v10
	v_mov_b32_e32 v17, v9
	v_xor_b32_e32 v79, 16, v77
	v_xor_b32_e32 v82, 8, v77
	v_xor_b32_e32 v80, 4, v77
	v_xor_b32_e32 v83, 2, v77
	v_xor_b32_e32 v81, 1, v77
	v_mov_b32_e32 v16, v8
	v_mov_b32_e32 v15, v7
	;; [unrolled: 1-line block ×7, first 2 shown]
	s_cbranch_execnz .LBB86_263
.LBB86_118:
	v_mov_b32_e32 v47, v19
	v_add_u32_e32 v19, v22, v39
	v_mul_lo_u32 v10, s36, v19
	s_mul_hi_i32 s11, s16, s36
	s_mul_i32 s10, s16, s36
	s_mov_b64 s[6:7], src_private_base
	s_sub_i32 s39, s42, s16
	s_lshl_b64 s[10:11], s[10:11], 2
	v_ashrrev_i32_e32 v11, 31, v10
	s_add_u32 s6, s37, s10
	v_lshlrev_b64 v[10:11], 2, v[10:11]
	s_addc_u32 s10, s38, s11
	v_mov_b32_e32 v12, s10
	v_add_co_u32_e32 v10, vcc, s6, v10
	v_addc_co_u32_e32 v11, vcc, v12, v11, vcc
	s_waitcnt vmcnt(0)
	v_lshlrev_b32_e32 v20, 2, v20
	v_add_co_u32_e32 v80, vcc, v10, v20
	v_addc_co_u32_e32 v81, vcc, 0, v11, vcc
	v_mov_b32_e32 v82, 0
	v_mov_b32_e32 v83, s7
	v_cmp_gt_i32_e32 vcc, s39, v19
	v_mov_b32_e32 v90, 0
	buffer_store_dword v82, off, s[0:3], 0
	buffer_store_dword v82, off, s[0:3], 0 offset:4
	buffer_store_dword v82, off, s[0:3], 0 offset:8
	;; [unrolled: 1-line block ×3, first 2 shown]
	v_cndmask_b32_e32 v11, v83, v81, vcc
	v_cndmask_b32_e32 v10, v90, v80, vcc
	flat_load_dwordx4 v[10:13], v[10:11]
	s_movk_i32 s6, 0x50
	v_mul_u32_u24_e32 v79, 0x50, v0
	v_mov_b32_e32 v77, 0
	v_mad_u32_u24 v91, v19, s6, v20
	v_mov_b32_e32 v88, 0
	v_mov_b32_e32 v87, 0
	;; [unrolled: 1-line block ×15, first 2 shown]
	s_waitcnt vmcnt(0) lgkmcnt(0)
	ds_write_b128 v91, v[10:13] offset:24576
	s_waitcnt lgkmcnt(0)
	s_barrier
	ds_read_b128 v[10:13], v79 offset:24576
	ds_read_b128 v[22:25], v79 offset:27136
	ds_read_b128 v[26:29], v46
	ds_read_b128 v[30:33], v46 offset:256
	ds_read_b128 v[34:37], v46 offset:512
	;; [unrolled: 1-line block ×7, first 2 shown]
	s_waitcnt lgkmcnt(7)
	;;#ASMSTART
	v_dot2_f32_f16 v77, v10, v26, v77
	;;#ASMEND
	;;#ASMSTART
	v_dot2_f32_f16 v77, v11, v27, v77
	;;#ASMEND
	;;#ASMSTART
	v_dot2_f32_f16 v77, v12, v28, v77
	;;#ASMEND
	;;#ASMSTART
	v_dot2_f32_f16 v77, v13, v29, v77
	;;#ASMEND
	s_waitcnt lgkmcnt(6)
	;;#ASMSTART
	v_dot2_f32_f16 v88, v10, v30, v88
	;;#ASMEND
	;;#ASMSTART
	v_dot2_f32_f16 v88, v11, v31, v88
	;;#ASMEND
	;;#ASMSTART
	v_dot2_f32_f16 v88, v12, v32, v88
	;;#ASMEND
	;;#ASMSTART
	v_dot2_f32_f16 v88, v13, v33, v88
	;;#ASMEND
	;; [unrolled: 13-line block ×8, first 2 shown]
	;;#ASMSTART
	v_dot2_f32_f16 v78, v22, v26, v78
	;;#ASMEND
	;;#ASMSTART
	v_dot2_f32_f16 v78, v23, v27, v78
	;;#ASMEND
	;; [unrolled: 3-line block ×32, first 2 shown]
	ds_read_b128 v[22:25], v79 offset:24592
	ds_read_b128 v[10:13], v79 offset:27152
	;; [unrolled: 1-line block ×10, first 2 shown]
	s_waitcnt lgkmcnt(7)
	;;#ASMSTART
	v_dot2_f32_f16 v77, v22, v26, v77
	;;#ASMEND
	;;#ASMSTART
	v_dot2_f32_f16 v77, v23, v27, v77
	;;#ASMEND
	;;#ASMSTART
	v_dot2_f32_f16 v77, v24, v28, v77
	;;#ASMEND
	;;#ASMSTART
	v_dot2_f32_f16 v77, v25, v29, v77
	;;#ASMEND
	s_waitcnt lgkmcnt(6)
	;;#ASMSTART
	v_dot2_f32_f16 v88, v22, v30, v88
	;;#ASMEND
	;;#ASMSTART
	v_dot2_f32_f16 v88, v23, v31, v88
	;;#ASMEND
	;;#ASMSTART
	v_dot2_f32_f16 v88, v24, v32, v88
	;;#ASMEND
	;;#ASMSTART
	v_dot2_f32_f16 v88, v25, v33, v88
	;;#ASMEND
	;; [unrolled: 13-line block ×8, first 2 shown]
	;;#ASMSTART
	v_dot2_f32_f16 v78, v10, v26, v78
	;;#ASMEND
	;;#ASMSTART
	v_dot2_f32_f16 v78, v11, v27, v78
	;;#ASMEND
	;; [unrolled: 3-line block ×32, first 2 shown]
	ds_read_b128 v[22:25], v79 offset:24608
	ds_read_b128 v[10:13], v79 offset:27168
	;; [unrolled: 1-line block ×10, first 2 shown]
	s_waitcnt lgkmcnt(7)
	;;#ASMSTART
	v_dot2_f32_f16 v77, v22, v26, v77
	;;#ASMEND
	;;#ASMSTART
	v_dot2_f32_f16 v77, v23, v27, v77
	;;#ASMEND
	;;#ASMSTART
	v_dot2_f32_f16 v77, v24, v28, v77
	;;#ASMEND
	;;#ASMSTART
	v_dot2_f32_f16 v77, v25, v29, v77
	;;#ASMEND
	s_waitcnt lgkmcnt(6)
	;;#ASMSTART
	v_dot2_f32_f16 v88, v22, v30, v88
	;;#ASMEND
	;;#ASMSTART
	v_dot2_f32_f16 v88, v23, v31, v88
	;;#ASMEND
	;;#ASMSTART
	v_dot2_f32_f16 v88, v24, v32, v88
	;;#ASMEND
	;;#ASMSTART
	v_dot2_f32_f16 v88, v25, v33, v88
	;;#ASMEND
	;; [unrolled: 13-line block ×8, first 2 shown]
	;;#ASMSTART
	v_dot2_f32_f16 v78, v10, v26, v78
	;;#ASMEND
	;;#ASMSTART
	v_dot2_f32_f16 v78, v11, v27, v78
	;;#ASMEND
	;; [unrolled: 3-line block ×32, first 2 shown]
	ds_read_b128 v[22:25], v79 offset:24624
	ds_read_b128 v[10:13], v79 offset:27184
	;; [unrolled: 1-line block ×10, first 2 shown]
	s_waitcnt lgkmcnt(7)
	;;#ASMSTART
	v_dot2_f32_f16 v77, v22, v26, v77
	;;#ASMEND
	;;#ASMSTART
	v_dot2_f32_f16 v77, v23, v27, v77
	;;#ASMEND
	;;#ASMSTART
	v_dot2_f32_f16 v77, v24, v28, v77
	;;#ASMEND
	;;#ASMSTART
	v_dot2_f32_f16 v77, v25, v29, v77
	;;#ASMEND
	s_waitcnt lgkmcnt(6)
	;;#ASMSTART
	v_dot2_f32_f16 v88, v22, v30, v88
	;;#ASMEND
	;;#ASMSTART
	v_dot2_f32_f16 v88, v23, v31, v88
	;;#ASMEND
	;;#ASMSTART
	v_dot2_f32_f16 v88, v24, v32, v88
	;;#ASMEND
	;;#ASMSTART
	v_dot2_f32_f16 v88, v25, v33, v88
	;;#ASMEND
	;; [unrolled: 13-line block ×8, first 2 shown]
	;;#ASMSTART
	v_dot2_f32_f16 v78, v10, v26, v78
	;;#ASMEND
	;;#ASMSTART
	v_dot2_f32_f16 v78, v11, v27, v78
	;;#ASMEND
	;; [unrolled: 3-line block ×30, first 2 shown]
	v_add_co_u32_e64 v10, s[6:7], 64, v80
	;;#ASMSTART
	v_dot2_f32_f16 v14, v12, v106, v14
	;;#ASMEND
	v_addc_co_u32_e64 v11, s[6:7], 0, v81, s[6:7]
	;;#ASMSTART
	v_dot2_f32_f16 v14, v13, v107, v14
	;;#ASMEND
	s_barrier
	buffer_store_dword v82, off, s[0:3], 0
	buffer_store_dword v82, off, s[0:3], 0 offset:4
	buffer_store_dword v82, off, s[0:3], 0 offset:8
	;; [unrolled: 1-line block ×3, first 2 shown]
	v_cndmask_b32_e32 v11, v83, v11, vcc
	v_cndmask_b32_e32 v10, v90, v10, vcc
	flat_load_dwordx4 v[10:13], v[10:11]
	s_movk_i32 s6, 0x80
	s_waitcnt vmcnt(0) lgkmcnt(0)
	ds_write_b128 v91, v[10:13] offset:24576
	s_waitcnt lgkmcnt(0)
	s_barrier
	ds_read_b128 v[22:25], v79 offset:24576
	ds_read_b128 v[10:13], v79 offset:27136
	ds_read_b128 v[26:29], v46 offset:64
	ds_read_b128 v[30:33], v46 offset:320
	ds_read_b128 v[34:37], v46 offset:576
	ds_read_b128 v[42:45], v46 offset:832
	ds_read_b128 v[92:95], v46 offset:1088
	ds_read_b128 v[96:99], v46 offset:1344
	ds_read_b128 v[100:103], v46 offset:1600
	ds_read_b128 v[104:107], v46 offset:1856
	s_waitcnt lgkmcnt(7)
	;;#ASMSTART
	v_dot2_f32_f16 v77, v22, v26, v77
	;;#ASMEND
	;;#ASMSTART
	v_dot2_f32_f16 v77, v23, v27, v77
	;;#ASMEND
	;;#ASMSTART
	v_dot2_f32_f16 v77, v24, v28, v77
	;;#ASMEND
	;;#ASMSTART
	v_dot2_f32_f16 v77, v25, v29, v77
	;;#ASMEND
	s_waitcnt lgkmcnt(6)
	;;#ASMSTART
	v_dot2_f32_f16 v88, v22, v30, v88
	;;#ASMEND
	;;#ASMSTART
	v_dot2_f32_f16 v88, v23, v31, v88
	;;#ASMEND
	;;#ASMSTART
	v_dot2_f32_f16 v88, v24, v32, v88
	;;#ASMEND
	;;#ASMSTART
	v_dot2_f32_f16 v88, v25, v33, v88
	;;#ASMEND
	;; [unrolled: 13-line block ×8, first 2 shown]
	;;#ASMSTART
	v_dot2_f32_f16 v78, v10, v26, v78
	;;#ASMEND
	;;#ASMSTART
	v_dot2_f32_f16 v78, v11, v27, v78
	;;#ASMEND
	;; [unrolled: 3-line block ×32, first 2 shown]
	ds_read_b128 v[22:25], v79 offset:24592
	ds_read_b128 v[10:13], v79 offset:27152
	;; [unrolled: 1-line block ×10, first 2 shown]
	s_waitcnt lgkmcnt(7)
	;;#ASMSTART
	v_dot2_f32_f16 v77, v22, v26, v77
	;;#ASMEND
	;;#ASMSTART
	v_dot2_f32_f16 v77, v23, v27, v77
	;;#ASMEND
	;;#ASMSTART
	v_dot2_f32_f16 v77, v24, v28, v77
	;;#ASMEND
	;;#ASMSTART
	v_dot2_f32_f16 v77, v25, v29, v77
	;;#ASMEND
	s_waitcnt lgkmcnt(6)
	;;#ASMSTART
	v_dot2_f32_f16 v88, v22, v30, v88
	;;#ASMEND
	;;#ASMSTART
	v_dot2_f32_f16 v88, v23, v31, v88
	;;#ASMEND
	;;#ASMSTART
	v_dot2_f32_f16 v88, v24, v32, v88
	;;#ASMEND
	;;#ASMSTART
	v_dot2_f32_f16 v88, v25, v33, v88
	;;#ASMEND
	;; [unrolled: 13-line block ×8, first 2 shown]
	;;#ASMSTART
	v_dot2_f32_f16 v78, v10, v26, v78
	;;#ASMEND
	;;#ASMSTART
	v_dot2_f32_f16 v78, v11, v27, v78
	;;#ASMEND
	;;#ASMSTART
	v_dot2_f32_f16 v78, v12, v28, v78
	;;#ASMEND
	;;#ASMSTART
	v_dot2_f32_f16 v78, v13, v29, v78
	;;#ASMEND
	;;#ASMSTART
	v_dot2_f32_f16 v89, v10, v30, v89
	;;#ASMEND
	;;#ASMSTART
	v_dot2_f32_f16 v89, v11, v31, v89
	;;#ASMEND
	;;#ASMSTART
	v_dot2_f32_f16 v89, v12, v32, v89
	;;#ASMEND
	;;#ASMSTART
	v_dot2_f32_f16 v89, v13, v33, v89
	;;#ASMEND
	;;#ASMSTART
	v_dot2_f32_f16 v86, v10, v34, v86
	;;#ASMEND
	;;#ASMSTART
	v_dot2_f32_f16 v86, v11, v35, v86
	;;#ASMEND
	;;#ASMSTART
	v_dot2_f32_f16 v86, v12, v36, v86
	;;#ASMEND
	;;#ASMSTART
	v_dot2_f32_f16 v86, v13, v37, v86
	;;#ASMEND
	;;#ASMSTART
	v_dot2_f32_f16 v84, v10, v42, v84
	;;#ASMEND
	;;#ASMSTART
	v_dot2_f32_f16 v84, v11, v43, v84
	;;#ASMEND
	;;#ASMSTART
	v_dot2_f32_f16 v84, v12, v44, v84
	;;#ASMEND
	;;#ASMSTART
	v_dot2_f32_f16 v84, v13, v45, v84
	;;#ASMEND
	;;#ASMSTART
	v_dot2_f32_f16 v75, v10, v92, v75
	;;#ASMEND
	;;#ASMSTART
	v_dot2_f32_f16 v75, v11, v93, v75
	;;#ASMEND
	;;#ASMSTART
	v_dot2_f32_f16 v75, v12, v94, v75
	;;#ASMEND
	;;#ASMSTART
	v_dot2_f32_f16 v75, v13, v95, v75
	;;#ASMEND
	;;#ASMSTART
	v_dot2_f32_f16 v73, v10, v96, v73
	;;#ASMEND
	;;#ASMSTART
	v_dot2_f32_f16 v73, v11, v97, v73
	;;#ASMEND
	;;#ASMSTART
	v_dot2_f32_f16 v73, v12, v98, v73
	;;#ASMEND
	;;#ASMSTART
	v_dot2_f32_f16 v73, v13, v99, v73
	;;#ASMEND
	;;#ASMSTART
	v_dot2_f32_f16 v16, v10, v100, v16
	;;#ASMEND
	;;#ASMSTART
	v_dot2_f32_f16 v16, v11, v101, v16
	;;#ASMEND
	;;#ASMSTART
	v_dot2_f32_f16 v16, v12, v102, v16
	;;#ASMEND
	;;#ASMSTART
	v_dot2_f32_f16 v16, v13, v103, v16
	;;#ASMEND
	;;#ASMSTART
	v_dot2_f32_f16 v14, v10, v104, v14
	;;#ASMEND
	;;#ASMSTART
	v_dot2_f32_f16 v14, v11, v105, v14
	;;#ASMEND
	;;#ASMSTART
	v_dot2_f32_f16 v14, v12, v106, v14
	;;#ASMEND
	;;#ASMSTART
	v_dot2_f32_f16 v14, v13, v107, v14
	;;#ASMEND
	ds_read_b128 v[22:25], v79 offset:24608
	ds_read_b128 v[10:13], v79 offset:27168
	;; [unrolled: 1-line block ×10, first 2 shown]
	s_waitcnt lgkmcnt(7)
	;;#ASMSTART
	v_dot2_f32_f16 v77, v22, v26, v77
	;;#ASMEND
	;;#ASMSTART
	v_dot2_f32_f16 v77, v23, v27, v77
	;;#ASMEND
	;;#ASMSTART
	v_dot2_f32_f16 v77, v24, v28, v77
	;;#ASMEND
	;;#ASMSTART
	v_dot2_f32_f16 v77, v25, v29, v77
	;;#ASMEND
	s_waitcnt lgkmcnt(6)
	;;#ASMSTART
	v_dot2_f32_f16 v88, v22, v30, v88
	;;#ASMEND
	;;#ASMSTART
	v_dot2_f32_f16 v88, v23, v31, v88
	;;#ASMEND
	;;#ASMSTART
	v_dot2_f32_f16 v88, v24, v32, v88
	;;#ASMEND
	;;#ASMSTART
	v_dot2_f32_f16 v88, v25, v33, v88
	;;#ASMEND
	;; [unrolled: 13-line block ×8, first 2 shown]
	;;#ASMSTART
	v_dot2_f32_f16 v78, v10, v26, v78
	;;#ASMEND
	;;#ASMSTART
	v_dot2_f32_f16 v78, v11, v27, v78
	;;#ASMEND
	;;#ASMSTART
	v_dot2_f32_f16 v78, v12, v28, v78
	;;#ASMEND
	;;#ASMSTART
	v_dot2_f32_f16 v78, v13, v29, v78
	;;#ASMEND
	;;#ASMSTART
	v_dot2_f32_f16 v89, v10, v30, v89
	;;#ASMEND
	;;#ASMSTART
	v_dot2_f32_f16 v89, v11, v31, v89
	;;#ASMEND
	;;#ASMSTART
	v_dot2_f32_f16 v89, v12, v32, v89
	;;#ASMEND
	;;#ASMSTART
	v_dot2_f32_f16 v89, v13, v33, v89
	;;#ASMEND
	;;#ASMSTART
	v_dot2_f32_f16 v86, v10, v34, v86
	;;#ASMEND
	;;#ASMSTART
	v_dot2_f32_f16 v86, v11, v35, v86
	;;#ASMEND
	;;#ASMSTART
	v_dot2_f32_f16 v86, v12, v36, v86
	;;#ASMEND
	;;#ASMSTART
	v_dot2_f32_f16 v86, v13, v37, v86
	;;#ASMEND
	;;#ASMSTART
	v_dot2_f32_f16 v84, v10, v42, v84
	;;#ASMEND
	;;#ASMSTART
	v_dot2_f32_f16 v84, v11, v43, v84
	;;#ASMEND
	;;#ASMSTART
	v_dot2_f32_f16 v84, v12, v44, v84
	;;#ASMEND
	;;#ASMSTART
	v_dot2_f32_f16 v84, v13, v45, v84
	;;#ASMEND
	;;#ASMSTART
	v_dot2_f32_f16 v75, v10, v92, v75
	;;#ASMEND
	;;#ASMSTART
	v_dot2_f32_f16 v75, v11, v93, v75
	;;#ASMEND
	;;#ASMSTART
	v_dot2_f32_f16 v75, v12, v94, v75
	;;#ASMEND
	;;#ASMSTART
	v_dot2_f32_f16 v75, v13, v95, v75
	;;#ASMEND
	;;#ASMSTART
	v_dot2_f32_f16 v73, v10, v96, v73
	;;#ASMEND
	;;#ASMSTART
	v_dot2_f32_f16 v73, v11, v97, v73
	;;#ASMEND
	;;#ASMSTART
	v_dot2_f32_f16 v73, v12, v98, v73
	;;#ASMEND
	;;#ASMSTART
	v_dot2_f32_f16 v73, v13, v99, v73
	;;#ASMEND
	;;#ASMSTART
	v_dot2_f32_f16 v16, v10, v100, v16
	;;#ASMEND
	;;#ASMSTART
	v_dot2_f32_f16 v16, v11, v101, v16
	;;#ASMEND
	;;#ASMSTART
	v_dot2_f32_f16 v16, v12, v102, v16
	;;#ASMEND
	;;#ASMSTART
	v_dot2_f32_f16 v16, v13, v103, v16
	;;#ASMEND
	;;#ASMSTART
	v_dot2_f32_f16 v14, v10, v104, v14
	;;#ASMEND
	;;#ASMSTART
	v_dot2_f32_f16 v14, v11, v105, v14
	;;#ASMEND
	;;#ASMSTART
	v_dot2_f32_f16 v14, v12, v106, v14
	;;#ASMEND
	;;#ASMSTART
	v_dot2_f32_f16 v14, v13, v107, v14
	;;#ASMEND
	ds_read_b128 v[22:25], v79 offset:24624
	ds_read_b128 v[10:13], v79 offset:27184
	;; [unrolled: 1-line block ×10, first 2 shown]
	s_waitcnt lgkmcnt(7)
	;;#ASMSTART
	v_dot2_f32_f16 v77, v22, v26, v77
	;;#ASMEND
	;;#ASMSTART
	v_dot2_f32_f16 v77, v23, v27, v77
	;;#ASMEND
	;;#ASMSTART
	v_dot2_f32_f16 v77, v24, v28, v77
	;;#ASMEND
	;;#ASMSTART
	v_dot2_f32_f16 v77, v25, v29, v77
	;;#ASMEND
	s_waitcnt lgkmcnt(6)
	;;#ASMSTART
	v_dot2_f32_f16 v88, v22, v30, v88
	;;#ASMEND
	;;#ASMSTART
	v_dot2_f32_f16 v88, v23, v31, v88
	;;#ASMEND
	;;#ASMSTART
	v_dot2_f32_f16 v88, v24, v32, v88
	;;#ASMEND
	;;#ASMSTART
	v_dot2_f32_f16 v88, v25, v33, v88
	;;#ASMEND
	;; [unrolled: 13-line block ×8, first 2 shown]
	;;#ASMSTART
	v_dot2_f32_f16 v78, v10, v26, v78
	;;#ASMEND
	;;#ASMSTART
	v_dot2_f32_f16 v78, v11, v27, v78
	;;#ASMEND
	;; [unrolled: 3-line block ×30, first 2 shown]
	v_add_co_u32_e64 v10, s[6:7], s6, v80
	;;#ASMSTART
	v_dot2_f32_f16 v14, v12, v106, v14
	;;#ASMEND
	v_addc_co_u32_e64 v11, s[6:7], 0, v81, s[6:7]
	;;#ASMSTART
	v_dot2_f32_f16 v14, v13, v107, v14
	;;#ASMEND
	s_barrier
	buffer_store_dword v82, off, s[0:3], 0
	buffer_store_dword v82, off, s[0:3], 0 offset:4
	buffer_store_dword v82, off, s[0:3], 0 offset:8
	;; [unrolled: 1-line block ×3, first 2 shown]
	v_cndmask_b32_e32 v11, v83, v11, vcc
	v_cndmask_b32_e32 v10, v90, v10, vcc
	flat_load_dwordx4 v[10:13], v[10:11]
	s_movk_i32 s6, 0xc0
	s_waitcnt vmcnt(0) lgkmcnt(0)
	ds_write_b128 v91, v[10:13] offset:24576
	s_waitcnt lgkmcnt(0)
	s_barrier
	ds_read_b128 v[22:25], v79 offset:24576
	ds_read_b128 v[10:13], v79 offset:27136
	ds_read_b128 v[26:29], v46 offset:128
	ds_read_b128 v[30:33], v46 offset:384
	ds_read_b128 v[34:37], v46 offset:640
	ds_read_b128 v[42:45], v46 offset:896
	ds_read_b128 v[92:95], v46 offset:1152
	ds_read_b128 v[96:99], v46 offset:1408
	ds_read_b128 v[100:103], v46 offset:1664
	ds_read_b128 v[104:107], v46 offset:1920
	s_waitcnt lgkmcnt(7)
	;;#ASMSTART
	v_dot2_f32_f16 v77, v22, v26, v77
	;;#ASMEND
	;;#ASMSTART
	v_dot2_f32_f16 v77, v23, v27, v77
	;;#ASMEND
	;;#ASMSTART
	v_dot2_f32_f16 v77, v24, v28, v77
	;;#ASMEND
	;;#ASMSTART
	v_dot2_f32_f16 v77, v25, v29, v77
	;;#ASMEND
	s_waitcnt lgkmcnt(6)
	;;#ASMSTART
	v_dot2_f32_f16 v88, v22, v30, v88
	;;#ASMEND
	;;#ASMSTART
	v_dot2_f32_f16 v88, v23, v31, v88
	;;#ASMEND
	;;#ASMSTART
	v_dot2_f32_f16 v88, v24, v32, v88
	;;#ASMEND
	;;#ASMSTART
	v_dot2_f32_f16 v88, v25, v33, v88
	;;#ASMEND
	;; [unrolled: 13-line block ×8, first 2 shown]
	;;#ASMSTART
	v_dot2_f32_f16 v78, v10, v26, v78
	;;#ASMEND
	;;#ASMSTART
	v_dot2_f32_f16 v78, v11, v27, v78
	;;#ASMEND
	;; [unrolled: 3-line block ×32, first 2 shown]
	ds_read_b128 v[22:25], v79 offset:24592
	ds_read_b128 v[10:13], v79 offset:27152
	;; [unrolled: 1-line block ×10, first 2 shown]
	s_waitcnt lgkmcnt(7)
	;;#ASMSTART
	v_dot2_f32_f16 v77, v22, v26, v77
	;;#ASMEND
	;;#ASMSTART
	v_dot2_f32_f16 v77, v23, v27, v77
	;;#ASMEND
	;;#ASMSTART
	v_dot2_f32_f16 v77, v24, v28, v77
	;;#ASMEND
	;;#ASMSTART
	v_dot2_f32_f16 v77, v25, v29, v77
	;;#ASMEND
	s_waitcnt lgkmcnt(6)
	;;#ASMSTART
	v_dot2_f32_f16 v88, v22, v30, v88
	;;#ASMEND
	;;#ASMSTART
	v_dot2_f32_f16 v88, v23, v31, v88
	;;#ASMEND
	;;#ASMSTART
	v_dot2_f32_f16 v88, v24, v32, v88
	;;#ASMEND
	;;#ASMSTART
	v_dot2_f32_f16 v88, v25, v33, v88
	;;#ASMEND
	;; [unrolled: 13-line block ×8, first 2 shown]
	;;#ASMSTART
	v_dot2_f32_f16 v78, v10, v26, v78
	;;#ASMEND
	;;#ASMSTART
	v_dot2_f32_f16 v78, v11, v27, v78
	;;#ASMEND
	;; [unrolled: 3-line block ×32, first 2 shown]
	ds_read_b128 v[22:25], v79 offset:24608
	ds_read_b128 v[10:13], v79 offset:27168
	;; [unrolled: 1-line block ×10, first 2 shown]
	s_waitcnt lgkmcnt(7)
	;;#ASMSTART
	v_dot2_f32_f16 v77, v22, v26, v77
	;;#ASMEND
	;;#ASMSTART
	v_dot2_f32_f16 v77, v23, v27, v77
	;;#ASMEND
	;;#ASMSTART
	v_dot2_f32_f16 v77, v24, v28, v77
	;;#ASMEND
	;;#ASMSTART
	v_dot2_f32_f16 v77, v25, v29, v77
	;;#ASMEND
	s_waitcnt lgkmcnt(6)
	;;#ASMSTART
	v_dot2_f32_f16 v88, v22, v30, v88
	;;#ASMEND
	;;#ASMSTART
	v_dot2_f32_f16 v88, v23, v31, v88
	;;#ASMEND
	;;#ASMSTART
	v_dot2_f32_f16 v88, v24, v32, v88
	;;#ASMEND
	;;#ASMSTART
	v_dot2_f32_f16 v88, v25, v33, v88
	;;#ASMEND
	;; [unrolled: 13-line block ×8, first 2 shown]
	;;#ASMSTART
	v_dot2_f32_f16 v78, v10, v26, v78
	;;#ASMEND
	;;#ASMSTART
	v_dot2_f32_f16 v78, v11, v27, v78
	;;#ASMEND
	;; [unrolled: 3-line block ×32, first 2 shown]
	ds_read_b128 v[22:25], v79 offset:24624
	ds_read_b128 v[10:13], v79 offset:27184
	ds_read_b128 v[26:29], v46 offset:176
	ds_read_b128 v[30:33], v46 offset:432
	ds_read_b128 v[34:37], v46 offset:688
	ds_read_b128 v[42:45], v46 offset:944
	ds_read_b128 v[92:95], v46 offset:1200
	ds_read_b128 v[96:99], v46 offset:1456
	ds_read_b128 v[100:103], v46 offset:1712
	ds_read_b128 v[104:107], v46 offset:1968
	s_waitcnt lgkmcnt(7)
	;;#ASMSTART
	v_dot2_f32_f16 v77, v22, v26, v77
	;;#ASMEND
	;;#ASMSTART
	v_dot2_f32_f16 v77, v23, v27, v77
	;;#ASMEND
	;;#ASMSTART
	v_dot2_f32_f16 v77, v24, v28, v77
	;;#ASMEND
	;;#ASMSTART
	v_dot2_f32_f16 v77, v25, v29, v77
	;;#ASMEND
	s_waitcnt lgkmcnt(6)
	;;#ASMSTART
	v_dot2_f32_f16 v88, v22, v30, v88
	;;#ASMEND
	;;#ASMSTART
	v_dot2_f32_f16 v88, v23, v31, v88
	;;#ASMEND
	;;#ASMSTART
	v_dot2_f32_f16 v88, v24, v32, v88
	;;#ASMEND
	;;#ASMSTART
	v_dot2_f32_f16 v88, v25, v33, v88
	;;#ASMEND
	;; [unrolled: 13-line block ×8, first 2 shown]
	;;#ASMSTART
	v_dot2_f32_f16 v78, v10, v26, v78
	;;#ASMEND
	;;#ASMSTART
	v_dot2_f32_f16 v78, v11, v27, v78
	;;#ASMEND
	;; [unrolled: 3-line block ×30, first 2 shown]
	v_add_co_u32_e64 v10, s[6:7], s6, v80
	;;#ASMSTART
	v_dot2_f32_f16 v14, v12, v106, v14
	;;#ASMEND
	v_addc_co_u32_e64 v11, s[6:7], 0, v81, s[6:7]
	;;#ASMSTART
	v_dot2_f32_f16 v14, v13, v107, v14
	;;#ASMEND
	s_barrier
	buffer_store_dword v82, off, s[0:3], 0
	buffer_store_dword v82, off, s[0:3], 0 offset:4
	buffer_store_dword v82, off, s[0:3], 0 offset:8
	;; [unrolled: 1-line block ×3, first 2 shown]
	v_cndmask_b32_e32 v11, v83, v11, vcc
	v_cndmask_b32_e32 v10, v90, v10, vcc
	flat_load_dwordx4 v[10:13], v[10:11]
	s_mov_b32 s6, 0x3f200000
	s_waitcnt vmcnt(0) lgkmcnt(0)
	ds_write_b128 v91, v[10:13] offset:24576
	s_waitcnt lgkmcnt(0)
	s_barrier
	ds_read_b128 v[22:25], v79 offset:24576
	ds_read_b128 v[10:13], v79 offset:27136
	;; [unrolled: 1-line block ×10, first 2 shown]
	s_waitcnt lgkmcnt(7)
	;;#ASMSTART
	v_dot2_f32_f16 v77, v22, v26, v77
	;;#ASMEND
	;;#ASMSTART
	v_dot2_f32_f16 v77, v23, v27, v77
	;;#ASMEND
	;;#ASMSTART
	v_dot2_f32_f16 v77, v24, v28, v77
	;;#ASMEND
	;;#ASMSTART
	v_dot2_f32_f16 v77, v25, v29, v77
	;;#ASMEND
	s_waitcnt lgkmcnt(6)
	;;#ASMSTART
	v_dot2_f32_f16 v88, v22, v30, v88
	;;#ASMEND
	;;#ASMSTART
	v_dot2_f32_f16 v88, v23, v31, v88
	;;#ASMEND
	;;#ASMSTART
	v_dot2_f32_f16 v88, v24, v32, v88
	;;#ASMEND
	;;#ASMSTART
	v_dot2_f32_f16 v88, v25, v33, v88
	;;#ASMEND
	;; [unrolled: 13-line block ×8, first 2 shown]
	;;#ASMSTART
	v_dot2_f32_f16 v78, v10, v26, v78
	;;#ASMEND
	;;#ASMSTART
	v_dot2_f32_f16 v78, v11, v27, v78
	;;#ASMEND
	;; [unrolled: 3-line block ×32, first 2 shown]
	ds_read_b128 v[22:25], v79 offset:24592
	ds_read_b128 v[10:13], v79 offset:27152
	;; [unrolled: 1-line block ×10, first 2 shown]
	s_waitcnt lgkmcnt(7)
	;;#ASMSTART
	v_dot2_f32_f16 v77, v22, v26, v77
	;;#ASMEND
	;;#ASMSTART
	v_dot2_f32_f16 v77, v23, v27, v77
	;;#ASMEND
	;;#ASMSTART
	v_dot2_f32_f16 v77, v24, v28, v77
	;;#ASMEND
	;;#ASMSTART
	v_dot2_f32_f16 v77, v25, v29, v77
	;;#ASMEND
	s_waitcnt lgkmcnt(6)
	;;#ASMSTART
	v_dot2_f32_f16 v88, v22, v30, v88
	;;#ASMEND
	;;#ASMSTART
	v_dot2_f32_f16 v88, v23, v31, v88
	;;#ASMEND
	;;#ASMSTART
	v_dot2_f32_f16 v88, v24, v32, v88
	;;#ASMEND
	;;#ASMSTART
	v_dot2_f32_f16 v88, v25, v33, v88
	;;#ASMEND
	;; [unrolled: 13-line block ×8, first 2 shown]
	;;#ASMSTART
	v_dot2_f32_f16 v78, v10, v26, v78
	;;#ASMEND
	;;#ASMSTART
	v_dot2_f32_f16 v78, v11, v27, v78
	;;#ASMEND
	;; [unrolled: 3-line block ×32, first 2 shown]
	ds_read_b128 v[22:25], v79 offset:24608
	ds_read_b128 v[10:13], v79 offset:27168
	ds_read_b128 v[26:29], v46 offset:224
	ds_read_b128 v[30:33], v46 offset:480
	ds_read_b128 v[34:37], v46 offset:736
	ds_read_b128 v[42:45], v46 offset:992
	ds_read_b128 v[80:83], v46 offset:1248
	ds_read_b128 v[90:93], v46 offset:1504
	ds_read_b128 v[94:97], v46 offset:1760
	ds_read_b128 v[98:101], v46 offset:2016
	s_waitcnt lgkmcnt(7)
	;;#ASMSTART
	v_dot2_f32_f16 v77, v22, v26, v77
	;;#ASMEND
	;;#ASMSTART
	v_dot2_f32_f16 v77, v23, v27, v77
	;;#ASMEND
	;;#ASMSTART
	v_dot2_f32_f16 v77, v24, v28, v77
	;;#ASMEND
	;;#ASMSTART
	v_dot2_f32_f16 v77, v25, v29, v77
	;;#ASMEND
	s_waitcnt lgkmcnt(6)
	;;#ASMSTART
	v_dot2_f32_f16 v88, v22, v30, v88
	;;#ASMEND
	;;#ASMSTART
	v_dot2_f32_f16 v88, v23, v31, v88
	;;#ASMEND
	;;#ASMSTART
	v_dot2_f32_f16 v88, v24, v32, v88
	;;#ASMEND
	;;#ASMSTART
	v_dot2_f32_f16 v88, v25, v33, v88
	;;#ASMEND
	;; [unrolled: 13-line block ×8, first 2 shown]
	;;#ASMSTART
	v_dot2_f32_f16 v78, v10, v26, v78
	;;#ASMEND
	;;#ASMSTART
	v_dot2_f32_f16 v78, v11, v27, v78
	;;#ASMEND
	;;#ASMSTART
	v_dot2_f32_f16 v78, v12, v28, v78
	;;#ASMEND
	;;#ASMSTART
	v_dot2_f32_f16 v78, v13, v29, v78
	;;#ASMEND
	;;#ASMSTART
	v_dot2_f32_f16 v89, v10, v30, v89
	;;#ASMEND
	;;#ASMSTART
	v_dot2_f32_f16 v89, v11, v31, v89
	;;#ASMEND
	;;#ASMSTART
	v_dot2_f32_f16 v89, v12, v32, v89
	;;#ASMEND
	;;#ASMSTART
	v_dot2_f32_f16 v89, v13, v33, v89
	;;#ASMEND
	;;#ASMSTART
	v_dot2_f32_f16 v86, v10, v34, v86
	;;#ASMEND
	;;#ASMSTART
	v_dot2_f32_f16 v86, v11, v35, v86
	;;#ASMEND
	;;#ASMSTART
	v_dot2_f32_f16 v86, v12, v36, v86
	;;#ASMEND
	;;#ASMSTART
	v_dot2_f32_f16 v86, v13, v37, v86
	;;#ASMEND
	;;#ASMSTART
	v_dot2_f32_f16 v84, v10, v42, v84
	;;#ASMEND
	;;#ASMSTART
	v_dot2_f32_f16 v84, v11, v43, v84
	;;#ASMEND
	;;#ASMSTART
	v_dot2_f32_f16 v84, v12, v44, v84
	;;#ASMEND
	;;#ASMSTART
	v_dot2_f32_f16 v84, v13, v45, v84
	;;#ASMEND
	;;#ASMSTART
	v_dot2_f32_f16 v75, v10, v80, v75
	;;#ASMEND
	;;#ASMSTART
	v_dot2_f32_f16 v75, v11, v81, v75
	;;#ASMEND
	;;#ASMSTART
	v_dot2_f32_f16 v75, v12, v82, v75
	;;#ASMEND
	;;#ASMSTART
	v_dot2_f32_f16 v75, v13, v83, v75
	;;#ASMEND
	;;#ASMSTART
	v_dot2_f32_f16 v73, v10, v90, v73
	;;#ASMEND
	;;#ASMSTART
	v_dot2_f32_f16 v73, v11, v91, v73
	;;#ASMEND
	;;#ASMSTART
	v_dot2_f32_f16 v73, v12, v92, v73
	;;#ASMEND
	;;#ASMSTART
	v_dot2_f32_f16 v73, v13, v93, v73
	;;#ASMEND
	;;#ASMSTART
	v_dot2_f32_f16 v16, v10, v94, v16
	;;#ASMEND
	;;#ASMSTART
	v_dot2_f32_f16 v16, v11, v95, v16
	;;#ASMEND
	;;#ASMSTART
	v_dot2_f32_f16 v16, v12, v96, v16
	;;#ASMEND
	;;#ASMSTART
	v_dot2_f32_f16 v16, v13, v97, v16
	;;#ASMEND
	;;#ASMSTART
	v_dot2_f32_f16 v14, v10, v98, v14
	;;#ASMEND
	;;#ASMSTART
	v_dot2_f32_f16 v14, v11, v99, v14
	;;#ASMEND
	;;#ASMSTART
	v_dot2_f32_f16 v14, v12, v100, v14
	;;#ASMEND
	;;#ASMSTART
	v_dot2_f32_f16 v14, v13, v101, v14
	;;#ASMEND
	ds_read_b128 v[22:25], v79 offset:24624
	ds_read_b128 v[10:13], v79 offset:27184
	;; [unrolled: 1-line block ×10, first 2 shown]
	s_waitcnt lgkmcnt(7)
	;;#ASMSTART
	v_dot2_f32_f16 v77, v22, v26, v77
	;;#ASMEND
	;;#ASMSTART
	v_dot2_f32_f16 v77, v23, v27, v77
	;;#ASMEND
	;;#ASMSTART
	v_dot2_f32_f16 v77, v24, v28, v77
	;;#ASMEND
	;;#ASMSTART
	v_dot2_f32_f16 v77, v25, v29, v77
	;;#ASMEND
	s_waitcnt lgkmcnt(6)
	;;#ASMSTART
	v_dot2_f32_f16 v88, v22, v30, v88
	;;#ASMEND
	;;#ASMSTART
	v_dot2_f32_f16 v88, v23, v31, v88
	;;#ASMEND
	;;#ASMSTART
	v_dot2_f32_f16 v88, v24, v32, v88
	;;#ASMEND
	;;#ASMSTART
	v_dot2_f32_f16 v88, v25, v33, v88
	;;#ASMEND
	;; [unrolled: 13-line block ×8, first 2 shown]
	;;#ASMSTART
	v_dot2_f32_f16 v78, v10, v26, v78
	;;#ASMEND
	;;#ASMSTART
	v_dot2_f32_f16 v78, v11, v27, v78
	;;#ASMEND
	;; [unrolled: 3-line block ×31, first 2 shown]
	v_cmp_nlt_f32_e64 s[6:7], |v77|, s6
	;;#ASMSTART
	v_dot2_f32_f16 v14, v13, v101, v14
	;;#ASMEND
                                        ; implicit-def: $vgpr11
	s_and_saveexec_b64 s[10:11], s[6:7]
	s_xor_b64 s[6:7], exec, s[10:11]
	s_cbranch_execz .LBB86_120
; %bb.119:
	v_add_f32_e64 v10, |v77|, |v77|
	v_mul_f32_e32 v11, 0x3fb8aa3b, v10
	s_mov_b32 s10, 0x3fb8aa3b
	v_rndne_f32_e32 v12, v11
	v_sub_f32_e32 v13, v11, v12
	v_fma_f32 v11, v10, s10, -v11
	v_fmac_f32_e32 v11, 0x32a5705f, v10
	v_add_f32_e32 v11, v13, v11
	v_exp_f32_e32 v11, v11
	v_cvt_i32_f32_e32 v12, v12
	s_mov_b32 s10, 0xc2ce8ed0
	v_cmp_ngt_f32_e32 vcc, s10, v10
	s_mov_b32 s10, 0x42b17218
	v_ldexp_f32 v11, v11, v12
	v_cndmask_b32_e32 v11, 0, v11, vcc
	v_mov_b32_e32 v12, 0x7f800000
	v_cmp_nlt_f32_e32 vcc, s10, v10
	v_cndmask_b32_e32 v10, v12, v11, vcc
	v_add_f32_e32 v10, 1.0, v10
	v_rcp_f32_e32 v10, v10
	v_fma_f32 v11, v10, -2.0, 1.0
.LBB86_120:
	s_andn2_saveexec_b64 s[6:7], s[6:7]
	s_cbranch_execz .LBB86_122
; %bb.121:
	v_mul_f32_e32 v10, v77, v77
	v_mov_b32_e32 v11, 0x3ca908c9
	v_fmac_f32_e32 v11, 0xbbbac73d, v10
	v_mov_b32_e32 v12, 0xbd5c1c4e
	v_fmac_f32_e32 v12, v10, v11
	;; [unrolled: 2-line block ×4, first 2 shown]
	v_mul_f32_e64 v11, |v77|, v12
	v_fma_f32 v11, v10, v11, |v77|
.LBB86_122:
	s_or_b64 exec, exec, s[6:7]
	s_cmp_lg_u64 s[40:41], 0
	s_brev_b32 s6, -2
	v_bfi_b32 v11, s6, v11, v77
	s_cselect_b64 s[6:7], -1, 0
	v_add_u32_e32 v10, s16, v48
	v_mul_f32_e32 v48, s19, v11
	v_cndmask_b32_e64 v11, 0, 1, s[6:7]
	v_cmp_gt_i32_e64 s[12:13], s39, v0
	v_cmp_ne_u32_e64 s[6:7], 1, v11
	v_mov_b32_e32 v12, v2
	s_and_saveexec_b64 s[10:11], s[12:13]
	s_cbranch_execz .LBB86_127
; %bb.123:
	s_and_b64 vcc, exec, s[6:7]
	s_cbranch_vccnz .LBB86_125
; %bb.124:
	v_add_u32_e32 v11, v10, v0
	v_ashrrev_i32_e32 v12, 31, v11
	v_lshlrev_b64 v[11:12], 1, v[11:12]
	v_mov_b32_e32 v13, s41
	v_add_co_u32_e32 v11, vcc, s40, v11
	v_addc_co_u32_e32 v12, vcc, v13, v12, vcc
	global_load_ushort v11, v[11:12], off
	s_waitcnt vmcnt(0)
	v_cvt_f32_f16_e32 v11, v11
	v_mul_f32_e32 v11, v21, v11
	s_branch .LBB86_126
.LBB86_125:
	v_mov_b32_e32 v11, 0
.LBB86_126:
	v_add_f32_e32 v48, v48, v11
	v_add_f32_e32 v11, 0x40051340, v48
	v_max_f32_e32 v12, v2, v2
	v_max_f32_e32 v12, v12, v11
.LBB86_127:
	s_or_b64 exec, exec, s[10:11]
	s_mov_b32 s10, 0x3f200000
	v_cmp_nlt_f32_e64 s[10:11], |v78|, s10
                                        ; implicit-def: $vgpr11
	s_and_saveexec_b64 s[14:15], s[10:11]
	s_xor_b64 s[10:11], exec, s[14:15]
	s_cbranch_execz .LBB86_129
; %bb.128:
	v_add_f32_e64 v11, |v78|, |v78|
	v_mul_f32_e32 v13, 0x3fb8aa3b, v11
	s_mov_b32 s14, 0x3fb8aa3b
	v_rndne_f32_e32 v19, v13
	v_sub_f32_e32 v20, v13, v19
	v_fma_f32 v13, v11, s14, -v13
	v_fmac_f32_e32 v13, 0x32a5705f, v11
	v_add_f32_e32 v13, v20, v13
	v_exp_f32_e32 v13, v13
	v_cvt_i32_f32_e32 v19, v19
	s_mov_b32 s14, 0xc2ce8ed0
	v_cmp_ngt_f32_e32 vcc, s14, v11
	s_mov_b32 s14, 0x42b17218
	v_ldexp_f32 v13, v13, v19
	v_cndmask_b32_e32 v13, 0, v13, vcc
	v_mov_b32_e32 v19, 0x7f800000
	v_cmp_nlt_f32_e32 vcc, s14, v11
	v_cndmask_b32_e32 v11, v19, v13, vcc
	v_add_f32_e32 v11, 1.0, v11
	v_rcp_f32_e32 v11, v11
	v_fma_f32 v11, v11, -2.0, 1.0
.LBB86_129:
	s_andn2_saveexec_b64 s[10:11], s[10:11]
	s_cbranch_execz .LBB86_131
; %bb.130:
	v_mul_f32_e32 v11, v78, v78
	v_mov_b32_e32 v13, 0x3ca908c9
	v_fmac_f32_e32 v13, 0xbbbac73d, v11
	v_mov_b32_e32 v19, 0xbd5c1c4e
	v_fmac_f32_e32 v19, v11, v13
	;; [unrolled: 2-line block ×4, first 2 shown]
	v_mul_f32_e64 v13, |v78|, v19
	v_fma_f32 v11, v11, v13, |v78|
.LBB86_131:
	s_or_b64 exec, exec, s[10:11]
	s_brev_b32 s10, -2
	v_bfi_b32 v11, s10, v11, v78
	v_add_u32_e32 v46, 32, v0
	v_mul_f32_e32 v90, s19, v11
	v_cmp_gt_i32_e64 s[10:11], s39, v46
	s_and_saveexec_b64 s[14:15], s[10:11]
	s_cbranch_execz .LBB86_136
; %bb.132:
	s_and_b64 vcc, exec, s[6:7]
	s_cbranch_vccnz .LBB86_134
; %bb.133:
	v_ashrrev_i32_e32 v11, 31, v10
	v_add_co_u32_e32 v10, vcc, v10, v0
	v_addc_co_u32_e32 v11, vcc, 0, v11, vcc
	v_lshlrev_b64 v[10:11], 1, v[10:11]
	v_mov_b32_e32 v13, s41
	v_add_co_u32_e32 v10, vcc, s40, v10
	v_addc_co_u32_e32 v11, vcc, v13, v11, vcc
	global_load_ushort v10, v[10:11], off offset:64
	s_waitcnt vmcnt(0)
	v_cvt_f32_f16_e32 v10, v10
	v_mul_f32_e32 v10, v21, v10
	s_branch .LBB86_135
.LBB86_134:
	v_mov_b32_e32 v10, 0
.LBB86_135:
	v_add_f32_e32 v90, v90, v10
	v_add_f32_e32 v10, 0x40051340, v90
	v_max_f32_e32 v11, v12, v12
	v_max_f32_e32 v12, v11, v10
.LBB86_136:
	s_or_b64 exec, exec, s[14:15]
	v_mbcnt_hi_u32_b32 v77, -1, v47
	v_and_b32_e32 v10, 0x60, v77
	v_add_u32_e32 v78, 32, v10
	v_xor_b32_e32 v79, 16, v77
	v_cmp_lt_i32_e32 vcc, v79, v78
	v_cndmask_b32_e32 v10, v77, v79, vcc
	v_lshlrev_b32_e32 v10, 2, v10
	ds_bpermute_b32 v13, v10, v12
	v_xor_b32_e32 v82, 8, v77
	v_cmp_lt_i32_e32 vcc, v82, v78
	v_cndmask_b32_e32 v11, v77, v82, vcc
	v_max_f32_e32 v12, v12, v12
	s_waitcnt lgkmcnt(0)
	v_max_f32_e32 v13, v13, v13
	v_lshlrev_b32_e32 v11, 2, v11
	v_max_f32_e32 v13, v12, v13
	ds_bpermute_b32 v19, v11, v13
	v_xor_b32_e32 v80, 4, v77
	v_cmp_lt_i32_e32 vcc, v80, v78
	v_cndmask_b32_e32 v12, v77, v80, vcc
	v_lshlrev_b32_e32 v12, 2, v12
	s_waitcnt lgkmcnt(0)
	v_max_f32_e32 v19, v19, v19
	v_max_f32_e32 v13, v13, v19
	ds_bpermute_b32 v19, v12, v13
	v_xor_b32_e32 v83, 2, v77
	v_cmp_lt_i32_e32 vcc, v83, v78
	v_cndmask_b32_e32 v20, v77, v83, vcc
	v_lshlrev_b32_e32 v91, 2, v20
	s_waitcnt lgkmcnt(0)
	v_max_f32_e32 v19, v19, v19
	;; [unrolled: 8-line block ×3, first 2 shown]
	v_max_f32_e32 v47, v13, v19
	ds_bpermute_b32 v93, v92, v47
	s_mov_b32 s14, 0x3f200000
	v_cmp_nlt_f32_e64 s[14:15], |v88|, s14
                                        ; implicit-def: $vgpr13
	s_and_saveexec_b64 s[36:37], s[14:15]
	s_xor_b64 s[14:15], exec, s[36:37]
	s_cbranch_execz .LBB86_138
; %bb.137:
	v_add_f32_e64 v13, |v88|, |v88|
	v_mul_f32_e32 v19, 0x3fb8aa3b, v13
	s_mov_b32 s36, 0x3fb8aa3b
	v_rndne_f32_e32 v20, v19
	v_sub_f32_e32 v22, v19, v20
	v_fma_f32 v19, v13, s36, -v19
	v_fmac_f32_e32 v19, 0x32a5705f, v13
	v_add_f32_e32 v19, v22, v19
	v_exp_f32_e32 v19, v19
	v_cvt_i32_f32_e32 v20, v20
	s_mov_b32 s36, 0xc2ce8ed0
	v_cmp_ngt_f32_e32 vcc, s36, v13
	s_mov_b32 s36, 0x42b17218
	v_ldexp_f32 v19, v19, v20
	v_cndmask_b32_e32 v19, 0, v19, vcc
	v_mov_b32_e32 v20, 0x7f800000
	v_cmp_nlt_f32_e32 vcc, s36, v13
	v_cndmask_b32_e32 v13, v20, v19, vcc
	v_add_f32_e32 v13, 1.0, v13
	v_rcp_f32_e32 v13, v13
	v_fma_f32 v13, v13, -2.0, 1.0
.LBB86_138:
	s_andn2_saveexec_b64 s[14:15], s[14:15]
	s_cbranch_execz .LBB86_140
; %bb.139:
	v_mul_f32_e32 v13, v88, v88
	v_mov_b32_e32 v19, 0x3ca908c9
	v_fmac_f32_e32 v19, 0xbbbac73d, v13
	v_mov_b32_e32 v20, 0xbd5c1c4e
	v_fmac_f32_e32 v20, v13, v19
	;; [unrolled: 2-line block ×4, first 2 shown]
	v_mul_f32_e64 v19, |v88|, v20
	v_fma_f32 v13, v13, v19, |v88|
.LBB86_140:
	s_or_b64 exec, exec, s[14:15]
	v_or_b32_e32 v20, 1, v41
	v_mul_hi_u32 v19, s28, v20
	s_brev_b32 s14, -2
	v_bfi_b32 v13, s14, v13, v88
	v_mul_f32_e32 v45, s19, v13
	v_add_u32_e32 v19, v20, v19
	v_lshrrev_b32_e32 v19, s29, v19
	v_mul_lo_u32 v19, v19, s30
	v_mov_b32_e32 v13, v3
	v_sub_u32_e32 v19, v20, v19
	v_mul_lo_u32 v19, v19, s23
	v_add_u32_e32 v19, s16, v19
	s_and_saveexec_b64 s[14:15], s[12:13]
	s_cbranch_execz .LBB86_145
; %bb.141:
	s_and_b64 vcc, exec, s[6:7]
	s_cbranch_vccnz .LBB86_143
; %bb.142:
	v_add_u32_e32 v22, v19, v0
	v_ashrrev_i32_e32 v23, 31, v22
	v_lshlrev_b64 v[22:23], 1, v[22:23]
	v_mov_b32_e32 v13, s41
	v_add_co_u32_e32 v22, vcc, s40, v22
	v_addc_co_u32_e32 v23, vcc, v13, v23, vcc
	global_load_ushort v13, v[22:23], off
	s_waitcnt vmcnt(0)
	v_cvt_f32_f16_e32 v13, v13
	v_mul_f32_e32 v13, v21, v13
	s_branch .LBB86_144
.LBB86_143:
	v_mov_b32_e32 v13, 0
.LBB86_144:
	v_add_f32_e32 v45, v45, v13
	v_add_f32_e32 v13, 0x40051340, v45
	v_max_f32_e32 v20, v3, v3
	v_max_f32_e32 v13, v20, v13
.LBB86_145:
	s_or_b64 exec, exec, s[14:15]
	s_mov_b32 s14, 0x3f200000
	v_cmp_nlt_f32_e64 s[14:15], |v89|, s14
                                        ; implicit-def: $vgpr20
	s_and_saveexec_b64 s[36:37], s[14:15]
	s_xor_b64 s[14:15], exec, s[36:37]
	s_cbranch_execz .LBB86_147
; %bb.146:
	v_add_f32_e64 v20, |v89|, |v89|
	v_mul_f32_e32 v22, 0x3fb8aa3b, v20
	s_mov_b32 s36, 0x3fb8aa3b
	v_rndne_f32_e32 v23, v22
	v_sub_f32_e32 v24, v22, v23
	v_fma_f32 v22, v20, s36, -v22
	v_fmac_f32_e32 v22, 0x32a5705f, v20
	v_add_f32_e32 v22, v24, v22
	v_exp_f32_e32 v22, v22
	v_cvt_i32_f32_e32 v23, v23
	s_mov_b32 s36, 0xc2ce8ed0
	v_cmp_ngt_f32_e32 vcc, s36, v20
	s_mov_b32 s36, 0x42b17218
	v_ldexp_f32 v22, v22, v23
	v_cndmask_b32_e32 v22, 0, v22, vcc
	v_mov_b32_e32 v23, 0x7f800000
	v_cmp_nlt_f32_e32 vcc, s36, v20
	v_cndmask_b32_e32 v20, v23, v22, vcc
	v_add_f32_e32 v20, 1.0, v20
	v_rcp_f32_e32 v20, v20
	v_fma_f32 v20, v20, -2.0, 1.0
.LBB86_147:
	s_andn2_saveexec_b64 s[14:15], s[14:15]
	s_cbranch_execz .LBB86_149
; %bb.148:
	v_mul_f32_e32 v20, v89, v89
	v_mov_b32_e32 v22, 0x3ca908c9
	v_fmac_f32_e32 v22, 0xbbbac73d, v20
	v_mov_b32_e32 v23, 0xbd5c1c4e
	v_fmac_f32_e32 v23, v20, v22
	;; [unrolled: 2-line block ×4, first 2 shown]
	v_mul_f32_e64 v22, |v89|, v23
	v_fma_f32 v20, v20, v22, |v89|
.LBB86_149:
	s_or_b64 exec, exec, s[14:15]
	s_brev_b32 s14, -2
	v_bfi_b32 v20, s14, v20, v89
	v_mul_f32_e32 v88, s19, v20
	s_and_saveexec_b64 s[14:15], s[10:11]
	s_cbranch_execz .LBB86_154
; %bb.150:
	s_and_b64 vcc, exec, s[6:7]
	s_cbranch_vccnz .LBB86_152
; %bb.151:
	v_ashrrev_i32_e32 v20, 31, v19
	v_add_co_u32_e32 v19, vcc, v19, v0
	v_addc_co_u32_e32 v20, vcc, 0, v20, vcc
	v_lshlrev_b64 v[19:20], 1, v[19:20]
	v_mov_b32_e32 v22, s41
	v_add_co_u32_e32 v19, vcc, s40, v19
	v_addc_co_u32_e32 v20, vcc, v22, v20, vcc
	global_load_ushort v19, v[19:20], off offset:64
	s_waitcnt vmcnt(0)
	v_cvt_f32_f16_e32 v19, v19
	v_mul_f32_e32 v19, v21, v19
	s_branch .LBB86_153
.LBB86_152:
	v_mov_b32_e32 v19, 0
.LBB86_153:
	v_add_f32_e32 v88, v88, v19
	v_add_f32_e32 v19, 0x40051340, v88
	v_max_f32_e32 v13, v13, v13
	v_max_f32_e32 v13, v13, v19
.LBB86_154:
	s_or_b64 exec, exec, s[14:15]
	ds_bpermute_b32 v19, v10, v13
	v_max_f32_e32 v13, v13, v13
	s_mov_b32 s14, 0x3f200000
	v_cmp_nlt_f32_e64 s[14:15], |v87|, s14
	s_waitcnt lgkmcnt(0)
	v_max_f32_e32 v19, v19, v19
	v_max_f32_e32 v13, v13, v19
	ds_bpermute_b32 v19, v11, v13
	s_waitcnt lgkmcnt(0)
	v_max_f32_e32 v19, v19, v19
	v_max_f32_e32 v13, v13, v19
	ds_bpermute_b32 v19, v12, v13
	;; [unrolled: 4-line block ×4, first 2 shown]
                                        ; implicit-def: $vgpr13
	s_and_saveexec_b64 s[36:37], s[14:15]
	s_xor_b64 s[14:15], exec, s[36:37]
	s_cbranch_execz .LBB86_156
; %bb.155:
	v_add_f32_e64 v13, |v87|, |v87|
	v_mul_f32_e32 v19, 0x3fb8aa3b, v13
	s_mov_b32 s36, 0x3fb8aa3b
	v_rndne_f32_e32 v20, v19
	v_sub_f32_e32 v22, v19, v20
	v_fma_f32 v19, v13, s36, -v19
	v_fmac_f32_e32 v19, 0x32a5705f, v13
	v_add_f32_e32 v19, v22, v19
	v_exp_f32_e32 v19, v19
	v_cvt_i32_f32_e32 v20, v20
	s_mov_b32 s36, 0xc2ce8ed0
	v_cmp_ngt_f32_e32 vcc, s36, v13
	s_mov_b32 s36, 0x42b17218
	v_ldexp_f32 v19, v19, v20
	v_cndmask_b32_e32 v19, 0, v19, vcc
	v_mov_b32_e32 v20, 0x7f800000
	v_cmp_nlt_f32_e32 vcc, s36, v13
	v_cndmask_b32_e32 v13, v20, v19, vcc
	v_add_f32_e32 v13, 1.0, v13
	v_rcp_f32_e32 v13, v13
	v_fma_f32 v13, v13, -2.0, 1.0
.LBB86_156:
	s_andn2_saveexec_b64 s[14:15], s[14:15]
	s_cbranch_execz .LBB86_158
; %bb.157:
	v_mul_f32_e32 v13, v87, v87
	v_mov_b32_e32 v19, 0x3ca908c9
	v_fmac_f32_e32 v19, 0xbbbac73d, v13
	v_mov_b32_e32 v20, 0xbd5c1c4e
	v_fmac_f32_e32 v20, v13, v19
	;; [unrolled: 2-line block ×4, first 2 shown]
	v_mul_f32_e64 v19, |v87|, v20
	v_fma_f32 v13, v13, v19, |v87|
.LBB86_158:
	s_or_b64 exec, exec, s[14:15]
	v_or_b32_e32 v20, 2, v41
	v_mul_hi_u32 v19, s28, v20
	s_brev_b32 s14, -2
	v_bfi_b32 v13, s14, v13, v87
	v_mul_f32_e32 v44, s19, v13
	v_add_u32_e32 v19, v20, v19
	v_lshrrev_b32_e32 v19, s29, v19
	v_mul_lo_u32 v19, v19, s30
	v_mov_b32_e32 v13, v4
	v_sub_u32_e32 v19, v20, v19
	v_mul_lo_u32 v19, v19, s23
	v_add_u32_e32 v19, s16, v19
	s_and_saveexec_b64 s[14:15], s[12:13]
	s_cbranch_execz .LBB86_163
; %bb.159:
	s_and_b64 vcc, exec, s[6:7]
	s_cbranch_vccnz .LBB86_161
; %bb.160:
	v_add_u32_e32 v22, v19, v0
	v_ashrrev_i32_e32 v23, 31, v22
	v_lshlrev_b64 v[22:23], 1, v[22:23]
	v_mov_b32_e32 v13, s41
	v_add_co_u32_e32 v22, vcc, s40, v22
	v_addc_co_u32_e32 v23, vcc, v13, v23, vcc
	global_load_ushort v13, v[22:23], off
	s_waitcnt vmcnt(0)
	v_cvt_f32_f16_e32 v13, v13
	v_mul_f32_e32 v13, v21, v13
	s_branch .LBB86_162
.LBB86_161:
	v_mov_b32_e32 v13, 0
.LBB86_162:
	v_add_f32_e32 v44, v44, v13
	v_add_f32_e32 v13, 0x40051340, v44
	v_max_f32_e32 v20, v4, v4
	v_max_f32_e32 v13, v20, v13
.LBB86_163:
	s_or_b64 exec, exec, s[14:15]
	s_mov_b32 s14, 0x3f200000
	v_cmp_nlt_f32_e64 s[14:15], |v86|, s14
                                        ; implicit-def: $vgpr20
	s_and_saveexec_b64 s[36:37], s[14:15]
	s_xor_b64 s[14:15], exec, s[36:37]
	s_cbranch_execz .LBB86_165
; %bb.164:
	v_add_f32_e64 v20, |v86|, |v86|
	v_mul_f32_e32 v22, 0x3fb8aa3b, v20
	s_mov_b32 s36, 0x3fb8aa3b
	v_rndne_f32_e32 v23, v22
	v_sub_f32_e32 v24, v22, v23
	v_fma_f32 v22, v20, s36, -v22
	v_fmac_f32_e32 v22, 0x32a5705f, v20
	v_add_f32_e32 v22, v24, v22
	v_exp_f32_e32 v22, v22
	v_cvt_i32_f32_e32 v23, v23
	s_mov_b32 s36, 0xc2ce8ed0
	v_cmp_ngt_f32_e32 vcc, s36, v20
	s_mov_b32 s36, 0x42b17218
	v_ldexp_f32 v22, v22, v23
	v_cndmask_b32_e32 v22, 0, v22, vcc
	v_mov_b32_e32 v23, 0x7f800000
	v_cmp_nlt_f32_e32 vcc, s36, v20
	v_cndmask_b32_e32 v20, v23, v22, vcc
	v_add_f32_e32 v20, 1.0, v20
	v_rcp_f32_e32 v20, v20
	v_fma_f32 v20, v20, -2.0, 1.0
.LBB86_165:
	s_andn2_saveexec_b64 s[14:15], s[14:15]
	s_cbranch_execz .LBB86_167
; %bb.166:
	v_mul_f32_e32 v20, v86, v86
	v_mov_b32_e32 v22, 0x3ca908c9
	v_fmac_f32_e32 v22, 0xbbbac73d, v20
	v_mov_b32_e32 v23, 0xbd5c1c4e
	v_fmac_f32_e32 v23, v20, v22
	;; [unrolled: 2-line block ×4, first 2 shown]
	v_mul_f32_e64 v22, |v86|, v23
	v_fma_f32 v20, v20, v22, |v86|
.LBB86_167:
	s_or_b64 exec, exec, s[14:15]
	s_brev_b32 s14, -2
	v_bfi_b32 v20, s14, v20, v86
	v_mul_f32_e32 v86, s19, v20
	s_and_saveexec_b64 s[14:15], s[10:11]
	s_cbranch_execz .LBB86_172
; %bb.168:
	s_and_b64 vcc, exec, s[6:7]
	s_cbranch_vccnz .LBB86_170
; %bb.169:
	v_ashrrev_i32_e32 v20, 31, v19
	v_add_co_u32_e32 v19, vcc, v19, v0
	v_addc_co_u32_e32 v20, vcc, 0, v20, vcc
	v_lshlrev_b64 v[19:20], 1, v[19:20]
	v_mov_b32_e32 v22, s41
	v_add_co_u32_e32 v19, vcc, s40, v19
	v_addc_co_u32_e32 v20, vcc, v22, v20, vcc
	global_load_ushort v19, v[19:20], off offset:64
	s_waitcnt vmcnt(0)
	v_cvt_f32_f16_e32 v19, v19
	v_mul_f32_e32 v19, v21, v19
	s_branch .LBB86_171
.LBB86_170:
	v_mov_b32_e32 v19, 0
.LBB86_171:
	v_add_f32_e32 v86, v86, v19
	v_add_f32_e32 v19, 0x40051340, v86
	v_max_f32_e32 v13, v13, v13
	v_max_f32_e32 v13, v13, v19
.LBB86_172:
	s_or_b64 exec, exec, s[14:15]
	ds_bpermute_b32 v19, v10, v13
	v_max_f32_e32 v13, v13, v13
	s_mov_b32 s14, 0x3f200000
	v_cmp_nlt_f32_e64 s[14:15], |v85|, s14
	s_waitcnt lgkmcnt(0)
	v_max_f32_e32 v19, v19, v19
	v_max_f32_e32 v13, v13, v19
	ds_bpermute_b32 v19, v11, v13
	s_waitcnt lgkmcnt(0)
	v_max_f32_e32 v19, v19, v19
	v_max_f32_e32 v13, v13, v19
	ds_bpermute_b32 v19, v12, v13
	;; [unrolled: 4-line block ×4, first 2 shown]
                                        ; implicit-def: $vgpr13
	s_and_saveexec_b64 s[36:37], s[14:15]
	s_xor_b64 s[14:15], exec, s[36:37]
	s_cbranch_execz .LBB86_174
; %bb.173:
	v_add_f32_e64 v13, |v85|, |v85|
	v_mul_f32_e32 v19, 0x3fb8aa3b, v13
	s_mov_b32 s36, 0x3fb8aa3b
	v_rndne_f32_e32 v20, v19
	v_sub_f32_e32 v22, v19, v20
	v_fma_f32 v19, v13, s36, -v19
	v_fmac_f32_e32 v19, 0x32a5705f, v13
	v_add_f32_e32 v19, v22, v19
	v_exp_f32_e32 v19, v19
	v_cvt_i32_f32_e32 v20, v20
	s_mov_b32 s36, 0xc2ce8ed0
	v_cmp_ngt_f32_e32 vcc, s36, v13
	s_mov_b32 s36, 0x42b17218
	v_ldexp_f32 v19, v19, v20
	v_cndmask_b32_e32 v19, 0, v19, vcc
	v_mov_b32_e32 v20, 0x7f800000
	v_cmp_nlt_f32_e32 vcc, s36, v13
	v_cndmask_b32_e32 v13, v20, v19, vcc
	v_add_f32_e32 v13, 1.0, v13
	v_rcp_f32_e32 v13, v13
	v_fma_f32 v13, v13, -2.0, 1.0
.LBB86_174:
	s_andn2_saveexec_b64 s[14:15], s[14:15]
	s_cbranch_execz .LBB86_176
; %bb.175:
	v_mul_f32_e32 v13, v85, v85
	v_mov_b32_e32 v19, 0x3ca908c9
	v_fmac_f32_e32 v19, 0xbbbac73d, v13
	v_mov_b32_e32 v20, 0xbd5c1c4e
	v_fmac_f32_e32 v20, v13, v19
	;; [unrolled: 2-line block ×4, first 2 shown]
	v_mul_f32_e64 v19, |v85|, v20
	v_fma_f32 v13, v13, v19, |v85|
.LBB86_176:
	s_or_b64 exec, exec, s[14:15]
	v_or_b32_e32 v20, 3, v41
	v_mul_hi_u32 v19, s28, v20
	s_brev_b32 s14, -2
	v_bfi_b32 v13, s14, v13, v85
	v_mul_f32_e32 v43, s19, v13
	v_add_u32_e32 v19, v20, v19
	v_lshrrev_b32_e32 v19, s29, v19
	v_mul_lo_u32 v19, v19, s30
	v_mov_b32_e32 v13, v5
	v_sub_u32_e32 v19, v20, v19
	v_mul_lo_u32 v19, v19, s23
	v_add_u32_e32 v19, s16, v19
	s_and_saveexec_b64 s[14:15], s[12:13]
	s_cbranch_execz .LBB86_181
; %bb.177:
	s_and_b64 vcc, exec, s[6:7]
	s_cbranch_vccnz .LBB86_179
; %bb.178:
	v_add_u32_e32 v22, v19, v0
	v_ashrrev_i32_e32 v23, 31, v22
	v_lshlrev_b64 v[22:23], 1, v[22:23]
	v_mov_b32_e32 v13, s41
	v_add_co_u32_e32 v22, vcc, s40, v22
	v_addc_co_u32_e32 v23, vcc, v13, v23, vcc
	global_load_ushort v13, v[22:23], off
	s_waitcnt vmcnt(0)
	v_cvt_f32_f16_e32 v13, v13
	v_mul_f32_e32 v13, v21, v13
	s_branch .LBB86_180
.LBB86_179:
	v_mov_b32_e32 v13, 0
.LBB86_180:
	v_add_f32_e32 v43, v43, v13
	v_add_f32_e32 v13, 0x40051340, v43
	v_max_f32_e32 v20, v5, v5
	v_max_f32_e32 v13, v20, v13
.LBB86_181:
	s_or_b64 exec, exec, s[14:15]
	s_mov_b32 s14, 0x3f200000
	v_cmp_nlt_f32_e64 s[14:15], |v84|, s14
                                        ; implicit-def: $vgpr20
	s_and_saveexec_b64 s[36:37], s[14:15]
	s_xor_b64 s[14:15], exec, s[36:37]
	s_cbranch_execz .LBB86_183
; %bb.182:
	v_add_f32_e64 v20, |v84|, |v84|
	v_mul_f32_e32 v22, 0x3fb8aa3b, v20
	s_mov_b32 s36, 0x3fb8aa3b
	v_rndne_f32_e32 v23, v22
	v_sub_f32_e32 v24, v22, v23
	v_fma_f32 v22, v20, s36, -v22
	v_fmac_f32_e32 v22, 0x32a5705f, v20
	v_add_f32_e32 v22, v24, v22
	v_exp_f32_e32 v22, v22
	v_cvt_i32_f32_e32 v23, v23
	s_mov_b32 s36, 0xc2ce8ed0
	v_cmp_ngt_f32_e32 vcc, s36, v20
	s_mov_b32 s36, 0x42b17218
	v_ldexp_f32 v22, v22, v23
	v_cndmask_b32_e32 v22, 0, v22, vcc
	v_mov_b32_e32 v23, 0x7f800000
	v_cmp_nlt_f32_e32 vcc, s36, v20
	v_cndmask_b32_e32 v20, v23, v22, vcc
	v_add_f32_e32 v20, 1.0, v20
	v_rcp_f32_e32 v20, v20
	v_fma_f32 v20, v20, -2.0, 1.0
.LBB86_183:
	s_andn2_saveexec_b64 s[14:15], s[14:15]
	s_cbranch_execz .LBB86_185
; %bb.184:
	v_mul_f32_e32 v20, v84, v84
	v_mov_b32_e32 v22, 0x3ca908c9
	v_fmac_f32_e32 v22, 0xbbbac73d, v20
	v_mov_b32_e32 v23, 0xbd5c1c4e
	v_fmac_f32_e32 v23, v20, v22
	;; [unrolled: 2-line block ×4, first 2 shown]
	v_mul_f32_e64 v22, |v84|, v23
	v_fma_f32 v20, v20, v22, |v84|
.LBB86_185:
	s_or_b64 exec, exec, s[14:15]
	s_brev_b32 s14, -2
	v_bfi_b32 v20, s14, v20, v84
	v_mul_f32_e32 v84, s19, v20
	s_and_saveexec_b64 s[14:15], s[10:11]
	s_cbranch_execz .LBB86_190
; %bb.186:
	s_and_b64 vcc, exec, s[6:7]
	s_cbranch_vccnz .LBB86_188
; %bb.187:
	v_ashrrev_i32_e32 v20, 31, v19
	v_add_co_u32_e32 v19, vcc, v19, v0
	v_addc_co_u32_e32 v20, vcc, 0, v20, vcc
	v_lshlrev_b64 v[19:20], 1, v[19:20]
	v_mov_b32_e32 v22, s41
	v_add_co_u32_e32 v19, vcc, s40, v19
	v_addc_co_u32_e32 v20, vcc, v22, v20, vcc
	global_load_ushort v19, v[19:20], off offset:64
	s_waitcnt vmcnt(0)
	v_cvt_f32_f16_e32 v19, v19
	v_mul_f32_e32 v19, v21, v19
	s_branch .LBB86_189
.LBB86_188:
	v_mov_b32_e32 v19, 0
.LBB86_189:
	v_add_f32_e32 v84, v84, v19
	v_add_f32_e32 v19, 0x40051340, v84
	v_max_f32_e32 v13, v13, v13
	v_max_f32_e32 v13, v13, v19
.LBB86_190:
	s_or_b64 exec, exec, s[14:15]
	ds_bpermute_b32 v19, v10, v13
	v_max_f32_e32 v13, v13, v13
	s_mov_b32 s14, 0x3f200000
	v_cmp_nlt_f32_e64 s[14:15], |v76|, s14
	s_waitcnt lgkmcnt(0)
	v_max_f32_e32 v19, v19, v19
	v_max_f32_e32 v13, v13, v19
	ds_bpermute_b32 v19, v11, v13
	s_waitcnt lgkmcnt(0)
	v_max_f32_e32 v19, v19, v19
	v_max_f32_e32 v13, v13, v19
	ds_bpermute_b32 v19, v12, v13
	;; [unrolled: 4-line block ×4, first 2 shown]
                                        ; implicit-def: $vgpr19
	s_and_saveexec_b64 s[36:37], s[14:15]
	s_xor_b64 s[14:15], exec, s[36:37]
	s_cbranch_execz .LBB86_192
; %bb.191:
	v_add_f32_e64 v19, |v76|, |v76|
	v_mul_f32_e32 v20, 0x3fb8aa3b, v19
	s_mov_b32 s36, 0x3fb8aa3b
	v_rndne_f32_e32 v22, v20
	v_sub_f32_e32 v23, v20, v22
	v_fma_f32 v20, v19, s36, -v20
	v_fmac_f32_e32 v20, 0x32a5705f, v19
	v_add_f32_e32 v20, v23, v20
	v_exp_f32_e32 v20, v20
	v_cvt_i32_f32_e32 v22, v22
	s_mov_b32 s36, 0xc2ce8ed0
	v_cmp_ngt_f32_e32 vcc, s36, v19
	s_mov_b32 s36, 0x42b17218
	v_ldexp_f32 v20, v20, v22
	v_cndmask_b32_e32 v20, 0, v20, vcc
	v_mov_b32_e32 v22, 0x7f800000
	v_cmp_nlt_f32_e32 vcc, s36, v19
	v_cndmask_b32_e32 v19, v22, v20, vcc
	v_add_f32_e32 v19, 1.0, v19
	v_rcp_f32_e32 v19, v19
	v_fma_f32 v19, v19, -2.0, 1.0
.LBB86_192:
	s_andn2_saveexec_b64 s[14:15], s[14:15]
	s_cbranch_execz .LBB86_194
; %bb.193:
	v_mul_f32_e32 v19, v76, v76
	v_mov_b32_e32 v20, 0x3ca908c9
	v_fmac_f32_e32 v20, 0xbbbac73d, v19
	v_mov_b32_e32 v22, 0xbd5c1c4e
	v_fmac_f32_e32 v22, v19, v20
	v_mov_b32_e32 v20, 0x3e088382
	v_fmac_f32_e32 v20, v19, v22
	v_mov_b32_e32 v22, 0xbeaaaa99
	v_fmac_f32_e32 v22, v19, v20
	v_mul_f32_e64 v20, |v76|, v22
	v_fma_f32 v19, v19, v20, |v76|
.LBB86_194:
	s_or_b64 exec, exec, s[14:15]
	v_mul_hi_u32 v20, s28, v126
	s_brev_b32 s14, -2
	v_bfi_b32 v19, s14, v19, v76
	v_mul_f32_e32 v76, s19, v19
	v_add_u32_e32 v20, v126, v20
	v_lshrrev_b32_e32 v20, s29, v20
	v_mul_lo_u32 v20, v20, s30
	v_mov_b32_e32 v19, v6
	v_sub_u32_e32 v20, v126, v20
	v_mul_lo_u32 v20, v20, s23
	v_add_u32_e32 v20, s16, v20
	s_and_saveexec_b64 s[14:15], s[12:13]
	s_cbranch_execz .LBB86_199
; %bb.195:
	s_and_b64 vcc, exec, s[6:7]
	s_cbranch_vccnz .LBB86_197
; %bb.196:
	v_add_u32_e32 v22, v20, v0
	v_ashrrev_i32_e32 v23, 31, v22
	v_lshlrev_b64 v[22:23], 1, v[22:23]
	v_mov_b32_e32 v19, s41
	v_add_co_u32_e32 v22, vcc, s40, v22
	v_addc_co_u32_e32 v23, vcc, v19, v23, vcc
	global_load_ushort v19, v[22:23], off
	s_waitcnt vmcnt(0)
	v_cvt_f32_f16_e32 v19, v19
	v_mul_f32_e32 v19, v21, v19
	s_branch .LBB86_198
.LBB86_197:
	v_mov_b32_e32 v19, 0
.LBB86_198:
	v_add_f32_e32 v76, v76, v19
	v_add_f32_e32 v19, 0x40051340, v76
	v_max_f32_e32 v22, v6, v6
	v_max_f32_e32 v19, v22, v19
.LBB86_199:
	s_or_b64 exec, exec, s[14:15]
	s_mov_b32 s14, 0x3f200000
	v_cmp_nlt_f32_e64 s[14:15], |v75|, s14
                                        ; implicit-def: $vgpr25
	s_and_saveexec_b64 s[36:37], s[14:15]
	s_xor_b64 s[14:15], exec, s[36:37]
	s_cbranch_execz .LBB86_201
; %bb.200:
	v_add_f32_e64 v22, |v75|, |v75|
	v_mul_f32_e32 v23, 0x3fb8aa3b, v22
	s_mov_b32 s36, 0x3fb8aa3b
	v_rndne_f32_e32 v24, v23
	v_sub_f32_e32 v25, v23, v24
	v_fma_f32 v23, v22, s36, -v23
	v_fmac_f32_e32 v23, 0x32a5705f, v22
	v_add_f32_e32 v23, v25, v23
	v_exp_f32_e32 v23, v23
	v_cvt_i32_f32_e32 v24, v24
	s_mov_b32 s36, 0xc2ce8ed0
	v_cmp_ngt_f32_e32 vcc, s36, v22
	s_mov_b32 s36, 0x42b17218
	v_ldexp_f32 v23, v23, v24
	v_cndmask_b32_e32 v23, 0, v23, vcc
	v_mov_b32_e32 v24, 0x7f800000
	v_cmp_nlt_f32_e32 vcc, s36, v22
	v_cndmask_b32_e32 v22, v24, v23, vcc
	v_add_f32_e32 v22, 1.0, v22
	v_rcp_f32_e32 v22, v22
	v_fma_f32 v25, v22, -2.0, 1.0
.LBB86_201:
	s_andn2_saveexec_b64 s[14:15], s[14:15]
	s_cbranch_execz .LBB86_203
; %bb.202:
	v_mul_f32_e32 v22, v75, v75
	v_mov_b32_e32 v23, 0x3ca908c9
	v_fmac_f32_e32 v23, 0xbbbac73d, v22
	v_mov_b32_e32 v24, 0xbd5c1c4e
	v_fmac_f32_e32 v24, v22, v23
	;; [unrolled: 2-line block ×4, first 2 shown]
	v_mul_f32_e64 v23, |v75|, v24
	v_fma_f32 v25, v22, v23, |v75|
.LBB86_203:
	s_or_b64 exec, exec, s[14:15]
	s_brev_b32 s14, -2
	v_bfi_b32 v22, s14, v25, v75
	v_mul_f32_e32 v75, s19, v22
	s_and_saveexec_b64 s[14:15], s[10:11]
	s_cbranch_execz .LBB86_208
; %bb.204:
	s_and_b64 vcc, exec, s[6:7]
	s_cbranch_vccnz .LBB86_206
; %bb.205:
	v_ashrrev_i32_e32 v23, 31, v20
	v_add_co_u32_e32 v22, vcc, v20, v0
	v_addc_co_u32_e32 v23, vcc, 0, v23, vcc
	v_lshlrev_b64 v[22:23], 1, v[22:23]
	v_mov_b32_e32 v20, s41
	v_add_co_u32_e32 v22, vcc, s40, v22
	v_addc_co_u32_e32 v23, vcc, v20, v23, vcc
	global_load_ushort v20, v[22:23], off offset:64
	s_waitcnt vmcnt(0)
	v_cvt_f32_f16_e32 v20, v20
	v_mul_f32_e32 v20, v21, v20
	s_branch .LBB86_207
.LBB86_206:
	v_mov_b32_e32 v20, 0
.LBB86_207:
	v_add_f32_e32 v75, v75, v20
	v_add_f32_e32 v20, 0x40051340, v75
	v_max_f32_e32 v19, v19, v19
	v_max_f32_e32 v19, v19, v20
.LBB86_208:
	s_or_b64 exec, exec, s[14:15]
	ds_bpermute_b32 v20, v10, v19
	v_max_f32_e32 v19, v19, v19
	s_mov_b32 s14, 0x3f200000
	v_cmp_nlt_f32_e64 s[14:15], |v74|, s14
	s_waitcnt lgkmcnt(0)
	v_max_f32_e32 v20, v20, v20
	v_max_f32_e32 v19, v19, v20
	ds_bpermute_b32 v20, v11, v19
	s_waitcnt lgkmcnt(0)
	v_max_f32_e32 v20, v20, v20
	v_max_f32_e32 v19, v19, v20
	ds_bpermute_b32 v20, v12, v19
	;; [unrolled: 4-line block ×4, first 2 shown]
                                        ; implicit-def: $vgpr19
	s_and_saveexec_b64 s[36:37], s[14:15]
	s_xor_b64 s[14:15], exec, s[36:37]
	s_cbranch_execz .LBB86_210
; %bb.209:
	v_add_f32_e64 v19, |v74|, |v74|
	v_mul_f32_e32 v22, 0x3fb8aa3b, v19
	s_mov_b32 s36, 0x3fb8aa3b
	v_rndne_f32_e32 v23, v22
	v_sub_f32_e32 v24, v22, v23
	v_fma_f32 v22, v19, s36, -v22
	v_fmac_f32_e32 v22, 0x32a5705f, v19
	v_add_f32_e32 v22, v24, v22
	v_exp_f32_e32 v22, v22
	v_cvt_i32_f32_e32 v23, v23
	s_mov_b32 s36, 0xc2ce8ed0
	v_cmp_ngt_f32_e32 vcc, s36, v19
	s_mov_b32 s36, 0x42b17218
	v_ldexp_f32 v22, v22, v23
	v_cndmask_b32_e32 v22, 0, v22, vcc
	v_mov_b32_e32 v23, 0x7f800000
	v_cmp_nlt_f32_e32 vcc, s36, v19
	v_cndmask_b32_e32 v19, v23, v22, vcc
	v_add_f32_e32 v19, 1.0, v19
	v_rcp_f32_e32 v19, v19
	v_fma_f32 v19, v19, -2.0, 1.0
.LBB86_210:
	s_andn2_saveexec_b64 s[14:15], s[14:15]
	s_cbranch_execz .LBB86_212
; %bb.211:
	v_mul_f32_e32 v19, v74, v74
	v_mov_b32_e32 v22, 0x3ca908c9
	v_fmac_f32_e32 v22, 0xbbbac73d, v19
	v_mov_b32_e32 v23, 0xbd5c1c4e
	v_fmac_f32_e32 v23, v19, v22
	;; [unrolled: 2-line block ×4, first 2 shown]
	v_mul_f32_e64 v22, |v74|, v23
	v_fma_f32 v19, v19, v22, |v74|
.LBB86_212:
	s_or_b64 exec, exec, s[14:15]
	v_mul_hi_u32 v22, s28, v125
	s_brev_b32 s14, -2
	v_bfi_b32 v19, s14, v19, v74
	v_mul_f32_e32 v74, s19, v19
	v_add_u32_e32 v22, v125, v22
	v_lshrrev_b32_e32 v22, s29, v22
	v_mul_lo_u32 v22, v22, s30
	v_mov_b32_e32 v19, v7
	v_sub_u32_e32 v22, v125, v22
	v_mul_lo_u32 v22, v22, s23
	v_add_u32_e32 v24, s16, v22
	s_and_saveexec_b64 s[14:15], s[12:13]
	s_cbranch_execz .LBB86_217
; %bb.213:
	s_and_b64 vcc, exec, s[6:7]
	s_cbranch_vccnz .LBB86_215
; %bb.214:
	v_add_u32_e32 v22, v24, v0
	v_ashrrev_i32_e32 v23, 31, v22
	v_lshlrev_b64 v[22:23], 1, v[22:23]
	v_mov_b32_e32 v19, s41
	v_add_co_u32_e32 v22, vcc, s40, v22
	v_addc_co_u32_e32 v23, vcc, v19, v23, vcc
	global_load_ushort v19, v[22:23], off
	s_waitcnt vmcnt(0)
	v_cvt_f32_f16_e32 v19, v19
	v_mul_f32_e32 v19, v21, v19
	s_branch .LBB86_216
.LBB86_215:
	v_mov_b32_e32 v19, 0
.LBB86_216:
	v_add_f32_e32 v74, v74, v19
	v_add_f32_e32 v19, 0x40051340, v74
	v_max_f32_e32 v22, v7, v7
	v_max_f32_e32 v19, v22, v19
.LBB86_217:
	s_or_b64 exec, exec, s[14:15]
	s_mov_b32 s14, 0x3f200000
	v_cmp_nlt_f32_e64 s[14:15], |v73|, s14
                                        ; implicit-def: $vgpr96
	s_and_saveexec_b64 s[36:37], s[14:15]
	s_xor_b64 s[14:15], exec, s[36:37]
	s_cbranch_execz .LBB86_219
; %bb.218:
	v_add_f32_e64 v22, |v73|, |v73|
	v_mul_f32_e32 v23, 0x3fb8aa3b, v22
	s_mov_b32 s36, 0x3fb8aa3b
	v_rndne_f32_e32 v26, v23
	v_sub_f32_e32 v27, v23, v26
	v_fma_f32 v23, v22, s36, -v23
	v_fmac_f32_e32 v23, 0x32a5705f, v22
	v_add_f32_e32 v23, v27, v23
	v_exp_f32_e32 v23, v23
	v_cvt_i32_f32_e32 v26, v26
	s_mov_b32 s36, 0xc2ce8ed0
	v_cmp_ngt_f32_e32 vcc, s36, v22
	s_mov_b32 s36, 0x42b17218
	v_ldexp_f32 v23, v23, v26
	v_cndmask_b32_e32 v23, 0, v23, vcc
	v_mov_b32_e32 v26, 0x7f800000
	v_cmp_nlt_f32_e32 vcc, s36, v22
	v_cndmask_b32_e32 v22, v26, v23, vcc
	v_add_f32_e32 v22, 1.0, v22
	v_rcp_f32_e32 v22, v22
	v_fma_f32 v96, v22, -2.0, 1.0
.LBB86_219:
	s_andn2_saveexec_b64 s[14:15], s[14:15]
	s_cbranch_execz .LBB86_221
; %bb.220:
	v_mul_f32_e32 v22, v73, v73
	v_mov_b32_e32 v23, 0x3ca908c9
	v_fmac_f32_e32 v23, 0xbbbac73d, v22
	v_mov_b32_e32 v26, 0xbd5c1c4e
	v_fmac_f32_e32 v26, v22, v23
	;; [unrolled: 2-line block ×4, first 2 shown]
	v_mul_f32_e64 v23, |v73|, v26
	v_fma_f32 v96, v22, v23, |v73|
.LBB86_221:
	s_or_b64 exec, exec, s[14:15]
	s_brev_b32 s14, -2
	v_bfi_b32 v22, s14, v96, v73
	v_mul_f32_e32 v73, s19, v22
	s_and_saveexec_b64 s[14:15], s[10:11]
	s_cbranch_execz .LBB86_226
; %bb.222:
	s_and_b64 vcc, exec, s[6:7]
	s_cbranch_vccnz .LBB86_224
; %bb.223:
	v_ashrrev_i32_e32 v23, 31, v24
	v_add_co_u32_e32 v22, vcc, v24, v0
	v_addc_co_u32_e32 v23, vcc, 0, v23, vcc
	v_lshlrev_b64 v[22:23], 1, v[22:23]
	v_mov_b32_e32 v24, s41
	v_add_co_u32_e32 v22, vcc, s40, v22
	v_addc_co_u32_e32 v23, vcc, v24, v23, vcc
	global_load_ushort v22, v[22:23], off offset:64
	s_waitcnt vmcnt(0)
	v_cvt_f32_f16_e32 v22, v22
	v_mul_f32_e32 v24, v21, v22
	s_branch .LBB86_225
.LBB86_224:
	v_mov_b32_e32 v24, 0
.LBB86_225:
	v_add_f32_e32 v73, v73, v24
	v_add_f32_e32 v22, 0x40051340, v73
	v_max_f32_e32 v19, v19, v19
	v_max_f32_e32 v19, v19, v22
.LBB86_226:
	s_or_b64 exec, exec, s[14:15]
	ds_bpermute_b32 v22, v10, v19
	v_max_f32_e32 v19, v19, v19
	s_mov_b32 s14, 0x3f200000
	v_cmp_nlt_f32_e64 s[14:15], |v17|, s14
	s_waitcnt lgkmcnt(0)
	v_max_f32_e32 v22, v22, v22
	v_max_f32_e32 v19, v19, v22
	ds_bpermute_b32 v22, v11, v19
	s_waitcnt lgkmcnt(0)
	v_max_f32_e32 v22, v22, v22
	v_max_f32_e32 v19, v19, v22
	ds_bpermute_b32 v22, v12, v19
	;; [unrolled: 4-line block ×4, first 2 shown]
                                        ; implicit-def: $vgpr19
	s_and_saveexec_b64 s[36:37], s[14:15]
	s_xor_b64 s[14:15], exec, s[36:37]
	s_cbranch_execz .LBB86_228
; %bb.227:
	v_add_f32_e64 v19, |v17|, |v17|
	v_mul_f32_e32 v22, 0x3fb8aa3b, v19
	s_mov_b32 s36, 0x3fb8aa3b
	v_rndne_f32_e32 v23, v22
	v_sub_f32_e32 v26, v22, v23
	v_fma_f32 v22, v19, s36, -v22
	v_fmac_f32_e32 v22, 0x32a5705f, v19
	v_add_f32_e32 v22, v26, v22
	v_exp_f32_e32 v22, v22
	v_cvt_i32_f32_e32 v23, v23
	s_mov_b32 s36, 0xc2ce8ed0
	v_cmp_ngt_f32_e32 vcc, s36, v19
	s_mov_b32 s36, 0x42b17218
	v_ldexp_f32 v22, v22, v23
	v_cndmask_b32_e32 v22, 0, v22, vcc
	v_mov_b32_e32 v23, 0x7f800000
	v_cmp_nlt_f32_e32 vcc, s36, v19
	v_cndmask_b32_e32 v19, v23, v22, vcc
	v_add_f32_e32 v19, 1.0, v19
	v_rcp_f32_e32 v19, v19
	v_fma_f32 v19, v19, -2.0, 1.0
.LBB86_228:
	s_andn2_saveexec_b64 s[14:15], s[14:15]
	s_cbranch_execz .LBB86_230
; %bb.229:
	v_mul_f32_e32 v19, v17, v17
	v_mov_b32_e32 v22, 0x3ca908c9
	v_fmac_f32_e32 v22, 0xbbbac73d, v19
	v_mov_b32_e32 v23, 0xbd5c1c4e
	v_fmac_f32_e32 v23, v19, v22
	;; [unrolled: 2-line block ×4, first 2 shown]
	v_mul_f32_e64 v22, |v17|, v23
	v_fma_f32 v19, v19, v22, |v17|
.LBB86_230:
	s_or_b64 exec, exec, s[14:15]
	v_mul_hi_u32 v22, s28, v124
	s_brev_b32 s14, -2
	v_bfi_b32 v17, s14, v19, v17
	v_mul_f32_e32 v96, s19, v17
	v_add_u32_e32 v22, v124, v22
	v_lshrrev_b32_e32 v22, s29, v22
	v_mul_lo_u32 v22, v22, s30
	v_mov_b32_e32 v17, v8
	v_sub_u32_e32 v22, v124, v22
	v_mul_lo_u32 v22, v22, s23
	v_add_u32_e32 v23, s16, v22
	s_and_saveexec_b64 s[14:15], s[12:13]
	s_cbranch_execz .LBB86_235
; %bb.231:
	s_and_b64 vcc, exec, s[6:7]
	s_cbranch_vccnz .LBB86_233
; %bb.232:
	v_add_u32_e32 v26, v23, v0
	v_ashrrev_i32_e32 v27, 31, v26
	v_lshlrev_b64 v[26:27], 1, v[26:27]
	v_mov_b32_e32 v17, s41
	v_add_co_u32_e32 v26, vcc, s40, v26
	v_addc_co_u32_e32 v27, vcc, v17, v27, vcc
	global_load_ushort v17, v[26:27], off
	s_waitcnt vmcnt(0)
	v_cvt_f32_f16_e32 v17, v17
	v_mul_f32_e32 v17, v21, v17
	s_branch .LBB86_234
.LBB86_233:
	v_mov_b32_e32 v17, 0
.LBB86_234:
	v_add_f32_e32 v96, v96, v17
	v_add_f32_e32 v17, 0x40051340, v96
	v_max_f32_e32 v19, v8, v8
	v_max_f32_e32 v17, v19, v17
.LBB86_235:
	s_or_b64 exec, exec, s[14:15]
	s_mov_b32 s14, 0x3f200000
	v_cmp_nlt_f32_e64 s[14:15], |v16|, s14
                                        ; implicit-def: $vgpr19
	s_and_saveexec_b64 s[36:37], s[14:15]
	s_xor_b64 s[14:15], exec, s[36:37]
	s_cbranch_execz .LBB86_237
; %bb.236:
	v_add_f32_e64 v19, |v16|, |v16|
	v_mul_f32_e32 v22, 0x3fb8aa3b, v19
	s_mov_b32 s36, 0x3fb8aa3b
	v_rndne_f32_e32 v26, v22
	v_sub_f32_e32 v27, v22, v26
	v_fma_f32 v22, v19, s36, -v22
	v_fmac_f32_e32 v22, 0x32a5705f, v19
	v_add_f32_e32 v22, v27, v22
	v_exp_f32_e32 v22, v22
	v_cvt_i32_f32_e32 v26, v26
	s_mov_b32 s36, 0xc2ce8ed0
	v_cmp_ngt_f32_e32 vcc, s36, v19
	s_mov_b32 s36, 0x42b17218
	v_ldexp_f32 v22, v22, v26
	v_cndmask_b32_e32 v22, 0, v22, vcc
	v_mov_b32_e32 v26, 0x7f800000
	v_cmp_nlt_f32_e32 vcc, s36, v19
	v_cndmask_b32_e32 v19, v26, v22, vcc
	v_add_f32_e32 v19, 1.0, v19
	v_rcp_f32_e32 v19, v19
	v_fma_f32 v19, v19, -2.0, 1.0
.LBB86_237:
	s_andn2_saveexec_b64 s[14:15], s[14:15]
	s_cbranch_execz .LBB86_239
; %bb.238:
	v_mul_f32_e32 v19, v16, v16
	v_mov_b32_e32 v22, 0x3ca908c9
	v_fmac_f32_e32 v22, 0xbbbac73d, v19
	v_mov_b32_e32 v26, 0xbd5c1c4e
	v_fmac_f32_e32 v26, v19, v22
	;; [unrolled: 2-line block ×4, first 2 shown]
	v_mul_f32_e64 v22, |v16|, v26
	v_fma_f32 v19, v19, v22, |v16|
.LBB86_239:
	s_or_b64 exec, exec, s[14:15]
	s_brev_b32 s14, -2
	v_bfi_b32 v16, s14, v19, v16
	v_mul_f32_e32 v19, s19, v16
	s_and_saveexec_b64 s[14:15], s[10:11]
	s_cbranch_execz .LBB86_244
; %bb.240:
	s_and_b64 vcc, exec, s[6:7]
	s_cbranch_vccnz .LBB86_242
; %bb.241:
	v_ashrrev_i32_e32 v16, 31, v23
	v_add_co_u32_e32 v22, vcc, v23, v0
	v_addc_co_u32_e32 v23, vcc, 0, v16, vcc
	v_lshlrev_b64 v[22:23], 1, v[22:23]
	v_mov_b32_e32 v16, s41
	v_add_co_u32_e32 v22, vcc, s40, v22
	v_addc_co_u32_e32 v23, vcc, v16, v23, vcc
	global_load_ushort v16, v[22:23], off offset:64
	s_waitcnt vmcnt(0)
	v_cvt_f32_f16_e32 v16, v16
	v_mul_f32_e32 v16, v21, v16
	s_branch .LBB86_243
.LBB86_242:
	v_mov_b32_e32 v16, 0
.LBB86_243:
	v_add_f32_e32 v19, v19, v16
	v_add_f32_e32 v16, 0x40051340, v19
	v_max_f32_e32 v17, v17, v17
	v_max_f32_e32 v17, v17, v16
.LBB86_244:
	s_or_b64 exec, exec, s[14:15]
	ds_bpermute_b32 v16, v10, v17
	v_max_f32_e32 v17, v17, v17
	s_mov_b32 s14, 0x3f200000
	v_cmp_nlt_f32_e64 s[14:15], |v15|, s14
                                        ; implicit-def: $vgpr23
	s_waitcnt lgkmcnt(0)
	v_max_f32_e32 v16, v16, v16
	v_max_f32_e32 v16, v17, v16
	ds_bpermute_b32 v17, v11, v16
	s_waitcnt lgkmcnt(0)
	v_max_f32_e32 v17, v17, v17
	v_max_f32_e32 v16, v16, v17
	ds_bpermute_b32 v17, v12, v16
	;; [unrolled: 4-line block ×4, first 2 shown]
	s_and_saveexec_b64 s[36:37], s[14:15]
	s_xor_b64 s[14:15], exec, s[36:37]
	s_cbranch_execz .LBB86_246
; %bb.245:
	v_add_f32_e64 v22, |v15|, |v15|
	v_mul_f32_e32 v23, 0x3fb8aa3b, v22
	s_mov_b32 s36, 0x3fb8aa3b
	v_rndne_f32_e32 v26, v23
	v_sub_f32_e32 v27, v23, v26
	v_fma_f32 v23, v22, s36, -v23
	v_fmac_f32_e32 v23, 0x32a5705f, v22
	v_add_f32_e32 v23, v27, v23
	v_exp_f32_e32 v23, v23
	v_cvt_i32_f32_e32 v26, v26
	s_mov_b32 s36, 0xc2ce8ed0
	v_cmp_ngt_f32_e32 vcc, s36, v22
	s_mov_b32 s36, 0x42b17218
	v_ldexp_f32 v23, v23, v26
	v_cndmask_b32_e32 v23, 0, v23, vcc
	v_mov_b32_e32 v26, 0x7f800000
	v_cmp_nlt_f32_e32 vcc, s36, v22
	v_cndmask_b32_e32 v22, v26, v23, vcc
	v_add_f32_e32 v22, 1.0, v22
	v_rcp_f32_e32 v22, v22
	v_fma_f32 v23, v22, -2.0, 1.0
.LBB86_246:
	s_andn2_saveexec_b64 s[14:15], s[14:15]
	s_cbranch_execz .LBB86_248
; %bb.247:
	v_mul_f32_e32 v22, v15, v15
	v_mov_b32_e32 v23, 0x3ca908c9
	v_fmac_f32_e32 v23, 0xbbbac73d, v22
	v_mov_b32_e32 v26, 0xbd5c1c4e
	v_fmac_f32_e32 v26, v22, v23
	;; [unrolled: 2-line block ×4, first 2 shown]
	v_mul_f32_e64 v23, |v15|, v26
	v_fma_f32 v23, v22, v23, |v15|
.LBB86_248:
	s_or_b64 exec, exec, s[14:15]
	v_mul_hi_u32 v22, s28, v123
	s_brev_b32 s14, -2
	v_bfi_b32 v15, s14, v23, v15
	v_mul_f32_e32 v97, s19, v15
	v_add_u32_e32 v22, v123, v22
	v_lshrrev_b32_e32 v22, s29, v22
	v_mul_lo_u32 v22, v22, s30
	v_mov_b32_e32 v15, v9
	v_sub_u32_e32 v22, v123, v22
	v_mul_lo_u32 v22, v22, s23
	v_add_u32_e32 v22, s16, v22
	s_and_saveexec_b64 s[14:15], s[12:13]
	s_cbranch_execz .LBB86_253
; %bb.249:
	s_and_b64 vcc, exec, s[6:7]
	s_cbranch_vccnz .LBB86_251
; %bb.250:
	v_add_u32_e32 v26, v22, v0
	v_ashrrev_i32_e32 v27, 31, v26
	v_lshlrev_b64 v[26:27], 1, v[26:27]
	v_mov_b32_e32 v15, s41
	v_add_co_u32_e32 v26, vcc, s40, v26
	v_addc_co_u32_e32 v27, vcc, v15, v27, vcc
	global_load_ushort v15, v[26:27], off
	s_waitcnt vmcnt(0)
	v_cvt_f32_f16_e32 v15, v15
	v_mul_f32_e32 v15, v21, v15
	s_branch .LBB86_252
.LBB86_251:
	v_mov_b32_e32 v15, 0
.LBB86_252:
	v_add_f32_e32 v97, v97, v15
	v_add_f32_e32 v15, 0x40051340, v97
	v_max_f32_e32 v23, v9, v9
	v_max_f32_e32 v15, v23, v15
.LBB86_253:
	s_or_b64 exec, exec, s[14:15]
	s_mov_b32 s12, 0x3f200000
	v_cmp_nlt_f32_e64 s[12:13], |v14|, s12
                                        ; implicit-def: $vgpr23
	s_and_saveexec_b64 s[14:15], s[12:13]
	s_xor_b64 s[12:13], exec, s[14:15]
	s_cbranch_execz .LBB86_255
; %bb.254:
	v_add_f32_e64 v23, |v14|, |v14|
	v_mul_f32_e32 v26, 0x3fb8aa3b, v23
	s_mov_b32 s14, 0x3fb8aa3b
	v_rndne_f32_e32 v27, v26
	v_sub_f32_e32 v28, v26, v27
	v_fma_f32 v26, v23, s14, -v26
	v_fmac_f32_e32 v26, 0x32a5705f, v23
	v_add_f32_e32 v26, v28, v26
	v_exp_f32_e32 v26, v26
	v_cvt_i32_f32_e32 v27, v27
	s_mov_b32 s14, 0xc2ce8ed0
	v_cmp_ngt_f32_e32 vcc, s14, v23
	s_mov_b32 s14, 0x42b17218
	v_ldexp_f32 v26, v26, v27
	v_cndmask_b32_e32 v26, 0, v26, vcc
	v_mov_b32_e32 v27, 0x7f800000
	v_cmp_nlt_f32_e32 vcc, s14, v23
	v_cndmask_b32_e32 v23, v27, v26, vcc
	v_add_f32_e32 v23, 1.0, v23
	v_rcp_f32_e32 v23, v23
	v_fma_f32 v23, v23, -2.0, 1.0
.LBB86_255:
	s_andn2_saveexec_b64 s[12:13], s[12:13]
	s_cbranch_execz .LBB86_257
; %bb.256:
	v_mul_f32_e32 v23, v14, v14
	v_mov_b32_e32 v26, 0x3ca908c9
	v_fmac_f32_e32 v26, 0xbbbac73d, v23
	v_mov_b32_e32 v27, 0xbd5c1c4e
	v_fmac_f32_e32 v27, v23, v26
	;; [unrolled: 2-line block ×4, first 2 shown]
	v_mul_f32_e64 v26, |v14|, v27
	v_fma_f32 v23, v23, v26, |v14|
.LBB86_257:
	s_or_b64 exec, exec, s[12:13]
	s_brev_b32 s12, -2
	v_bfi_b32 v14, s12, v23, v14
	v_mul_f32_e32 v98, s19, v14
	s_and_saveexec_b64 s[12:13], s[10:11]
	s_cbranch_execz .LBB86_262
; %bb.258:
	s_and_b64 vcc, exec, s[6:7]
	s_cbranch_vccnz .LBB86_260
; %bb.259:
	v_ashrrev_i32_e32 v14, 31, v22
	v_add_co_u32_e32 v22, vcc, v22, v0
	v_addc_co_u32_e32 v23, vcc, 0, v14, vcc
	v_lshlrev_b64 v[22:23], 1, v[22:23]
	v_mov_b32_e32 v14, s41
	v_add_co_u32_e32 v22, vcc, s40, v22
	v_addc_co_u32_e32 v23, vcc, v14, v23, vcc
	global_load_ushort v14, v[22:23], off offset:64
	s_waitcnt vmcnt(0)
	v_cvt_f32_f16_e32 v14, v14
	v_mul_f32_e32 v14, v21, v14
	s_branch .LBB86_261
.LBB86_260:
	v_mov_b32_e32 v14, 0
.LBB86_261:
	v_add_f32_e32 v98, v98, v14
	v_add_f32_e32 v14, 0x40051340, v98
	v_max_f32_e32 v15, v15, v15
	v_max_f32_e32 v15, v15, v14
.LBB86_262:
	s_or_b64 exec, exec, s[12:13]
	ds_bpermute_b32 v10, v10, v15
	v_max_f32_e32 v15, v15, v15
	s_waitcnt lgkmcnt(1)
	v_max_f32_e32 v14, v17, v17
	v_max_f32_e32 v16, v16, v16
	v_max_f32_e32 v16, v16, v14
	s_waitcnt lgkmcnt(0)
	v_max_f32_e32 v10, v10, v10
	v_max_f32_e32 v10, v15, v10
	ds_bpermute_b32 v11, v11, v10
	v_max_f32_e32 v14, v99, v99
	v_max_f32_e32 v17, v24, v24
	v_max_f32_e32 v15, v17, v14
	v_max_f32_e32 v14, v25, v25
	s_waitcnt lgkmcnt(0)
	v_max_f32_e32 v11, v11, v11
	v_max_f32_e32 v10, v10, v11
	ds_bpermute_b32 v11, v12, v10
	v_max_f32_e32 v17, v20, v20
	v_max_f32_e32 v12, v85, v85
	v_max_f32_e32 v13, v13, v13
	v_max_f32_e32 v14, v17, v14
	s_waitcnt lgkmcnt(0)
	v_max_f32_e32 v11, v11, v11
	v_max_f32_e32 v10, v10, v11
	ds_bpermute_b32 v11, v91, v10
	v_max_f32_e32 v13, v13, v12
	v_max_f32_e32 v12, v95, v95
	v_max_f32_e32 v17, v87, v87
	v_max_f32_e32 v12, v17, v12
	s_waitcnt lgkmcnt(0)
	v_max_f32_e32 v11, v11, v11
	v_max_f32_e32 v21, v10, v11
	ds_bpermute_b32 v22, v92, v21
	v_max_f32_e32 v17, v94, v94
	v_max_f32_e32 v20, v89, v89
	v_max_f32_e32 v11, v20, v17
	;; [unrolled: 1-line block ×5, first 2 shown]
	s_waitcnt lgkmcnt(0)
	v_max_f32_e32 v17, v22, v22
	v_sub_f32_e32 v20, v48, v10
	v_max_f32_e32 v17, v21, v17
	s_mov_b32 s14, 0x3fb8aa3b
	v_mul_f32_e32 v21, 0x3fb8aa3b, v20
	v_fma_f32 v22, v20, s14, -v21
	v_rndne_f32_e32 v23, v21
	v_fmac_f32_e32 v22, 0x32a5705f, v20
	v_sub_f32_e32 v21, v21, v23
	v_add_f32_e32 v21, v21, v22
	v_exp_f32_e32 v21, v21
	v_cvt_i32_f32_e32 v23, v23
	s_mov_b32 s15, 0xc2ce8ed0
	v_sub_f32_e32 v24, v2, v10
	v_cmp_ngt_f32_e32 vcc, s15, v20
	v_ldexp_f32 v2, v21, v23
	s_mov_b32 s19, 0x42b17218
	v_cndmask_b32_e32 v21, 0, v2, vcc
	v_mov_b32_e32 v2, 0x7f800000
	v_cmp_nlt_f32_e32 vcc, s19, v20
	v_cndmask_b32_e32 v20, v2, v21, vcc
	v_sub_f32_e32 v21, v90, v10
	v_mul_f32_e32 v23, 0x3fb8aa3b, v21
	v_fma_f32 v25, v21, s14, -v23
	v_rndne_f32_e32 v26, v23
	v_fmac_f32_e32 v25, 0x32a5705f, v21
	v_sub_f32_e32 v23, v23, v26
	v_add_f32_e32 v23, v23, v25
	v_exp_f32_e32 v23, v23
	v_cvt_i32_f32_e32 v25, v26
	v_cmp_ngt_f32_e64 s[6:7], s15, v21
	v_cmp_ngt_f32_e64 s[10:11], s15, v24
	v_cmp_gt_u32_e32 vcc, s39, v0
	v_ldexp_f32 v23, v23, v25
	v_cndmask_b32_e64 v23, 0, v23, s[6:7]
	v_cmp_nlt_f32_e64 s[6:7], s19, v21
	v_cndmask_b32_e64 v21, v2, v23, s[6:7]
	v_mul_f32_e32 v23, 0x3fb8aa3b, v24
	v_fma_f32 v25, v24, s14, -v23
	v_rndne_f32_e32 v27, v23
	v_fmac_f32_e32 v25, 0x32a5705f, v24
	v_sub_f32_e32 v23, v23, v27
	v_add_f32_e32 v23, v23, v25
	v_exp_f32_e32 v23, v23
	v_cvt_i32_f32_e32 v25, v27
	v_cmp_gt_u32_e64 s[6:7], s39, v46
	v_cndmask_b32_e32 v26, 0, v20, vcc
	v_cndmask_b32_e64 v27, 0, v21, s[6:7]
	v_ldexp_f32 v23, v23, v25
	v_cndmask_b32_e64 v23, 0, v23, s[10:11]
	v_cmp_nlt_f32_e64 s[10:11], s19, v24
	v_cndmask_b32_e64 v23, v2, v23, s[10:11]
	v_cvt_f16_f32_e32 v24, v23
	v_add_f32_e32 v21, v26, v27
	v_fmac_f32_e32 v21, v66, v23
	v_cvt_f16_f32_e32 v20, v26
	v_mul_u32_u24_e32 v23, 0x10001, v24
	v_sub_f32_e32 v24, v45, v11
	v_mul_f32_e32 v25, 0x3fb8aa3b, v24
	v_cvt_f16_f32_e32 v85, v27
	v_fma_f32 v26, v24, s14, -v25
	v_rndne_f32_e32 v27, v25
	v_fmac_f32_e32 v26, 0x32a5705f, v24
	v_sub_f32_e32 v25, v25, v27
	v_add_f32_e32 v25, v25, v26
	v_exp_f32_e32 v25, v25
	v_cvt_i32_f32_e32 v26, v27
	v_pk_mul_f16 v48, v71, v23
	v_pk_mul_f16 v47, v72, v23
	v_sub_f32_e32 v23, v3, v11
	v_ldexp_f32 v3, v25, v26
	v_sub_f32_e32 v25, v88, v11
	v_mul_f32_e32 v26, 0x3fb8aa3b, v25
	v_fma_f32 v27, v25, s14, -v26
	v_rndne_f32_e32 v28, v26
	v_fmac_f32_e32 v27, 0x32a5705f, v25
	v_sub_f32_e32 v26, v26, v28
	v_add_f32_e32 v26, v26, v27
	v_exp_f32_e32 v26, v26
	v_cvt_i32_f32_e32 v27, v28
	v_cmp_ngt_f32_e64 s[10:11], s15, v24
	v_cndmask_b32_e64 v3, 0, v3, s[10:11]
	v_cmp_nlt_f32_e64 s[10:11], s19, v24
	v_ldexp_f32 v26, v26, v27
	v_mul_f32_e32 v27, 0x3fb8aa3b, v23
	v_fma_f32 v28, v23, s14, -v27
	v_rndne_f32_e32 v29, v27
	v_fmac_f32_e32 v28, 0x32a5705f, v23
	v_sub_f32_e32 v27, v27, v29
	v_add_f32_e32 v27, v27, v28
	v_exp_f32_e32 v27, v27
	v_cvt_i32_f32_e32 v28, v29
	v_cndmask_b32_e64 v3, v2, v3, s[10:11]
	v_cmp_ngt_f32_e64 s[10:11], s15, v25
	v_cndmask_b32_e64 v26, 0, v26, s[10:11]
	v_cmp_nlt_f32_e64 s[10:11], s19, v25
	v_cndmask_b32_e64 v25, v2, v26, s[10:11]
	v_ldexp_f32 v26, v27, v28
	v_cmp_ngt_f32_e64 s[10:11], s15, v23
	v_cndmask_b32_e64 v26, 0, v26, s[10:11]
	v_cmp_nlt_f32_e64 s[10:11], s19, v23
	v_cndmask_b32_e64 v26, v2, v26, s[10:11]
	v_cvt_f16_f32_e32 v27, v26
	v_cndmask_b32_e32 v24, 0, v3, vcc
	v_cndmask_b32_e64 v25, 0, v25, s[6:7]
	v_add_f32_e32 v23, v24, v25
	v_cvt_f16_f32_e32 v45, v25
	v_sub_f32_e32 v25, v44, v12
	v_fmac_f32_e32 v23, v67, v26
	v_mul_f32_e32 v26, 0x3fb8aa3b, v25
	v_cvt_f16_f32_e32 v3, v24
	v_mul_u32_u24_e32 v24, 0x10001, v27
	v_fma_f32 v27, v25, s14, -v26
	v_rndne_f32_e32 v28, v26
	v_fmac_f32_e32 v27, 0x32a5705f, v25
	v_sub_f32_e32 v26, v26, v28
	v_add_f32_e32 v26, v26, v27
	v_exp_f32_e32 v26, v26
	v_cvt_i32_f32_e32 v27, v28
	v_pk_mul_f16 v66, v62, v24
	v_pk_mul_f16 v62, v63, v24
	v_sub_f32_e32 v24, v4, v12
	v_ldexp_f32 v4, v26, v27
	v_sub_f32_e32 v26, v86, v12
	v_mul_f32_e32 v27, 0x3fb8aa3b, v26
	v_fma_f32 v28, v26, s14, -v27
	v_rndne_f32_e32 v29, v27
	v_fmac_f32_e32 v28, 0x32a5705f, v26
	v_sub_f32_e32 v27, v27, v29
	v_add_f32_e32 v27, v27, v28
	v_exp_f32_e32 v27, v27
	v_cvt_i32_f32_e32 v28, v29
	v_cmp_ngt_f32_e64 s[10:11], s15, v25
	v_cndmask_b32_e64 v4, 0, v4, s[10:11]
	v_cmp_nlt_f32_e64 s[10:11], s19, v25
	v_ldexp_f32 v27, v27, v28
	v_mul_f32_e32 v28, 0x3fb8aa3b, v24
	v_fma_f32 v29, v24, s14, -v28
	v_rndne_f32_e32 v30, v28
	v_fmac_f32_e32 v29, 0x32a5705f, v24
	v_sub_f32_e32 v28, v28, v30
	v_add_f32_e32 v28, v28, v29
	v_exp_f32_e32 v28, v28
	v_cvt_i32_f32_e32 v29, v30
	v_cndmask_b32_e64 v4, v2, v4, s[10:11]
	v_cmp_ngt_f32_e64 s[10:11], s15, v26
	v_cndmask_b32_e64 v27, 0, v27, s[10:11]
	v_cmp_nlt_f32_e64 s[10:11], s19, v26
	v_cndmask_b32_e64 v26, v2, v27, s[10:11]
	v_ldexp_f32 v27, v28, v29
	v_cmp_ngt_f32_e64 s[10:11], s15, v24
	v_cndmask_b32_e64 v27, 0, v27, s[10:11]
	v_cmp_nlt_f32_e64 s[10:11], s19, v24
	v_cndmask_b32_e64 v27, v2, v27, s[10:11]
	v_cvt_f16_f32_e32 v28, v27
	v_cndmask_b32_e32 v25, 0, v4, vcc
	v_cndmask_b32_e64 v26, 0, v26, s[6:7]
	v_add_f32_e32 v24, v25, v26
	v_cvt_f16_f32_e32 v44, v26
	v_sub_f32_e32 v26, v43, v13
	v_fmac_f32_e32 v24, v69, v27
	v_mul_f32_e32 v27, 0x3fb8aa3b, v26
	v_cvt_f16_f32_e32 v4, v25
	v_mul_u32_u24_e32 v25, 0x10001, v28
	v_fma_f32 v28, v26, s14, -v27
	v_rndne_f32_e32 v29, v27
	v_fmac_f32_e32 v28, 0x32a5705f, v26
	v_sub_f32_e32 v27, v27, v29
	v_add_f32_e32 v27, v27, v28
	v_exp_f32_e32 v27, v27
	v_cvt_i32_f32_e32 v28, v29
	v_pk_mul_f16 v63, v59, v25
	v_pk_mul_f16 v59, v60, v25
	v_sub_f32_e32 v25, v84, v13
	v_sub_f32_e32 v29, v5, v13
	v_ldexp_f32 v5, v27, v28
	v_mul_f32_e32 v27, 0x3fb8aa3b, v25
	v_fma_f32 v28, v25, s14, -v27
	v_rndne_f32_e32 v30, v27
	v_fmac_f32_e32 v28, 0x32a5705f, v25
	v_sub_f32_e32 v27, v27, v30
	v_add_f32_e32 v27, v27, v28
	v_exp_f32_e32 v27, v27
	v_cvt_i32_f32_e32 v28, v30
	v_cmp_ngt_f32_e64 s[10:11], s15, v26
	v_cndmask_b32_e64 v5, 0, v5, s[10:11]
	v_cmp_nlt_f32_e64 s[10:11], s19, v26
	v_cndmask_b32_e64 v5, v2, v5, s[10:11]
	v_ldexp_f32 v27, v27, v28
	v_cmp_ngt_f32_e64 s[10:11], s15, v25
	v_cndmask_b32_e64 v27, 0, v27, s[10:11]
	v_cmp_nlt_f32_e64 s[10:11], s19, v25
	v_cndmask_b32_e64 v25, v2, v27, s[10:11]
	v_mul_f32_e32 v27, 0x3fb8aa3b, v29
	v_fma_f32 v28, v29, s14, -v27
	v_rndne_f32_e32 v30, v27
	v_fmac_f32_e32 v28, 0x32a5705f, v29
	v_sub_f32_e32 v27, v27, v30
	v_add_f32_e32 v27, v27, v28
	v_exp_f32_e32 v27, v27
	v_cvt_i32_f32_e32 v28, v30
	v_cndmask_b32_e32 v26, 0, v5, vcc
	v_cndmask_b32_e64 v30, 0, v25, s[6:7]
	v_cvt_f16_f32_e32 v5, v26
	v_add_f32_e32 v25, v26, v30
	v_ldexp_f32 v26, v27, v28
	v_cmp_ngt_f32_e64 s[10:11], s15, v29
	v_sub_f32_e32 v28, v76, v14
	v_cndmask_b32_e64 v26, 0, v26, s[10:11]
	v_cmp_nlt_f32_e64 s[10:11], s19, v29
	v_mul_f32_e32 v29, 0x3fb8aa3b, v28
	v_cvt_f16_f32_e32 v67, v30
	v_fma_f32 v30, v28, s14, -v29
	v_rndne_f32_e32 v31, v29
	v_cndmask_b32_e64 v26, v2, v26, s[10:11]
	v_fmac_f32_e32 v30, 0x32a5705f, v28
	v_sub_f32_e32 v29, v29, v31
	v_cvt_f16_f32_e32 v27, v26
	v_add_f32_e32 v29, v29, v30
	v_exp_f32_e32 v29, v29
	v_cvt_i32_f32_e32 v30, v31
	v_fmac_f32_e32 v25, v70, v26
	v_sub_f32_e32 v26, v75, v14
	v_mul_u32_u24_e32 v60, 0x10001, v27
	v_mul_f32_e32 v27, 0x3fb8aa3b, v26
	v_sub_f32_e32 v43, v6, v14
	v_ldexp_f32 v6, v29, v30
	v_fma_f32 v29, v26, s14, -v27
	v_rndne_f32_e32 v30, v27
	v_fmac_f32_e32 v29, 0x32a5705f, v26
	v_sub_f32_e32 v27, v27, v30
	v_add_f32_e32 v27, v27, v29
	v_exp_f32_e32 v27, v27
	v_cvt_i32_f32_e32 v29, v30
	v_cmp_ngt_f32_e64 s[10:11], s15, v28
	v_cndmask_b32_e64 v6, 0, v6, s[10:11]
	v_cmp_nlt_f32_e64 s[10:11], s19, v28
	v_cndmask_b32_e64 v6, v2, v6, s[10:11]
	v_ldexp_f32 v27, v27, v29
	v_cmp_ngt_f32_e64 s[10:11], s15, v26
	v_cndmask_b32_e64 v27, 0, v27, s[10:11]
	v_cmp_nlt_f32_e64 s[10:11], s19, v26
	v_cndmask_b32_e64 v26, v2, v27, s[10:11]
	v_cndmask_b32_e64 v70, 0, v26, s[6:7]
	v_sub_f32_e32 v26, v74, v15
	v_mul_f32_e32 v27, 0x3fb8aa3b, v26
	v_fma_f32 v28, v26, s14, -v27
	v_rndne_f32_e32 v29, v27
	v_fmac_f32_e32 v28, 0x32a5705f, v26
	v_sub_f32_e32 v27, v27, v29
	v_add_f32_e32 v27, v27, v28
	v_exp_f32_e32 v27, v27
	v_cvt_i32_f32_e32 v28, v29
	v_cmp_ngt_f32_e64 s[10:11], s15, v26
	v_sub_f32_e32 v19, v19, v16
	v_cndmask_b32_e32 v69, 0, v6, vcc
	v_ldexp_f32 v27, v27, v28
	v_sub_f32_e32 v28, v73, v15
	v_mul_f32_e32 v29, 0x3fb8aa3b, v28
	v_fma_f32 v33, v28, s14, -v29
	v_rndne_f32_e32 v34, v29
	v_fmac_f32_e32 v33, 0x32a5705f, v28
	v_sub_f32_e32 v29, v29, v34
	v_add_f32_e32 v29, v29, v33
	v_exp_f32_e32 v29, v29
	v_cvt_i32_f32_e32 v33, v34
	v_cndmask_b32_e64 v27, 0, v27, s[10:11]
	v_cmp_nlt_f32_e64 s[10:11], s19, v26
	v_cndmask_b32_e64 v26, v2, v27, s[10:11]
	v_ldexp_f32 v27, v29, v33
	v_sub_f32_e32 v29, v96, v16
	v_mul_f32_e32 v33, 0x3fb8aa3b, v29
	v_fma_f32 v34, v29, s14, -v33
	v_rndne_f32_e32 v35, v33
	v_fmac_f32_e32 v34, 0x32a5705f, v29
	v_sub_f32_e32 v33, v33, v35
	v_add_f32_e32 v33, v33, v34
	v_exp_f32_e32 v33, v33
	v_cvt_i32_f32_e32 v34, v35
	v_cmp_ngt_f32_e64 s[10:11], s15, v28
	v_cndmask_b32_e64 v27, 0, v27, s[10:11]
	v_cmp_nlt_f32_e64 s[10:11], s19, v28
	v_cndmask_b32_e64 v27, v2, v27, s[10:11]
	v_mul_f32_e32 v28, 0x3fb8aa3b, v19
	v_cndmask_b32_e64 v35, 0, v27, s[6:7]
	v_ldexp_f32 v27, v33, v34
	v_fma_f32 v33, v19, s14, -v28
	v_rndne_f32_e32 v34, v28
	v_fmac_f32_e32 v33, 0x32a5705f, v19
	v_sub_f32_e32 v28, v28, v34
	v_add_f32_e32 v28, v28, v33
	v_exp_f32_e32 v28, v28
	v_cvt_i32_f32_e32 v33, v34
	v_cmp_ngt_f32_e64 s[10:11], s15, v29
	v_cndmask_b32_e64 v27, 0, v27, s[10:11]
	v_cmp_nlt_f32_e64 s[10:11], s19, v29
	v_sub_f32_e32 v29, v97, v17
	v_ldexp_f32 v28, v28, v33
	v_mul_f32_e32 v33, 0x3fb8aa3b, v29
	v_fma_f32 v37, v29, s14, -v33
	v_rndne_f32_e32 v42, v33
	v_fmac_f32_e32 v37, 0x32a5705f, v29
	v_sub_f32_e32 v33, v33, v42
	v_add_f32_e32 v33, v33, v37
	v_exp_f32_e32 v33, v33
	v_cvt_i32_f32_e32 v37, v42
	v_cndmask_b32_e64 v27, v2, v27, s[10:11]
	v_cmp_ngt_f32_e64 s[10:11], s15, v19
	v_cndmask_b32_e64 v28, 0, v28, s[10:11]
	v_cmp_nlt_f32_e64 s[10:11], s19, v19
	v_cndmask_b32_e64 v19, v2, v28, s[10:11]
	v_ldexp_f32 v28, v33, v37
	v_sub_f32_e32 v33, v98, v17
	v_mul_f32_e32 v37, 0x3fb8aa3b, v33
	v_fma_f32 v72, v33, s14, -v37
	v_rndne_f32_e32 v73, v37
	v_fmac_f32_e32 v72, 0x32a5705f, v33
	v_sub_f32_e32 v37, v37, v73
	v_cmp_ngt_f32_e64 s[10:11], s15, v29
	v_add_f32_e32 v37, v37, v72
	v_cndmask_b32_e64 v28, 0, v28, s[10:11]
	v_exp_f32_e32 v37, v37
	v_cvt_i32_f32_e32 v72, v73
	v_cmp_nlt_f32_e64 s[10:11], s19, v29
	v_cndmask_b32_e64 v28, v2, v28, s[10:11]
	v_cndmask_b32_e32 v34, 0, v27, vcc
	v_cndmask_b32_e32 v73, 0, v28, vcc
	v_cvt_f16_f32_e32 v27, v34
	v_cvt_f16_f32_e32 v28, v73
	v_cndmask_b32_e32 v71, 0, v26, vcc
	v_ldexp_f32 v29, v37, v72
	v_cmp_ngt_f32_e32 vcc, s15, v33
	v_cndmask_b32_e32 v29, 0, v29, vcc
	v_cmp_nlt_f32_e32 vcc, s19, v33
	v_cndmask_b32_e32 v29, v2, v29, vcc
	v_cndmask_b32_e64 v33, 0, v29, s[6:7]
	v_pack_b32_f16 v29, v27, v28
	v_pack_b32_f16 v27, v4, v5
	v_lshl_add_u32 v4, v1, 1, v122
	v_cvt_f16_f32_e32 v6, v69
	v_cvt_f16_f32_e32 v26, v71
	v_mul_lo_u32 v5, s8, v4
	v_cndmask_b32_e64 v42, 0, v19, s[6:7]
	v_cvt_f16_f32_e32 v30, v70
	v_cvt_f16_f32_e32 v36, v35
	;; [unrolled: 1-line block ×4, first 2 shown]
	v_lshlrev_b32_e32 v22, 10, v1
	v_add_u32_e32 v72, 0x4000, v22
	v_pack_b32_f16 v28, v6, v26
	v_ashrrev_i32_e32 v6, 31, v5
	v_lshl_add_u32 v74, v0, 4, v72
	v_pack_b32_f16 v26, v20, v3
	v_lshlrev_b64 v[5:6], 2, v[5:6]
	s_barrier
	ds_write_b128 v74, v[26:29]
	v_lshl_add_u32 v3, v46, 4, v72
	v_pack_b32_f16 v29, v19, v37
	v_pack_b32_f16 v28, v30, v36
	;; [unrolled: 1-line block ×4, first 2 shown]
	ds_write_b128 v3, v[26:29]
	v_mov_b32_e32 v1, s22
	v_add_co_u32_e32 v3, vcc, s17, v5
	v_addc_co_u32_e32 v1, vcc, v1, v6, vcc
	v_lshlrev_b32_e32 v30, 2, v121
	v_add_co_u32_e32 v5, vcc, v3, v30
	s_mul_hi_i32 s7, s16, s8
	s_mul_i32 s6, s16, s8
	v_addc_co_u32_e32 v6, vcc, 0, v1, vcc
	s_lshl_b64 s[6:7], s[6:7], 2
	v_mov_b32_e32 v1, s7
	v_add_co_u32_e32 v3, vcc, s6, v5
	s_mov_b64 s[12:13], src_private_base
	v_addc_co_u32_e32 v1, vcc, v6, v1, vcc
	v_mov_b32_e32 v44, 0
	v_mov_b32_e32 v45, s13
	v_cmp_gt_i32_e32 vcc, s39, v4
	v_mov_b32_e32 v46, 0
	buffer_store_dword v44, off, s[0:3], 0
	buffer_store_dword v44, off, s[0:3], 0 offset:4
	buffer_store_dword v44, off, s[0:3], 0 offset:8
	;; [unrolled: 1-line block ×3, first 2 shown]
	v_cndmask_b32_e32 v20, v45, v1, vcc
	v_cndmask_b32_e32 v19, v46, v3, vcc
	flat_load_dwordx4 v[26:29], v[19:20]
	v_mul_f32_e32 v31, 0x3fb8aa3b, v43
	v_fma_f32 v32, v43, s14, -v31
	v_rndne_f32_e32 v1, v31
	v_fmac_f32_e32 v32, 0x32a5705f, v43
	v_sub_f32_e32 v3, v31, v1
	v_add_f32_e32 v3, v3, v32
	v_exp_f32_e32 v3, v3
	v_cvt_i32_f32_e32 v19, v1
	v_sub_f32_e32 v7, v7, v15
	v_mul_f32_e32 v20, 0x3fb8aa3b, v7
	v_cmp_ngt_f32_e32 vcc, s15, v43
	v_ldexp_f32 v3, v3, v19
	v_fma_f32 v31, v7, s14, -v20
	v_rndne_f32_e32 v32, v20
	v_cndmask_b32_e32 v3, 0, v3, vcc
	v_cmp_nlt_f32_e32 vcc, s19, v43
	v_fmac_f32_e32 v31, 0x32a5705f, v7
	v_sub_f32_e32 v20, v20, v32
	v_cndmask_b32_e32 v3, v2, v3, vcc
	v_add_f32_e32 v20, v20, v31
	v_cvt_f16_f32_e32 v19, v3
	v_exp_f32_e32 v20, v20
	v_cvt_i32_f32_e32 v31, v32
	v_add_f32_e32 v1, v69, v70
	v_fmac_f32_e32 v1, v64, v3
	v_mul_u32_u24_e32 v3, 0x10001, v19
	v_ldexp_f32 v19, v20, v31
	v_cmp_ngt_f32_e32 vcc, s15, v7
	v_cndmask_b32_e32 v19, 0, v19, vcc
	v_cmp_nlt_f32_e32 vcc, s19, v7
	v_cndmask_b32_e32 v7, v2, v19, vcc
	v_cvt_f16_f32_e32 v20, v7
	v_add_f32_e32 v19, v71, v35
	v_fmac_f32_e32 v19, v65, v7
	v_sub_f32_e32 v7, v8, v16
	v_mul_f32_e32 v8, 0x3fb8aa3b, v7
	v_pk_mul_f16 v57, v57, v60
	v_pk_mul_f16 v58, v58, v60
	;; [unrolled: 1-line block ×4, first 2 shown]
	v_mul_u32_u24_e32 v3, 0x10001, v20
	v_fma_f32 v20, v7, s14, -v8
	v_rndne_f32_e32 v31, v8
	v_fmac_f32_e32 v20, 0x32a5705f, v7
	v_sub_f32_e32 v8, v8, v31
	v_add_f32_e32 v8, v8, v20
	v_exp_f32_e32 v8, v8
	v_cvt_i32_f32_e32 v31, v31
	v_pk_mul_f16 v65, v53, v3
	v_pk_mul_f16 v67, v54, v3
	v_cmp_ngt_f32_e32 vcc, s15, v7
	v_ldexp_f32 v3, v8, v31
	v_sub_f32_e32 v8, v9, v17
	v_mul_f32_e32 v9, 0x3fb8aa3b, v8
	v_fma_f32 v31, v8, s14, -v9
	v_rndne_f32_e32 v32, v9
	v_cndmask_b32_e32 v3, 0, v3, vcc
	v_cmp_nlt_f32_e32 vcc, s19, v7
	v_fmac_f32_e32 v31, 0x32a5705f, v8
	v_sub_f32_e32 v9, v9, v32
	v_cndmask_b32_e32 v3, v2, v3, vcc
	v_add_f32_e32 v9, v9, v31
	v_cvt_f16_f32_e32 v7, v3
	v_exp_f32_e32 v9, v9
	v_cvt_i32_f32_e32 v31, v32
	v_add_f32_e32 v20, v34, v42
	v_fmac_f32_e32 v20, v68, v3
	v_mul_u32_u24_e32 v3, 0x10001, v7
	v_ldexp_f32 v7, v9, v31
	v_cmp_ngt_f32_e32 vcc, s15, v8
	v_cndmask_b32_e32 v7, 0, v7, vcc
	v_cmp_nlt_f32_e32 vcc, s19, v8
	v_cndmask_b32_e32 v2, v2, v7, vcc
	v_cvt_f16_f32_e32 v7, v2
	v_add_f32_e32 v43, v73, v33
	v_fmac_f32_e32 v43, v61, v2
	v_pk_mul_f16 v42, v51, v3
	v_mul_u32_u24_e32 v2, 0x10001, v7
	v_lshl_or_b32 v7, v4, 8, v30
	v_pk_mul_f16 v8, v52, v3
	v_pk_mul_f16 v9, v50, v2
	v_pk_mul_f16 v2, v49, v2
	s_waitcnt vmcnt(0) lgkmcnt(0)
	ds_write_b128 v7, v[26:29] offset:24576
	s_waitcnt lgkmcnt(0)
	s_barrier
	v_add_u32_e32 v3, 0x6000, v18
	ds_read_b128 v[26:29], v22 offset:16384
	ds_read2_b64 v[30:33], v3 offset1:32
	ds_read_b128 v[34:37], v22 offset:16400
	ds_read_b128 v[49:52], v22 offset:16416
	;; [unrolled: 1-line block ×3, first 2 shown]
	s_mov_b32 s12, 0x10001
	s_waitcnt lgkmcnt(4)
	v_mul_u32_u24_sdwa v61, v26, s12 dst_sel:DWORD dst_unused:UNUSED_PAD src0_sel:WORD_0 src1_sel:DWORD
	v_mul_u32_u24_sdwa v26, v26, s12 dst_sel:DWORD dst_unused:UNUSED_PAD src0_sel:WORD_1 src1_sel:DWORD
	v_mul_u32_u24_sdwa v68, v27, s12 dst_sel:DWORD dst_unused:UNUSED_PAD src0_sel:WORD_0 src1_sel:DWORD
	v_mul_u32_u24_sdwa v27, v27, s12 dst_sel:DWORD dst_unused:UNUSED_PAD src0_sel:WORD_1 src1_sel:DWORD
	;; [unrolled: 2-line block ×4, first 2 shown]
	s_waitcnt lgkmcnt(3)
	v_pk_fma_f16 v48, v30, v61, v48
	v_pk_fma_f16 v66, v30, v26, v66
	;; [unrolled: 1-line block ×16, first 2 shown]
	s_waitcnt lgkmcnt(2)
	v_mul_u32_u24_sdwa v29, v34, s12 dst_sel:DWORD dst_unused:UNUSED_PAD src0_sel:WORD_0 src1_sel:DWORD
	v_mul_u32_u24_sdwa v31, v34, s12 dst_sel:DWORD dst_unused:UNUSED_PAD src0_sel:WORD_1 src1_sel:DWORD
	v_mul_u32_u24_sdwa v34, v35, s12 dst_sel:DWORD dst_unused:UNUSED_PAD src0_sel:WORD_0 src1_sel:DWORD
	v_mul_u32_u24_sdwa v35, v35, s12 dst_sel:DWORD dst_unused:UNUSED_PAD src0_sel:WORD_1 src1_sel:DWORD
	;; [unrolled: 2-line block ×4, first 2 shown]
	v_pk_fma_f16 v48, v32, v29, v48
	v_pk_fma_f16 v62, v32, v31, v66
	;; [unrolled: 1-line block ×13, first 2 shown]
	ds_read2_b64 v[26:29], v3 offset0:64 offset1:96
	v_pk_fma_f16 v35, v33, v59, v58
	v_pk_fma_f16 v8, v33, v61, v8
	;; [unrolled: 1-line block ×3, first 2 shown]
	s_waitcnt lgkmcnt(2)
	v_mul_u32_u24_sdwa v33, v49, s12 dst_sel:DWORD dst_unused:UNUSED_PAD src0_sel:WORD_0 src1_sel:DWORD
	v_mul_u32_u24_sdwa v37, v49, s12 dst_sel:DWORD dst_unused:UNUSED_PAD src0_sel:WORD_1 src1_sel:DWORD
	v_mul_u32_u24_sdwa v47, v50, s12 dst_sel:DWORD dst_unused:UNUSED_PAD src0_sel:WORD_0 src1_sel:DWORD
	v_mul_u32_u24_sdwa v49, v50, s12 dst_sel:DWORD dst_unused:UNUSED_PAD src0_sel:WORD_1 src1_sel:DWORD
	;; [unrolled: 2-line block ×4, first 2 shown]
	s_waitcnt lgkmcnt(0)
	v_pk_fma_f16 v48, v26, v33, v48
	v_pk_fma_f16 v59, v26, v37, v62
	;; [unrolled: 1-line block ×14, first 2 shown]
	v_mul_u32_u24_sdwa v35, v53, s12 dst_sel:DWORD dst_unused:UNUSED_PAD src0_sel:WORD_1 src1_sel:DWORD
	v_mul_u32_u24_sdwa v36, v54, s12 dst_sel:DWORD dst_unused:UNUSED_PAD src0_sel:WORD_0 src1_sel:DWORD
	v_mul_u32_u24_sdwa v37, v54, s12 dst_sel:DWORD dst_unused:UNUSED_PAD src0_sel:WORD_1 src1_sel:DWORD
	v_mul_u32_u24_sdwa v47, v55, s12 dst_sel:DWORD dst_unused:UNUSED_PAD src0_sel:WORD_0 src1_sel:DWORD
	v_pk_fma_f16 v8, v27, v58, v8
	v_pk_fma_f16 v2, v27, v52, v2
	v_mul_u32_u24_sdwa v27, v53, s12 dst_sel:DWORD dst_unused:UNUSED_PAD src0_sel:WORD_0 src1_sel:DWORD
	v_mul_u32_u24_sdwa v49, v55, s12 dst_sel:DWORD dst_unused:UNUSED_PAD src0_sel:WORD_1 src1_sel:DWORD
	v_mul_u32_u24_sdwa v50, v56, s12 dst_sel:DWORD dst_unused:UNUSED_PAD src0_sel:WORD_0 src1_sel:DWORD
	v_mul_u32_u24_sdwa v51, v56, s12 dst_sel:DWORD dst_unused:UNUSED_PAD src0_sel:WORD_1 src1_sel:DWORD
	v_pk_fma_f16 v52, v28, v35, v59
	v_pk_fma_f16 v55, v28, v47, v60
	;; [unrolled: 1-line block ×6, first 2 shown]
	ds_read_b128 v[30:33], v22 offset:16448
	v_pk_fma_f16 v48, v28, v27, v48
	v_pk_fma_f16 v53, v28, v36, v61
	;; [unrolled: 1-line block ×10, first 2 shown]
	ds_read2_b64 v[26:29], v3 offset0:128 offset1:160
	ds_read_b128 v[34:37], v22 offset:16464
	s_waitcnt lgkmcnt(2)
	v_mul_u32_u24_sdwa v50, v30, s12 dst_sel:DWORD dst_unused:UNUSED_PAD src0_sel:WORD_0 src1_sel:DWORD
	v_mul_u32_u24_sdwa v30, v30, s12 dst_sel:DWORD dst_unused:UNUSED_PAD src0_sel:WORD_1 src1_sel:DWORD
	v_mul_u32_u24_sdwa v51, v31, s12 dst_sel:DWORD dst_unused:UNUSED_PAD src0_sel:WORD_0 src1_sel:DWORD
	v_mul_u32_u24_sdwa v31, v31, s12 dst_sel:DWORD dst_unused:UNUSED_PAD src0_sel:WORD_1 src1_sel:DWORD
	;; [unrolled: 2-line block ×4, first 2 shown]
	s_waitcnt lgkmcnt(1)
	v_pk_fma_f16 v48, v26, v50, v48
	v_pk_fma_f16 v52, v26, v30, v52
	v_pk_fma_f16 v53, v26, v51, v53
	v_pk_fma_f16 v54, v26, v31, v54
	v_pk_fma_f16 v55, v26, v61, v55
	v_pk_fma_f16 v56, v26, v32, v56
	v_pk_fma_f16 v42, v26, v62, v42
	v_pk_fma_f16 v9, v26, v33, v9
	v_pk_fma_f16 v26, v27, v50, v57
	v_pk_fma_f16 v30, v27, v30, v58
	v_pk_fma_f16 v50, v27, v51, v59
	v_pk_fma_f16 v31, v27, v31, v60
	v_pk_fma_f16 v47, v27, v61, v47
	v_pk_fma_f16 v32, v27, v32, v49
	v_pk_fma_f16 v8, v27, v62, v8
	v_pk_fma_f16 v2, v27, v33, v2
	s_waitcnt lgkmcnt(0)
	v_mul_u32_u24_sdwa v27, v34, s12 dst_sel:DWORD dst_unused:UNUSED_PAD src0_sel:WORD_0 src1_sel:DWORD
	v_mul_u32_u24_sdwa v33, v34, s12 dst_sel:DWORD dst_unused:UNUSED_PAD src0_sel:WORD_1 src1_sel:DWORD
	v_mul_u32_u24_sdwa v34, v35, s12 dst_sel:DWORD dst_unused:UNUSED_PAD src0_sel:WORD_0 src1_sel:DWORD
	v_mul_u32_u24_sdwa v35, v35, s12 dst_sel:DWORD dst_unused:UNUSED_PAD src0_sel:WORD_1 src1_sel:DWORD
	;; [unrolled: 2-line block ×4, first 2 shown]
	v_pk_fma_f16 v52, v28, v33, v52
	v_pk_fma_f16 v55, v28, v49, v55
	;; [unrolled: 1-line block ×6, first 2 shown]
	ds_read_b128 v[30:33], v22 offset:16480
	v_pk_fma_f16 v48, v28, v27, v48
	v_pk_fma_f16 v53, v28, v34, v53
	;; [unrolled: 1-line block ×10, first 2 shown]
	ds_read2_b64 v[26:29], v3 offset0:192 offset1:224
	ds_read_b128 v[34:37], v22 offset:16496
	s_waitcnt lgkmcnt(2)
	v_mul_u32_u24_sdwa v51, v30, s12 dst_sel:DWORD dst_unused:UNUSED_PAD src0_sel:WORD_0 src1_sel:DWORD
	v_mul_u32_u24_sdwa v30, v30, s12 dst_sel:DWORD dst_unused:UNUSED_PAD src0_sel:WORD_1 src1_sel:DWORD
	v_mul_u32_u24_sdwa v60, v31, s12 dst_sel:DWORD dst_unused:UNUSED_PAD src0_sel:WORD_0 src1_sel:DWORD
	v_mul_u32_u24_sdwa v31, v31, s12 dst_sel:DWORD dst_unused:UNUSED_PAD src0_sel:WORD_1 src1_sel:DWORD
	;; [unrolled: 2-line block ×4, first 2 shown]
	s_waitcnt lgkmcnt(1)
	v_pk_fma_f16 v48, v26, v51, v48
	v_pk_fma_f16 v52, v26, v30, v52
	;; [unrolled: 1-line block ×16, first 2 shown]
	s_waitcnt lgkmcnt(0)
	v_mul_u32_u24_sdwa v27, v34, s12 dst_sel:DWORD dst_unused:UNUSED_PAD src0_sel:WORD_0 src1_sel:DWORD
	v_mul_u32_u24_sdwa v33, v34, s12 dst_sel:DWORD dst_unused:UNUSED_PAD src0_sel:WORD_1 src1_sel:DWORD
	v_mul_u32_u24_sdwa v34, v35, s12 dst_sel:DWORD dst_unused:UNUSED_PAD src0_sel:WORD_0 src1_sel:DWORD
	v_mul_u32_u24_sdwa v35, v35, s12 dst_sel:DWORD dst_unused:UNUSED_PAD src0_sel:WORD_1 src1_sel:DWORD
	;; [unrolled: 2-line block ×4, first 2 shown]
	v_pk_fma_f16 v52, v28, v33, v52
	v_pk_fma_f16 v55, v28, v49, v55
	;; [unrolled: 1-line block ×8, first 2 shown]
	ds_read_b128 v[30:33], v22 offset:16512
	v_pk_fma_f16 v51, v29, v37, v2
	v_add_u32_e32 v2, 0x6800, v18
	v_pk_fma_f16 v48, v28, v27, v48
	v_pk_fma_f16 v53, v28, v34, v53
	;; [unrolled: 1-line block ×7, first 2 shown]
	ds_read2_b64 v[26:29], v2 offset1:32
	ds_read_b128 v[34:37], v22 offset:16528
	s_waitcnt lgkmcnt(2)
	v_mul_u32_u24_sdwa v18, v30, s12 dst_sel:DWORD dst_unused:UNUSED_PAD src0_sel:WORD_0 src1_sel:DWORD
	v_mul_u32_u24_sdwa v30, v30, s12 dst_sel:DWORD dst_unused:UNUSED_PAD src0_sel:WORD_1 src1_sel:DWORD
	v_mul_u32_u24_sdwa v60, v31, s12 dst_sel:DWORD dst_unused:UNUSED_PAD src0_sel:WORD_0 src1_sel:DWORD
	v_mul_u32_u24_sdwa v31, v31, s12 dst_sel:DWORD dst_unused:UNUSED_PAD src0_sel:WORD_1 src1_sel:DWORD
	;; [unrolled: 2-line block ×4, first 2 shown]
	s_waitcnt lgkmcnt(1)
	v_pk_fma_f16 v48, v26, v18, v48
	v_pk_fma_f16 v52, v26, v30, v52
	;; [unrolled: 1-line block ×16, first 2 shown]
	s_waitcnt lgkmcnt(0)
	v_mul_u32_u24_sdwa v33, v34, s12 dst_sel:DWORD dst_unused:UNUSED_PAD src0_sel:WORD_0 src1_sel:DWORD
	v_mul_u32_u24_sdwa v49, v35, s12 dst_sel:DWORD dst_unused:UNUSED_PAD src0_sel:WORD_0 src1_sel:DWORD
	v_mul_u32_u24_sdwa v35, v35, s12 dst_sel:DWORD dst_unused:UNUSED_PAD src0_sel:WORD_1 src1_sel:DWORD
	v_mul_u32_u24_sdwa v50, v36, s12 dst_sel:DWORD dst_unused:UNUSED_PAD src0_sel:WORD_0 src1_sel:DWORD
	v_mul_u32_u24_sdwa v36, v36, s12 dst_sel:DWORD dst_unused:UNUSED_PAD src0_sel:WORD_1 src1_sel:DWORD
	v_mul_u32_u24_sdwa v34, v34, s12 dst_sel:DWORD dst_unused:UNUSED_PAD src0_sel:WORD_1 src1_sel:DWORD
	v_mul_u32_u24_sdwa v51, v37, s12 dst_sel:DWORD dst_unused:UNUSED_PAD src0_sel:WORD_0 src1_sel:DWORD
	v_mul_u32_u24_sdwa v37, v37, s12 dst_sel:DWORD dst_unused:UNUSED_PAD src0_sel:WORD_1 src1_sel:DWORD
	v_pk_fma_f16 v48, v28, v33, v48
	v_pk_fma_f16 v53, v28, v49, v53
	;; [unrolled: 1-line block ×8, first 2 shown]
	ds_read_b128 v[30:33], v22 offset:16544
	v_pk_fma_f16 v52, v28, v34, v52
	v_pk_fma_f16 v54, v28, v35, v54
	v_pk_fma_f16 v56, v28, v36, v56
	v_pk_fma_f16 v42, v28, v51, v42
	v_pk_fma_f16 v9, v28, v37, v9
	v_pk_fma_f16 v57, v29, v34, v26
	v_pk_fma_f16 v8, v29, v51, v8
	v_pk_fma_f16 v51, v29, v37, v27
	ds_read2_b64 v[26:29], v2 offset0:64 offset1:96
	ds_read_b128 v[34:37], v22 offset:16560
	s_waitcnt lgkmcnt(2)
	v_mul_u32_u24_sdwa v59, v30, s12 dst_sel:DWORD dst_unused:UNUSED_PAD src0_sel:WORD_0 src1_sel:DWORD
	v_mul_u32_u24_sdwa v30, v30, s12 dst_sel:DWORD dst_unused:UNUSED_PAD src0_sel:WORD_1 src1_sel:DWORD
	v_mul_u32_u24_sdwa v60, v31, s12 dst_sel:DWORD dst_unused:UNUSED_PAD src0_sel:WORD_0 src1_sel:DWORD
	v_mul_u32_u24_sdwa v31, v31, s12 dst_sel:DWORD dst_unused:UNUSED_PAD src0_sel:WORD_1 src1_sel:DWORD
	;; [unrolled: 2-line block ×4, first 2 shown]
	s_waitcnt lgkmcnt(1)
	v_pk_fma_f16 v48, v26, v59, v48
	v_pk_fma_f16 v52, v26, v30, v52
	;; [unrolled: 1-line block ×16, first 2 shown]
	s_waitcnt lgkmcnt(0)
	v_mul_u32_u24_sdwa v33, v34, s12 dst_sel:DWORD dst_unused:UNUSED_PAD src0_sel:WORD_0 src1_sel:DWORD
	v_mul_u32_u24_sdwa v49, v35, s12 dst_sel:DWORD dst_unused:UNUSED_PAD src0_sel:WORD_0 src1_sel:DWORD
	v_mul_u32_u24_sdwa v35, v35, s12 dst_sel:DWORD dst_unused:UNUSED_PAD src0_sel:WORD_1 src1_sel:DWORD
	v_mul_u32_u24_sdwa v50, v36, s12 dst_sel:DWORD dst_unused:UNUSED_PAD src0_sel:WORD_0 src1_sel:DWORD
	v_mul_u32_u24_sdwa v36, v36, s12 dst_sel:DWORD dst_unused:UNUSED_PAD src0_sel:WORD_1 src1_sel:DWORD
	v_pk_fma_f16 v48, v28, v33, v48
	v_pk_fma_f16 v18, v29, v33, v18
	;; [unrolled: 1-line block ×5, first 2 shown]
	ds_read_b128 v[30:33], v22 offset:16576
	v_mul_u32_u24_sdwa v34, v34, s12 dst_sel:DWORD dst_unused:UNUSED_PAD src0_sel:WORD_1 src1_sel:DWORD
	v_mul_u32_u24_sdwa v51, v37, s12 dst_sel:DWORD dst_unused:UNUSED_PAD src0_sel:WORD_0 src1_sel:DWORD
	v_mul_u32_u24_sdwa v37, v37, s12 dst_sel:DWORD dst_unused:UNUSED_PAD src0_sel:WORD_1 src1_sel:DWORD
	v_pk_fma_f16 v52, v28, v34, v52
	v_pk_fma_f16 v53, v28, v49, v53
	;; [unrolled: 1-line block ×11, first 2 shown]
	ds_read2_b64 v[26:29], v2 offset0:128 offset1:160
	ds_read_b128 v[34:37], v22 offset:16592
	s_or_b32 s6, s16, 16
	s_mul_hi_i32 s7, s6, s8
	s_mul_i32 s6, s6, s8
	s_waitcnt lgkmcnt(2)
	v_mul_u32_u24_sdwa v8, v30, s12 dst_sel:DWORD dst_unused:UNUSED_PAD src0_sel:WORD_0 src1_sel:DWORD
	v_mul_u32_u24_sdwa v69, v32, s12 dst_sel:DWORD dst_unused:UNUSED_PAD src0_sel:WORD_0 src1_sel:DWORD
	s_lshl_b64 s[6:7], s[6:7], 2
	s_waitcnt lgkmcnt(1)
	v_pk_fma_f16 v73, v26, v8, v48
	v_pk_fma_f16 v84, v26, v69, v55
	;; [unrolled: 1-line block ×3, first 2 shown]
	v_mov_b32_e32 v8, s7
	v_add_co_u32_e32 v55, vcc, s6, v5
	s_add_i32 s10, s39, -16
	v_addc_co_u32_e32 v8, vcc, v6, v8, vcc
	v_mul_u32_u24_sdwa v66, v30, s12 dst_sel:DWORD dst_unused:UNUSED_PAD src0_sel:WORD_1 src1_sel:DWORD
	v_mul_u32_u24_sdwa v67, v31, s12 dst_sel:DWORD dst_unused:UNUSED_PAD src0_sel:WORD_0 src1_sel:DWORD
	v_mul_u32_u24_sdwa v68, v31, s12 dst_sel:DWORD dst_unused:UNUSED_PAD src0_sel:WORD_1 src1_sel:DWORD
	v_mul_u32_u24_sdwa v70, v32, s12 dst_sel:DWORD dst_unused:UNUSED_PAD src0_sel:WORD_1 src1_sel:DWORD
	v_mul_u32_u24_sdwa v71, v33, s12 dst_sel:DWORD dst_unused:UNUSED_PAD src0_sel:WORD_0 src1_sel:DWORD
	v_mul_u32_u24_sdwa v72, v33, s12 dst_sel:DWORD dst_unused:UNUSED_PAD src0_sel:WORD_1 src1_sel:DWORD
	v_cmp_gt_i32_e32 vcc, s10, v4
	v_pk_fma_f16 v74, v26, v66, v52
	v_pk_fma_f16 v75, v26, v67, v53
	;; [unrolled: 1-line block ×6, first 2 shown]
	ds_read2_b64 v[30:33], v2 offset0:192 offset1:224
	ds_read_b128 v[47:50], v22 offset:16608
	ds_read_b128 v[51:54], v22 offset:16624
	s_waitcnt lgkmcnt(0)
	s_barrier
	buffer_store_dword v44, off, s[0:3], 0
	buffer_store_dword v44, off, s[0:3], 0 offset:4
	buffer_store_dword v44, off, s[0:3], 0 offset:8
	buffer_store_dword v44, off, s[0:3], 0 offset:12
	v_cndmask_b32_e32 v9, v45, v8, vcc
	v_cndmask_b32_e32 v8, v46, v55, vcc
	flat_load_dwordx4 v[55:58], v[8:9]
	v_pk_fma_f16 v8, v27, v66, v59
	v_pk_fma_f16 v9, v27, v67, v60
	v_pk_fma_f16 v59, v27, v68, v61
	v_pk_fma_f16 v60, v27, v69, v62
	v_pk_fma_f16 v61, v27, v70, v63
	v_pk_fma_f16 v62, v27, v71, v64
	v_pk_fma_f16 v27, v27, v72, v65
	v_mul_u32_u24_sdwa v63, v34, s12 dst_sel:DWORD dst_unused:UNUSED_PAD src0_sel:WORD_0 src1_sel:DWORD
	v_mul_u32_u24_sdwa v34, v34, s12 dst_sel:DWORD dst_unused:UNUSED_PAD src0_sel:WORD_1 src1_sel:DWORD
	v_mul_u32_u24_sdwa v64, v35, s12 dst_sel:DWORD dst_unused:UNUSED_PAD src0_sel:WORD_0 src1_sel:DWORD
	v_mul_u32_u24_sdwa v35, v35, s12 dst_sel:DWORD dst_unused:UNUSED_PAD src0_sel:WORD_1 src1_sel:DWORD
	v_mul_u32_u24_sdwa v65, v36, s12 dst_sel:DWORD dst_unused:UNUSED_PAD src0_sel:WORD_0 src1_sel:DWORD
	v_mul_u32_u24_sdwa v36, v36, s12 dst_sel:DWORD dst_unused:UNUSED_PAD src0_sel:WORD_1 src1_sel:DWORD
	v_mul_u32_u24_sdwa v66, v37, s12 dst_sel:DWORD dst_unused:UNUSED_PAD src0_sel:WORD_0 src1_sel:DWORD
	v_mul_u32_u24_sdwa v37, v37, s12 dst_sel:DWORD dst_unused:UNUSED_PAD src0_sel:WORD_1 src1_sel:DWORD
	v_pk_fma_f16 v67, v28, v63, v73
	v_pk_fma_f16 v68, v28, v34, v74
	v_pk_fma_f16 v69, v28, v64, v75
	v_pk_fma_f16 v70, v28, v35, v76
	v_pk_fma_f16 v71, v28, v65, v84
	v_pk_fma_f16 v72, v28, v36, v85
	v_pk_fma_f16 v42, v28, v66, v42
	v_pk_fma_f16 v26, v28, v37, v26
	v_pk_fma_f16 v18, v29, v63, v18
	v_pk_fma_f16 v8, v29, v34, v8
	v_pk_fma_f16 v9, v29, v64, v9
	v_pk_fma_f16 v28, v29, v35, v59
	v_pk_fma_f16 v34, v29, v65, v60
	v_pk_fma_f16 v35, v29, v36, v61
	v_pk_fma_f16 v36, v29, v66, v62
	v_pk_fma_f16 v27, v29, v37, v27
	v_mul_u32_u24_sdwa v29, v47, s12 dst_sel:DWORD dst_unused:UNUSED_PAD src0_sel:WORD_0 src1_sel:DWORD
	v_mul_u32_u24_sdwa v37, v47, s12 dst_sel:DWORD dst_unused:UNUSED_PAD src0_sel:WORD_1 src1_sel:DWORD
	v_mul_u32_u24_sdwa v47, v48, s12 dst_sel:DWORD dst_unused:UNUSED_PAD src0_sel:WORD_0 src1_sel:DWORD
	v_mul_u32_u24_sdwa v48, v48, s12 dst_sel:DWORD dst_unused:UNUSED_PAD src0_sel:WORD_1 src1_sel:DWORD
	v_mul_u32_u24_sdwa v59, v49, s12 dst_sel:DWORD dst_unused:UNUSED_PAD src0_sel:WORD_0 src1_sel:DWORD
	v_mul_u32_u24_sdwa v49, v49, s12 dst_sel:DWORD dst_unused:UNUSED_PAD src0_sel:WORD_1 src1_sel:DWORD
	v_mul_u32_u24_sdwa v60, v50, s12 dst_sel:DWORD dst_unused:UNUSED_PAD src0_sel:WORD_0 src1_sel:DWORD
	v_mul_u32_u24_sdwa v50, v50, s12 dst_sel:DWORD dst_unused:UNUSED_PAD src0_sel:WORD_1 src1_sel:DWORD
	v_pk_fma_f16 v61, v30, v29, v67
	v_pk_fma_f16 v62, v30, v37, v68
	v_pk_fma_f16 v63, v30, v47, v69
	v_pk_fma_f16 v64, v30, v48, v70
	v_pk_fma_f16 v65, v30, v59, v71
	v_pk_fma_f16 v66, v30, v49, v72
	v_pk_fma_f16 v42, v30, v60, v42
	v_pk_fma_f16 v26, v30, v50, v26
	v_pk_fma_f16 v18, v31, v29, v18
	;; [unrolled: 24-line block ×3, first 2 shown]
	v_pk_fma_f16 v8, v33, v35, v8
	v_pk_fma_f16 v9, v33, v36, v9
	;; [unrolled: 1-line block ×7, first 2 shown]
	s_waitcnt vmcnt(0) lgkmcnt(0)
	ds_write_b128 v7, v[55:58] offset:24576
	s_waitcnt lgkmcnt(0)
	s_barrier
	ds_read_b128 v[26:29], v22 offset:16640
	ds_read2_b64 v[30:33], v3 offset1:32
	ds_read_b128 v[34:37], v22 offset:16656
	ds_read_b128 v[47:50], v22 offset:16672
	ds_read_b128 v[51:54], v22 offset:16688
	s_waitcnt lgkmcnt(4)
	v_mul_u32_u24_sdwa v55, v26, s12 dst_sel:DWORD dst_unused:UNUSED_PAD src0_sel:WORD_0 src1_sel:DWORD
	v_mul_u32_u24_sdwa v26, v26, s12 dst_sel:DWORD dst_unused:UNUSED_PAD src0_sel:WORD_1 src1_sel:DWORD
	v_mul_u32_u24_sdwa v56, v27, s12 dst_sel:DWORD dst_unused:UNUSED_PAD src0_sel:WORD_0 src1_sel:DWORD
	v_mul_u32_u24_sdwa v27, v27, s12 dst_sel:DWORD dst_unused:UNUSED_PAD src0_sel:WORD_1 src1_sel:DWORD
	;; [unrolled: 2-line block ×4, first 2 shown]
	s_waitcnt lgkmcnt(3)
	v_pk_fma_f16 v59, v30, v55, v59
	v_pk_fma_f16 v60, v30, v26, v60
	;; [unrolled: 1-line block ×16, first 2 shown]
	s_waitcnt lgkmcnt(2)
	v_mul_u32_u24_sdwa v31, v34, s12 dst_sel:DWORD dst_unused:UNUSED_PAD src0_sel:WORD_0 src1_sel:DWORD
	v_mul_u32_u24_sdwa v34, v34, s12 dst_sel:DWORD dst_unused:UNUSED_PAD src0_sel:WORD_1 src1_sel:DWORD
	v_mul_u32_u24_sdwa v56, v35, s12 dst_sel:DWORD dst_unused:UNUSED_PAD src0_sel:WORD_0 src1_sel:DWORD
	v_mul_u32_u24_sdwa v35, v35, s12 dst_sel:DWORD dst_unused:UNUSED_PAD src0_sel:WORD_1 src1_sel:DWORD
	;; [unrolled: 2-line block ×4, first 2 shown]
	v_pk_fma_f16 v59, v32, v31, v59
	v_pk_fma_f16 v60, v32, v34, v60
	;; [unrolled: 1-line block ×16, first 2 shown]
	ds_read2_b64 v[26:29], v3 offset0:64 offset1:96
	s_waitcnt lgkmcnt(2)
	v_mul_u32_u24_sdwa v36, v47, s12 dst_sel:DWORD dst_unused:UNUSED_PAD src0_sel:WORD_0 src1_sel:DWORD
	v_mul_u32_u24_sdwa v37, v47, s12 dst_sel:DWORD dst_unused:UNUSED_PAD src0_sel:WORD_1 src1_sel:DWORD
	v_mul_u32_u24_sdwa v47, v48, s12 dst_sel:DWORD dst_unused:UNUSED_PAD src0_sel:WORD_0 src1_sel:DWORD
	v_mul_u32_u24_sdwa v48, v48, s12 dst_sel:DWORD dst_unused:UNUSED_PAD src0_sel:WORD_1 src1_sel:DWORD
	;; [unrolled: 2-line block ×4, first 2 shown]
	s_waitcnt lgkmcnt(0)
	v_pk_fma_f16 v57, v26, v36, v59
	v_pk_fma_f16 v58, v26, v37, v60
	;; [unrolled: 1-line block ×16, first 2 shown]
	v_mul_u32_u24_sdwa v33, v51, s12 dst_sel:DWORD dst_unused:UNUSED_PAD src0_sel:WORD_0 src1_sel:DWORD
	v_mul_u32_u24_sdwa v35, v51, s12 dst_sel:DWORD dst_unused:UNUSED_PAD src0_sel:WORD_1 src1_sel:DWORD
	v_mul_u32_u24_sdwa v37, v52, s12 dst_sel:DWORD dst_unused:UNUSED_PAD src0_sel:WORD_1 src1_sel:DWORD
	v_mul_u32_u24_sdwa v47, v53, s12 dst_sel:DWORD dst_unused:UNUSED_PAD src0_sel:WORD_0 src1_sel:DWORD
	v_mul_u32_u24_sdwa v48, v53, s12 dst_sel:DWORD dst_unused:UNUSED_PAD src0_sel:WORD_1 src1_sel:DWORD
	v_mul_u32_u24_sdwa v36, v52, s12 dst_sel:DWORD dst_unused:UNUSED_PAD src0_sel:WORD_0 src1_sel:DWORD
	v_mul_u32_u24_sdwa v49, v54, s12 dst_sel:DWORD dst_unused:UNUSED_PAD src0_sel:WORD_0 src1_sel:DWORD
	v_mul_u32_u24_sdwa v50, v54, s12 dst_sel:DWORD dst_unused:UNUSED_PAD src0_sel:WORD_1 src1_sel:DWORD
	v_pk_fma_f16 v51, v28, v33, v57
	v_pk_fma_f16 v52, v28, v35, v58
	;; [unrolled: 1-line block ×8, first 2 shown]
	ds_read_b128 v[30:33], v22 offset:16704
	v_pk_fma_f16 v53, v28, v36, v59
	v_pk_fma_f16 v54, v28, v37, v60
	;; [unrolled: 1-line block ×8, first 2 shown]
	ds_read2_b64 v[26:29], v3 offset0:128 offset1:160
	ds_read_b128 v[34:37], v22 offset:16720
	s_waitcnt lgkmcnt(2)
	v_mul_u32_u24_sdwa v59, v30, s12 dst_sel:DWORD dst_unused:UNUSED_PAD src0_sel:WORD_0 src1_sel:DWORD
	v_mul_u32_u24_sdwa v30, v30, s12 dst_sel:DWORD dst_unused:UNUSED_PAD src0_sel:WORD_1 src1_sel:DWORD
	v_mul_u32_u24_sdwa v60, v31, s12 dst_sel:DWORD dst_unused:UNUSED_PAD src0_sel:WORD_0 src1_sel:DWORD
	v_mul_u32_u24_sdwa v31, v31, s12 dst_sel:DWORD dst_unused:UNUSED_PAD src0_sel:WORD_1 src1_sel:DWORD
	;; [unrolled: 2-line block ×4, first 2 shown]
	s_waitcnt lgkmcnt(1)
	v_pk_fma_f16 v51, v26, v59, v51
	v_pk_fma_f16 v52, v26, v30, v52
	;; [unrolled: 1-line block ×16, first 2 shown]
	s_waitcnt lgkmcnt(0)
	v_mul_u32_u24_sdwa v33, v34, s12 dst_sel:DWORD dst_unused:UNUSED_PAD src0_sel:WORD_0 src1_sel:DWORD
	v_mul_u32_u24_sdwa v48, v35, s12 dst_sel:DWORD dst_unused:UNUSED_PAD src0_sel:WORD_0 src1_sel:DWORD
	v_mul_u32_u24_sdwa v35, v35, s12 dst_sel:DWORD dst_unused:UNUSED_PAD src0_sel:WORD_1 src1_sel:DWORD
	v_mul_u32_u24_sdwa v49, v36, s12 dst_sel:DWORD dst_unused:UNUSED_PAD src0_sel:WORD_0 src1_sel:DWORD
	v_mul_u32_u24_sdwa v36, v36, s12 dst_sel:DWORD dst_unused:UNUSED_PAD src0_sel:WORD_1 src1_sel:DWORD
	v_mul_u32_u24_sdwa v34, v34, s12 dst_sel:DWORD dst_unused:UNUSED_PAD src0_sel:WORD_1 src1_sel:DWORD
	v_mul_u32_u24_sdwa v50, v37, s12 dst_sel:DWORD dst_unused:UNUSED_PAD src0_sel:WORD_0 src1_sel:DWORD
	v_mul_u32_u24_sdwa v37, v37, s12 dst_sel:DWORD dst_unused:UNUSED_PAD src0_sel:WORD_1 src1_sel:DWORD
	v_pk_fma_f16 v51, v28, v33, v51
	v_pk_fma_f16 v53, v28, v48, v53
	;; [unrolled: 1-line block ×8, first 2 shown]
	ds_read_b128 v[30:33], v22 offset:16736
	v_pk_fma_f16 v52, v28, v34, v52
	v_pk_fma_f16 v54, v28, v35, v54
	;; [unrolled: 1-line block ×8, first 2 shown]
	ds_read2_b64 v[26:29], v3 offset0:192 offset1:224
	ds_read_b128 v[34:37], v22 offset:16752
	s_waitcnt lgkmcnt(2)
	v_mul_u32_u24_sdwa v59, v30, s12 dst_sel:DWORD dst_unused:UNUSED_PAD src0_sel:WORD_0 src1_sel:DWORD
	v_mul_u32_u24_sdwa v30, v30, s12 dst_sel:DWORD dst_unused:UNUSED_PAD src0_sel:WORD_1 src1_sel:DWORD
	v_mul_u32_u24_sdwa v60, v31, s12 dst_sel:DWORD dst_unused:UNUSED_PAD src0_sel:WORD_0 src1_sel:DWORD
	v_mul_u32_u24_sdwa v31, v31, s12 dst_sel:DWORD dst_unused:UNUSED_PAD src0_sel:WORD_1 src1_sel:DWORD
	;; [unrolled: 2-line block ×4, first 2 shown]
	s_waitcnt lgkmcnt(1)
	v_pk_fma_f16 v51, v26, v59, v51
	v_pk_fma_f16 v52, v26, v30, v52
	;; [unrolled: 1-line block ×16, first 2 shown]
	s_waitcnt lgkmcnt(0)
	v_mul_u32_u24_sdwa v33, v34, s12 dst_sel:DWORD dst_unused:UNUSED_PAD src0_sel:WORD_0 src1_sel:DWORD
	v_mul_u32_u24_sdwa v48, v35, s12 dst_sel:DWORD dst_unused:UNUSED_PAD src0_sel:WORD_0 src1_sel:DWORD
	v_mul_u32_u24_sdwa v35, v35, s12 dst_sel:DWORD dst_unused:UNUSED_PAD src0_sel:WORD_1 src1_sel:DWORD
	v_mul_u32_u24_sdwa v49, v36, s12 dst_sel:DWORD dst_unused:UNUSED_PAD src0_sel:WORD_0 src1_sel:DWORD
	v_mul_u32_u24_sdwa v36, v36, s12 dst_sel:DWORD dst_unused:UNUSED_PAD src0_sel:WORD_1 src1_sel:DWORD
	v_mul_u32_u24_sdwa v34, v34, s12 dst_sel:DWORD dst_unused:UNUSED_PAD src0_sel:WORD_1 src1_sel:DWORD
	v_mul_u32_u24_sdwa v50, v37, s12 dst_sel:DWORD dst_unused:UNUSED_PAD src0_sel:WORD_0 src1_sel:DWORD
	v_mul_u32_u24_sdwa v37, v37, s12 dst_sel:DWORD dst_unused:UNUSED_PAD src0_sel:WORD_1 src1_sel:DWORD
	v_pk_fma_f16 v51, v28, v33, v51
	v_pk_fma_f16 v53, v28, v48, v53
	v_pk_fma_f16 v55, v28, v49, v55
	v_pk_fma_f16 v18, v29, v33, v18
	v_pk_fma_f16 v9, v29, v48, v9
	v_pk_fma_f16 v48, v29, v35, v30
	v_pk_fma_f16 v49, v29, v49, v31
	v_pk_fma_f16 v58, v29, v36, v32
	ds_read_b128 v[30:33], v22 offset:16768
	v_pk_fma_f16 v52, v28, v34, v52
	v_pk_fma_f16 v54, v28, v35, v54
	;; [unrolled: 1-line block ×8, first 2 shown]
	ds_read2_b64 v[26:29], v2 offset1:32
	ds_read_b128 v[34:37], v22 offset:16784
	s_waitcnt lgkmcnt(2)
	v_mul_u32_u24_sdwa v59, v30, s12 dst_sel:DWORD dst_unused:UNUSED_PAD src0_sel:WORD_0 src1_sel:DWORD
	v_mul_u32_u24_sdwa v30, v30, s12 dst_sel:DWORD dst_unused:UNUSED_PAD src0_sel:WORD_1 src1_sel:DWORD
	v_mul_u32_u24_sdwa v60, v31, s12 dst_sel:DWORD dst_unused:UNUSED_PAD src0_sel:WORD_0 src1_sel:DWORD
	v_mul_u32_u24_sdwa v31, v31, s12 dst_sel:DWORD dst_unused:UNUSED_PAD src0_sel:WORD_1 src1_sel:DWORD
	;; [unrolled: 2-line block ×4, first 2 shown]
	s_waitcnt lgkmcnt(1)
	v_pk_fma_f16 v51, v26, v59, v51
	v_pk_fma_f16 v52, v26, v30, v52
	;; [unrolled: 1-line block ×16, first 2 shown]
	s_waitcnt lgkmcnt(0)
	v_mul_u32_u24_sdwa v33, v34, s12 dst_sel:DWORD dst_unused:UNUSED_PAD src0_sel:WORD_0 src1_sel:DWORD
	v_mul_u32_u24_sdwa v48, v35, s12 dst_sel:DWORD dst_unused:UNUSED_PAD src0_sel:WORD_0 src1_sel:DWORD
	v_mul_u32_u24_sdwa v35, v35, s12 dst_sel:DWORD dst_unused:UNUSED_PAD src0_sel:WORD_1 src1_sel:DWORD
	v_mul_u32_u24_sdwa v49, v36, s12 dst_sel:DWORD dst_unused:UNUSED_PAD src0_sel:WORD_0 src1_sel:DWORD
	v_mul_u32_u24_sdwa v36, v36, s12 dst_sel:DWORD dst_unused:UNUSED_PAD src0_sel:WORD_1 src1_sel:DWORD
	v_mul_u32_u24_sdwa v34, v34, s12 dst_sel:DWORD dst_unused:UNUSED_PAD src0_sel:WORD_1 src1_sel:DWORD
	v_mul_u32_u24_sdwa v50, v37, s12 dst_sel:DWORD dst_unused:UNUSED_PAD src0_sel:WORD_0 src1_sel:DWORD
	v_mul_u32_u24_sdwa v37, v37, s12 dst_sel:DWORD dst_unused:UNUSED_PAD src0_sel:WORD_1 src1_sel:DWORD
	v_pk_fma_f16 v51, v28, v33, v51
	v_pk_fma_f16 v53, v28, v48, v53
	;; [unrolled: 1-line block ×8, first 2 shown]
	ds_read_b128 v[30:33], v22 offset:16800
	v_pk_fma_f16 v52, v28, v34, v52
	v_pk_fma_f16 v54, v28, v35, v54
	;; [unrolled: 1-line block ×8, first 2 shown]
	ds_read2_b64 v[26:29], v2 offset0:64 offset1:96
	ds_read_b128 v[34:37], v22 offset:16816
	s_waitcnt lgkmcnt(2)
	v_mul_u32_u24_sdwa v59, v30, s12 dst_sel:DWORD dst_unused:UNUSED_PAD src0_sel:WORD_0 src1_sel:DWORD
	v_mul_u32_u24_sdwa v30, v30, s12 dst_sel:DWORD dst_unused:UNUSED_PAD src0_sel:WORD_1 src1_sel:DWORD
	v_mul_u32_u24_sdwa v60, v31, s12 dst_sel:DWORD dst_unused:UNUSED_PAD src0_sel:WORD_0 src1_sel:DWORD
	v_mul_u32_u24_sdwa v31, v31, s12 dst_sel:DWORD dst_unused:UNUSED_PAD src0_sel:WORD_1 src1_sel:DWORD
	;; [unrolled: 2-line block ×4, first 2 shown]
	s_waitcnt lgkmcnt(1)
	v_pk_fma_f16 v51, v26, v59, v51
	v_pk_fma_f16 v52, v26, v30, v52
	;; [unrolled: 1-line block ×16, first 2 shown]
	s_waitcnt lgkmcnt(0)
	v_mul_u32_u24_sdwa v33, v34, s12 dst_sel:DWORD dst_unused:UNUSED_PAD src0_sel:WORD_0 src1_sel:DWORD
	v_mul_u32_u24_sdwa v48, v35, s12 dst_sel:DWORD dst_unused:UNUSED_PAD src0_sel:WORD_0 src1_sel:DWORD
	v_mul_u32_u24_sdwa v35, v35, s12 dst_sel:DWORD dst_unused:UNUSED_PAD src0_sel:WORD_1 src1_sel:DWORD
	v_mul_u32_u24_sdwa v49, v36, s12 dst_sel:DWORD dst_unused:UNUSED_PAD src0_sel:WORD_0 src1_sel:DWORD
	v_mul_u32_u24_sdwa v36, v36, s12 dst_sel:DWORD dst_unused:UNUSED_PAD src0_sel:WORD_1 src1_sel:DWORD
	v_pk_fma_f16 v51, v28, v33, v51
	v_pk_fma_f16 v18, v29, v33, v18
	;; [unrolled: 1-line block ×5, first 2 shown]
	ds_read_b128 v[30:33], v22 offset:16832
	v_mul_u32_u24_sdwa v34, v34, s12 dst_sel:DWORD dst_unused:UNUSED_PAD src0_sel:WORD_1 src1_sel:DWORD
	v_mul_u32_u24_sdwa v50, v37, s12 dst_sel:DWORD dst_unused:UNUSED_PAD src0_sel:WORD_0 src1_sel:DWORD
	v_mul_u32_u24_sdwa v37, v37, s12 dst_sel:DWORD dst_unused:UNUSED_PAD src0_sel:WORD_1 src1_sel:DWORD
	v_pk_fma_f16 v52, v28, v34, v52
	v_pk_fma_f16 v53, v28, v48, v53
	;; [unrolled: 1-line block ×11, first 2 shown]
	ds_read2_b64 v[26:29], v2 offset0:128 offset1:160
	ds_read_b128 v[34:37], v22 offset:16848
	s_or_b32 s6, s16, 32
	s_mul_hi_i32 s7, s6, s8
	s_mul_i32 s6, s6, s8
	s_waitcnt lgkmcnt(2)
	v_mul_u32_u24_sdwa v8, v30, s12 dst_sel:DWORD dst_unused:UNUSED_PAD src0_sel:WORD_0 src1_sel:DWORD
	v_mul_u32_u24_sdwa v69, v32, s12 dst_sel:DWORD dst_unused:UNUSED_PAD src0_sel:WORD_0 src1_sel:DWORD
	s_lshl_b64 s[6:7], s[6:7], 2
	s_waitcnt lgkmcnt(1)
	v_pk_fma_f16 v73, v26, v8, v51
	v_pk_fma_f16 v84, v26, v69, v55
	;; [unrolled: 1-line block ×3, first 2 shown]
	v_mov_b32_e32 v8, s7
	v_add_co_u32_e32 v55, vcc, s6, v5
	s_sub_i32 s10, s39, 32
	v_addc_co_u32_e32 v8, vcc, v6, v8, vcc
	v_mul_u32_u24_sdwa v66, v30, s12 dst_sel:DWORD dst_unused:UNUSED_PAD src0_sel:WORD_1 src1_sel:DWORD
	v_mul_u32_u24_sdwa v67, v31, s12 dst_sel:DWORD dst_unused:UNUSED_PAD src0_sel:WORD_0 src1_sel:DWORD
	v_mul_u32_u24_sdwa v68, v31, s12 dst_sel:DWORD dst_unused:UNUSED_PAD src0_sel:WORD_1 src1_sel:DWORD
	v_cmp_gt_i32_e32 vcc, s10, v4
	v_mul_u32_u24_sdwa v70, v32, s12 dst_sel:DWORD dst_unused:UNUSED_PAD src0_sel:WORD_1 src1_sel:DWORD
	v_mul_u32_u24_sdwa v71, v33, s12 dst_sel:DWORD dst_unused:UNUSED_PAD src0_sel:WORD_0 src1_sel:DWORD
	v_mul_u32_u24_sdwa v72, v33, s12 dst_sel:DWORD dst_unused:UNUSED_PAD src0_sel:WORD_1 src1_sel:DWORD
	v_pk_fma_f16 v74, v26, v66, v52
	v_pk_fma_f16 v75, v26, v67, v53
	;; [unrolled: 1-line block ×3, first 2 shown]
	ds_read2_b64 v[30:33], v2 offset0:192 offset1:224
	ds_read_b128 v[47:50], v22 offset:16864
	ds_read_b128 v[51:54], v22 offset:16880
	s_waitcnt lgkmcnt(0)
	s_barrier
	buffer_store_dword v44, off, s[0:3], 0
	buffer_store_dword v44, off, s[0:3], 0 offset:4
	buffer_store_dword v44, off, s[0:3], 0 offset:8
	;; [unrolled: 1-line block ×3, first 2 shown]
	v_cndmask_b32_e32 v9, v45, v8, vcc
	v_cndmask_b32_e32 v8, v46, v55, vcc
	v_pk_fma_f16 v85, v26, v70, v56
	v_pk_fma_f16 v42, v26, v71, v42
	;; [unrolled: 1-line block ×3, first 2 shown]
	flat_load_dwordx4 v[55:58], v[8:9]
	v_pk_fma_f16 v8, v27, v66, v59
	v_pk_fma_f16 v9, v27, v67, v60
	v_pk_fma_f16 v59, v27, v68, v61
	v_pk_fma_f16 v60, v27, v69, v62
	v_pk_fma_f16 v61, v27, v70, v63
	v_pk_fma_f16 v62, v27, v71, v64
	v_pk_fma_f16 v27, v27, v72, v65
	v_mul_u32_u24_sdwa v63, v34, s12 dst_sel:DWORD dst_unused:UNUSED_PAD src0_sel:WORD_0 src1_sel:DWORD
	v_mul_u32_u24_sdwa v34, v34, s12 dst_sel:DWORD dst_unused:UNUSED_PAD src0_sel:WORD_1 src1_sel:DWORD
	v_mul_u32_u24_sdwa v64, v35, s12 dst_sel:DWORD dst_unused:UNUSED_PAD src0_sel:WORD_0 src1_sel:DWORD
	v_mul_u32_u24_sdwa v35, v35, s12 dst_sel:DWORD dst_unused:UNUSED_PAD src0_sel:WORD_1 src1_sel:DWORD
	v_mul_u32_u24_sdwa v65, v36, s12 dst_sel:DWORD dst_unused:UNUSED_PAD src0_sel:WORD_0 src1_sel:DWORD
	v_mul_u32_u24_sdwa v36, v36, s12 dst_sel:DWORD dst_unused:UNUSED_PAD src0_sel:WORD_1 src1_sel:DWORD
	v_mul_u32_u24_sdwa v66, v37, s12 dst_sel:DWORD dst_unused:UNUSED_PAD src0_sel:WORD_0 src1_sel:DWORD
	v_mul_u32_u24_sdwa v37, v37, s12 dst_sel:DWORD dst_unused:UNUSED_PAD src0_sel:WORD_1 src1_sel:DWORD
	v_pk_fma_f16 v67, v28, v63, v73
	v_pk_fma_f16 v68, v28, v34, v74
	v_pk_fma_f16 v69, v28, v64, v75
	v_pk_fma_f16 v70, v28, v35, v76
	v_pk_fma_f16 v71, v28, v65, v84
	v_pk_fma_f16 v72, v28, v36, v85
	v_pk_fma_f16 v42, v28, v66, v42
	v_pk_fma_f16 v26, v28, v37, v26
	v_pk_fma_f16 v18, v29, v63, v18
	v_pk_fma_f16 v8, v29, v34, v8
	v_pk_fma_f16 v9, v29, v64, v9
	v_pk_fma_f16 v28, v29, v35, v59
	v_pk_fma_f16 v34, v29, v65, v60
	v_pk_fma_f16 v35, v29, v36, v61
	v_pk_fma_f16 v36, v29, v66, v62
	v_pk_fma_f16 v27, v29, v37, v27
	v_mul_u32_u24_sdwa v29, v47, s12 dst_sel:DWORD dst_unused:UNUSED_PAD src0_sel:WORD_0 src1_sel:DWORD
	v_mul_u32_u24_sdwa v37, v47, s12 dst_sel:DWORD dst_unused:UNUSED_PAD src0_sel:WORD_1 src1_sel:DWORD
	v_mul_u32_u24_sdwa v47, v48, s12 dst_sel:DWORD dst_unused:UNUSED_PAD src0_sel:WORD_0 src1_sel:DWORD
	v_mul_u32_u24_sdwa v48, v48, s12 dst_sel:DWORD dst_unused:UNUSED_PAD src0_sel:WORD_1 src1_sel:DWORD
	v_mul_u32_u24_sdwa v59, v49, s12 dst_sel:DWORD dst_unused:UNUSED_PAD src0_sel:WORD_0 src1_sel:DWORD
	v_mul_u32_u24_sdwa v49, v49, s12 dst_sel:DWORD dst_unused:UNUSED_PAD src0_sel:WORD_1 src1_sel:DWORD
	v_mul_u32_u24_sdwa v60, v50, s12 dst_sel:DWORD dst_unused:UNUSED_PAD src0_sel:WORD_0 src1_sel:DWORD
	v_mul_u32_u24_sdwa v50, v50, s12 dst_sel:DWORD dst_unused:UNUSED_PAD src0_sel:WORD_1 src1_sel:DWORD
	v_pk_fma_f16 v61, v30, v29, v67
	v_pk_fma_f16 v62, v30, v37, v68
	v_pk_fma_f16 v63, v30, v47, v69
	v_pk_fma_f16 v64, v30, v48, v70
	v_pk_fma_f16 v65, v30, v59, v71
	v_pk_fma_f16 v66, v30, v49, v72
	v_pk_fma_f16 v42, v30, v60, v42
	v_pk_fma_f16 v26, v30, v50, v26
	v_pk_fma_f16 v18, v31, v29, v18
	v_pk_fma_f16 v8, v31, v37, v8
	v_pk_fma_f16 v9, v31, v47, v9
	v_pk_fma_f16 v28, v31, v48, v28
	v_pk_fma_f16 v29, v31, v59, v34
	v_pk_fma_f16 v30, v31, v49, v35
	v_pk_fma_f16 v34, v31, v60, v36
	v_pk_fma_f16 v27, v31, v50, v27
	v_mul_u32_u24_sdwa v31, v51, s12 dst_sel:DWORD dst_unused:UNUSED_PAD src0_sel:WORD_0 src1_sel:DWORD
	v_mul_u32_u24_sdwa v35, v51, s12 dst_sel:DWORD dst_unused:UNUSED_PAD src0_sel:WORD_1 src1_sel:DWORD
	v_mul_u32_u24_sdwa v36, v52, s12 dst_sel:DWORD dst_unused:UNUSED_PAD src0_sel:WORD_0 src1_sel:DWORD
	v_mul_u32_u24_sdwa v37, v52, s12 dst_sel:DWORD dst_unused:UNUSED_PAD src0_sel:WORD_1 src1_sel:DWORD
	v_mul_u32_u24_sdwa v47, v53, s12 dst_sel:DWORD dst_unused:UNUSED_PAD src0_sel:WORD_0 src1_sel:DWORD
	v_mul_u32_u24_sdwa v48, v53, s12 dst_sel:DWORD dst_unused:UNUSED_PAD src0_sel:WORD_1 src1_sel:DWORD
	v_mul_u32_u24_sdwa v49, v54, s12 dst_sel:DWORD dst_unused:UNUSED_PAD src0_sel:WORD_0 src1_sel:DWORD
	v_mul_u32_u24_sdwa v50, v54, s12 dst_sel:DWORD dst_unused:UNUSED_PAD src0_sel:WORD_1 src1_sel:DWORD
	v_pk_fma_f16 v59, v32, v31, v61
	v_pk_fma_f16 v60, v32, v35, v62
	v_pk_fma_f16 v61, v32, v36, v63
	v_pk_fma_f16 v62, v32, v37, v64
	v_pk_fma_f16 v63, v32, v47, v65
	v_pk_fma_f16 v64, v32, v48, v66
	v_pk_fma_f16 v42, v32, v49, v42
	v_pk_fma_f16 v65, v32, v50, v26
	v_pk_fma_f16 v18, v33, v31, v18
	v_pk_fma_f16 v8, v33, v35, v8
	v_pk_fma_f16 v9, v33, v36, v9
	;; [unrolled: 1-line block ×7, first 2 shown]
	s_waitcnt vmcnt(0) lgkmcnt(0)
	ds_write_b128 v7, v[55:58] offset:24576
	s_waitcnt lgkmcnt(0)
	s_barrier
	ds_read_b128 v[26:29], v22 offset:16896
	ds_read2_b64 v[30:33], v3 offset1:32
	ds_read_b128 v[34:37], v22 offset:16912
	ds_read_b128 v[47:50], v22 offset:16928
	;; [unrolled: 1-line block ×3, first 2 shown]
	s_waitcnt lgkmcnt(4)
	v_mul_u32_u24_sdwa v55, v26, s12 dst_sel:DWORD dst_unused:UNUSED_PAD src0_sel:WORD_0 src1_sel:DWORD
	v_mul_u32_u24_sdwa v26, v26, s12 dst_sel:DWORD dst_unused:UNUSED_PAD src0_sel:WORD_1 src1_sel:DWORD
	v_mul_u32_u24_sdwa v56, v27, s12 dst_sel:DWORD dst_unused:UNUSED_PAD src0_sel:WORD_0 src1_sel:DWORD
	v_mul_u32_u24_sdwa v27, v27, s12 dst_sel:DWORD dst_unused:UNUSED_PAD src0_sel:WORD_1 src1_sel:DWORD
	;; [unrolled: 2-line block ×4, first 2 shown]
	s_waitcnt lgkmcnt(3)
	v_pk_fma_f16 v59, v30, v55, v59
	v_pk_fma_f16 v60, v30, v26, v60
	;; [unrolled: 1-line block ×16, first 2 shown]
	s_waitcnt lgkmcnt(2)
	v_mul_u32_u24_sdwa v31, v34, s12 dst_sel:DWORD dst_unused:UNUSED_PAD src0_sel:WORD_0 src1_sel:DWORD
	v_mul_u32_u24_sdwa v34, v34, s12 dst_sel:DWORD dst_unused:UNUSED_PAD src0_sel:WORD_1 src1_sel:DWORD
	v_mul_u32_u24_sdwa v56, v35, s12 dst_sel:DWORD dst_unused:UNUSED_PAD src0_sel:WORD_0 src1_sel:DWORD
	v_mul_u32_u24_sdwa v35, v35, s12 dst_sel:DWORD dst_unused:UNUSED_PAD src0_sel:WORD_1 src1_sel:DWORD
	;; [unrolled: 2-line block ×4, first 2 shown]
	v_pk_fma_f16 v59, v32, v31, v59
	v_pk_fma_f16 v60, v32, v34, v60
	;; [unrolled: 1-line block ×16, first 2 shown]
	ds_read2_b64 v[26:29], v3 offset0:64 offset1:96
	s_waitcnt lgkmcnt(2)
	v_mul_u32_u24_sdwa v36, v47, s12 dst_sel:DWORD dst_unused:UNUSED_PAD src0_sel:WORD_0 src1_sel:DWORD
	v_mul_u32_u24_sdwa v37, v47, s12 dst_sel:DWORD dst_unused:UNUSED_PAD src0_sel:WORD_1 src1_sel:DWORD
	v_mul_u32_u24_sdwa v47, v48, s12 dst_sel:DWORD dst_unused:UNUSED_PAD src0_sel:WORD_0 src1_sel:DWORD
	v_mul_u32_u24_sdwa v48, v48, s12 dst_sel:DWORD dst_unused:UNUSED_PAD src0_sel:WORD_1 src1_sel:DWORD
	;; [unrolled: 2-line block ×4, first 2 shown]
	s_waitcnt lgkmcnt(0)
	v_pk_fma_f16 v57, v26, v36, v59
	v_pk_fma_f16 v58, v26, v37, v60
	;; [unrolled: 1-line block ×16, first 2 shown]
	v_mul_u32_u24_sdwa v33, v51, s12 dst_sel:DWORD dst_unused:UNUSED_PAD src0_sel:WORD_0 src1_sel:DWORD
	v_mul_u32_u24_sdwa v35, v51, s12 dst_sel:DWORD dst_unused:UNUSED_PAD src0_sel:WORD_1 src1_sel:DWORD
	v_mul_u32_u24_sdwa v37, v52, s12 dst_sel:DWORD dst_unused:UNUSED_PAD src0_sel:WORD_1 src1_sel:DWORD
	v_mul_u32_u24_sdwa v47, v53, s12 dst_sel:DWORD dst_unused:UNUSED_PAD src0_sel:WORD_0 src1_sel:DWORD
	v_mul_u32_u24_sdwa v48, v53, s12 dst_sel:DWORD dst_unused:UNUSED_PAD src0_sel:WORD_1 src1_sel:DWORD
	v_mul_u32_u24_sdwa v36, v52, s12 dst_sel:DWORD dst_unused:UNUSED_PAD src0_sel:WORD_0 src1_sel:DWORD
	v_mul_u32_u24_sdwa v49, v54, s12 dst_sel:DWORD dst_unused:UNUSED_PAD src0_sel:WORD_0 src1_sel:DWORD
	v_mul_u32_u24_sdwa v50, v54, s12 dst_sel:DWORD dst_unused:UNUSED_PAD src0_sel:WORD_1 src1_sel:DWORD
	v_pk_fma_f16 v51, v28, v33, v57
	v_pk_fma_f16 v52, v28, v35, v58
	;; [unrolled: 1-line block ×8, first 2 shown]
	ds_read_b128 v[30:33], v22 offset:16960
	v_pk_fma_f16 v53, v28, v36, v59
	v_pk_fma_f16 v54, v28, v37, v60
	v_pk_fma_f16 v42, v28, v49, v42
	v_pk_fma_f16 v57, v28, v50, v26
	v_pk_fma_f16 v8, v29, v35, v8
	v_pk_fma_f16 v9, v29, v36, v9
	v_pk_fma_f16 v49, v29, v49, v34
	v_pk_fma_f16 v50, v29, v50, v27
	ds_read2_b64 v[26:29], v3 offset0:128 offset1:160
	ds_read_b128 v[34:37], v22 offset:16976
	s_waitcnt lgkmcnt(2)
	v_mul_u32_u24_sdwa v59, v30, s12 dst_sel:DWORD dst_unused:UNUSED_PAD src0_sel:WORD_0 src1_sel:DWORD
	v_mul_u32_u24_sdwa v30, v30, s12 dst_sel:DWORD dst_unused:UNUSED_PAD src0_sel:WORD_1 src1_sel:DWORD
	v_mul_u32_u24_sdwa v60, v31, s12 dst_sel:DWORD dst_unused:UNUSED_PAD src0_sel:WORD_0 src1_sel:DWORD
	v_mul_u32_u24_sdwa v31, v31, s12 dst_sel:DWORD dst_unused:UNUSED_PAD src0_sel:WORD_1 src1_sel:DWORD
	;; [unrolled: 2-line block ×4, first 2 shown]
	s_waitcnt lgkmcnt(1)
	v_pk_fma_f16 v51, v26, v59, v51
	v_pk_fma_f16 v52, v26, v30, v52
	;; [unrolled: 1-line block ×16, first 2 shown]
	s_waitcnt lgkmcnt(0)
	v_mul_u32_u24_sdwa v33, v34, s12 dst_sel:DWORD dst_unused:UNUSED_PAD src0_sel:WORD_0 src1_sel:DWORD
	v_mul_u32_u24_sdwa v48, v35, s12 dst_sel:DWORD dst_unused:UNUSED_PAD src0_sel:WORD_0 src1_sel:DWORD
	v_mul_u32_u24_sdwa v35, v35, s12 dst_sel:DWORD dst_unused:UNUSED_PAD src0_sel:WORD_1 src1_sel:DWORD
	v_mul_u32_u24_sdwa v49, v36, s12 dst_sel:DWORD dst_unused:UNUSED_PAD src0_sel:WORD_0 src1_sel:DWORD
	v_mul_u32_u24_sdwa v36, v36, s12 dst_sel:DWORD dst_unused:UNUSED_PAD src0_sel:WORD_1 src1_sel:DWORD
	v_mul_u32_u24_sdwa v34, v34, s12 dst_sel:DWORD dst_unused:UNUSED_PAD src0_sel:WORD_1 src1_sel:DWORD
	v_mul_u32_u24_sdwa v50, v37, s12 dst_sel:DWORD dst_unused:UNUSED_PAD src0_sel:WORD_0 src1_sel:DWORD
	v_mul_u32_u24_sdwa v37, v37, s12 dst_sel:DWORD dst_unused:UNUSED_PAD src0_sel:WORD_1 src1_sel:DWORD
	v_pk_fma_f16 v51, v28, v33, v51
	v_pk_fma_f16 v53, v28, v48, v53
	;; [unrolled: 1-line block ×8, first 2 shown]
	ds_read_b128 v[30:33], v22 offset:16992
	v_pk_fma_f16 v52, v28, v34, v52
	v_pk_fma_f16 v54, v28, v35, v54
	v_pk_fma_f16 v56, v28, v36, v56
	v_pk_fma_f16 v42, v28, v50, v42
	v_pk_fma_f16 v57, v28, v37, v26
	v_pk_fma_f16 v8, v29, v34, v8
	v_pk_fma_f16 v47, v29, v50, v47
	v_pk_fma_f16 v50, v29, v37, v27
	ds_read2_b64 v[26:29], v3 offset0:192 offset1:224
	ds_read_b128 v[34:37], v22 offset:17008
	s_waitcnt lgkmcnt(2)
	v_mul_u32_u24_sdwa v59, v30, s12 dst_sel:DWORD dst_unused:UNUSED_PAD src0_sel:WORD_0 src1_sel:DWORD
	v_mul_u32_u24_sdwa v30, v30, s12 dst_sel:DWORD dst_unused:UNUSED_PAD src0_sel:WORD_1 src1_sel:DWORD
	v_mul_u32_u24_sdwa v60, v31, s12 dst_sel:DWORD dst_unused:UNUSED_PAD src0_sel:WORD_0 src1_sel:DWORD
	v_mul_u32_u24_sdwa v31, v31, s12 dst_sel:DWORD dst_unused:UNUSED_PAD src0_sel:WORD_1 src1_sel:DWORD
	;; [unrolled: 2-line block ×4, first 2 shown]
	s_waitcnt lgkmcnt(1)
	v_pk_fma_f16 v51, v26, v59, v51
	v_pk_fma_f16 v52, v26, v30, v52
	;; [unrolled: 1-line block ×16, first 2 shown]
	s_waitcnt lgkmcnt(0)
	v_mul_u32_u24_sdwa v33, v34, s12 dst_sel:DWORD dst_unused:UNUSED_PAD src0_sel:WORD_0 src1_sel:DWORD
	v_mul_u32_u24_sdwa v48, v35, s12 dst_sel:DWORD dst_unused:UNUSED_PAD src0_sel:WORD_0 src1_sel:DWORD
	v_mul_u32_u24_sdwa v35, v35, s12 dst_sel:DWORD dst_unused:UNUSED_PAD src0_sel:WORD_1 src1_sel:DWORD
	v_mul_u32_u24_sdwa v49, v36, s12 dst_sel:DWORD dst_unused:UNUSED_PAD src0_sel:WORD_0 src1_sel:DWORD
	v_mul_u32_u24_sdwa v36, v36, s12 dst_sel:DWORD dst_unused:UNUSED_PAD src0_sel:WORD_1 src1_sel:DWORD
	v_mul_u32_u24_sdwa v34, v34, s12 dst_sel:DWORD dst_unused:UNUSED_PAD src0_sel:WORD_1 src1_sel:DWORD
	v_mul_u32_u24_sdwa v50, v37, s12 dst_sel:DWORD dst_unused:UNUSED_PAD src0_sel:WORD_0 src1_sel:DWORD
	v_mul_u32_u24_sdwa v37, v37, s12 dst_sel:DWORD dst_unused:UNUSED_PAD src0_sel:WORD_1 src1_sel:DWORD
	v_pk_fma_f16 v51, v28, v33, v51
	v_pk_fma_f16 v53, v28, v48, v53
	;; [unrolled: 1-line block ×8, first 2 shown]
	ds_read_b128 v[30:33], v22 offset:17024
	v_pk_fma_f16 v52, v28, v34, v52
	v_pk_fma_f16 v54, v28, v35, v54
	;; [unrolled: 1-line block ×8, first 2 shown]
	ds_read2_b64 v[26:29], v2 offset1:32
	ds_read_b128 v[34:37], v22 offset:17040
	s_waitcnt lgkmcnt(2)
	v_mul_u32_u24_sdwa v59, v30, s12 dst_sel:DWORD dst_unused:UNUSED_PAD src0_sel:WORD_0 src1_sel:DWORD
	v_mul_u32_u24_sdwa v30, v30, s12 dst_sel:DWORD dst_unused:UNUSED_PAD src0_sel:WORD_1 src1_sel:DWORD
	v_mul_u32_u24_sdwa v60, v31, s12 dst_sel:DWORD dst_unused:UNUSED_PAD src0_sel:WORD_0 src1_sel:DWORD
	v_mul_u32_u24_sdwa v31, v31, s12 dst_sel:DWORD dst_unused:UNUSED_PAD src0_sel:WORD_1 src1_sel:DWORD
	;; [unrolled: 2-line block ×4, first 2 shown]
	s_waitcnt lgkmcnt(1)
	v_pk_fma_f16 v51, v26, v59, v51
	v_pk_fma_f16 v52, v26, v30, v52
	v_pk_fma_f16 v53, v26, v60, v53
	v_pk_fma_f16 v54, v26, v31, v54
	v_pk_fma_f16 v55, v26, v61, v55
	v_pk_fma_f16 v56, v26, v32, v56
	v_pk_fma_f16 v42, v26, v62, v42
	v_pk_fma_f16 v26, v26, v33, v57
	v_pk_fma_f16 v18, v27, v59, v18
	v_pk_fma_f16 v8, v27, v30, v8
	v_pk_fma_f16 v9, v27, v60, v9
	v_pk_fma_f16 v30, v27, v31, v48
	v_pk_fma_f16 v31, v27, v61, v49
	v_pk_fma_f16 v32, v27, v32, v58
	v_pk_fma_f16 v47, v27, v62, v47
	v_pk_fma_f16 v27, v27, v33, v50
	s_waitcnt lgkmcnt(0)
	v_mul_u32_u24_sdwa v33, v34, s12 dst_sel:DWORD dst_unused:UNUSED_PAD src0_sel:WORD_0 src1_sel:DWORD
	v_mul_u32_u24_sdwa v48, v35, s12 dst_sel:DWORD dst_unused:UNUSED_PAD src0_sel:WORD_0 src1_sel:DWORD
	v_mul_u32_u24_sdwa v35, v35, s12 dst_sel:DWORD dst_unused:UNUSED_PAD src0_sel:WORD_1 src1_sel:DWORD
	v_mul_u32_u24_sdwa v49, v36, s12 dst_sel:DWORD dst_unused:UNUSED_PAD src0_sel:WORD_0 src1_sel:DWORD
	v_mul_u32_u24_sdwa v36, v36, s12 dst_sel:DWORD dst_unused:UNUSED_PAD src0_sel:WORD_1 src1_sel:DWORD
	v_mul_u32_u24_sdwa v34, v34, s12 dst_sel:DWORD dst_unused:UNUSED_PAD src0_sel:WORD_1 src1_sel:DWORD
	v_mul_u32_u24_sdwa v50, v37, s12 dst_sel:DWORD dst_unused:UNUSED_PAD src0_sel:WORD_0 src1_sel:DWORD
	v_mul_u32_u24_sdwa v37, v37, s12 dst_sel:DWORD dst_unused:UNUSED_PAD src0_sel:WORD_1 src1_sel:DWORD
	v_pk_fma_f16 v51, v28, v33, v51
	v_pk_fma_f16 v53, v28, v48, v53
	;; [unrolled: 1-line block ×8, first 2 shown]
	ds_read_b128 v[30:33], v22 offset:17056
	v_pk_fma_f16 v52, v28, v34, v52
	v_pk_fma_f16 v54, v28, v35, v54
	;; [unrolled: 1-line block ×8, first 2 shown]
	ds_read2_b64 v[26:29], v2 offset0:64 offset1:96
	ds_read_b128 v[34:37], v22 offset:17072
	s_waitcnt lgkmcnt(2)
	v_mul_u32_u24_sdwa v59, v30, s12 dst_sel:DWORD dst_unused:UNUSED_PAD src0_sel:WORD_0 src1_sel:DWORD
	v_mul_u32_u24_sdwa v30, v30, s12 dst_sel:DWORD dst_unused:UNUSED_PAD src0_sel:WORD_1 src1_sel:DWORD
	v_mul_u32_u24_sdwa v60, v31, s12 dst_sel:DWORD dst_unused:UNUSED_PAD src0_sel:WORD_0 src1_sel:DWORD
	v_mul_u32_u24_sdwa v31, v31, s12 dst_sel:DWORD dst_unused:UNUSED_PAD src0_sel:WORD_1 src1_sel:DWORD
	;; [unrolled: 2-line block ×4, first 2 shown]
	s_waitcnt lgkmcnt(1)
	v_pk_fma_f16 v51, v26, v59, v51
	v_pk_fma_f16 v52, v26, v30, v52
	;; [unrolled: 1-line block ×16, first 2 shown]
	s_waitcnt lgkmcnt(0)
	v_mul_u32_u24_sdwa v33, v34, s12 dst_sel:DWORD dst_unused:UNUSED_PAD src0_sel:WORD_0 src1_sel:DWORD
	v_mul_u32_u24_sdwa v48, v35, s12 dst_sel:DWORD dst_unused:UNUSED_PAD src0_sel:WORD_0 src1_sel:DWORD
	v_mul_u32_u24_sdwa v35, v35, s12 dst_sel:DWORD dst_unused:UNUSED_PAD src0_sel:WORD_1 src1_sel:DWORD
	v_mul_u32_u24_sdwa v49, v36, s12 dst_sel:DWORD dst_unused:UNUSED_PAD src0_sel:WORD_0 src1_sel:DWORD
	v_mul_u32_u24_sdwa v36, v36, s12 dst_sel:DWORD dst_unused:UNUSED_PAD src0_sel:WORD_1 src1_sel:DWORD
	v_pk_fma_f16 v51, v28, v33, v51
	v_pk_fma_f16 v18, v29, v33, v18
	;; [unrolled: 1-line block ×5, first 2 shown]
	ds_read_b128 v[30:33], v22 offset:17088
	v_mul_u32_u24_sdwa v34, v34, s12 dst_sel:DWORD dst_unused:UNUSED_PAD src0_sel:WORD_1 src1_sel:DWORD
	v_mul_u32_u24_sdwa v50, v37, s12 dst_sel:DWORD dst_unused:UNUSED_PAD src0_sel:WORD_0 src1_sel:DWORD
	v_mul_u32_u24_sdwa v37, v37, s12 dst_sel:DWORD dst_unused:UNUSED_PAD src0_sel:WORD_1 src1_sel:DWORD
	v_pk_fma_f16 v52, v28, v34, v52
	v_pk_fma_f16 v53, v28, v48, v53
	;; [unrolled: 1-line block ×11, first 2 shown]
	ds_read2_b64 v[26:29], v2 offset0:128 offset1:160
	ds_read_b128 v[34:37], v22 offset:17104
	s_or_b32 s6, s16, 48
	s_mul_hi_i32 s7, s6, s8
	s_mul_i32 s6, s6, s8
	s_waitcnt lgkmcnt(2)
	v_mul_u32_u24_sdwa v47, v30, s12 dst_sel:DWORD dst_unused:UNUSED_PAD src0_sel:WORD_0 src1_sel:DWORD
	v_mul_u32_u24_sdwa v64, v30, s12 dst_sel:DWORD dst_unused:UNUSED_PAD src0_sel:WORD_1 src1_sel:DWORD
	v_mul_u32_u24_sdwa v65, v31, s12 dst_sel:DWORD dst_unused:UNUSED_PAD src0_sel:WORD_0 src1_sel:DWORD
	v_mul_u32_u24_sdwa v66, v31, s12 dst_sel:DWORD dst_unused:UNUSED_PAD src0_sel:WORD_1 src1_sel:DWORD
	v_mul_u32_u24_sdwa v67, v32, s12 dst_sel:DWORD dst_unused:UNUSED_PAD src0_sel:WORD_0 src1_sel:DWORD
	s_lshl_b64 s[6:7], s[6:7], 2
	v_mul_u32_u24_sdwa v68, v32, s12 dst_sel:DWORD dst_unused:UNUSED_PAD src0_sel:WORD_1 src1_sel:DWORD
	v_mul_u32_u24_sdwa v69, v33, s12 dst_sel:DWORD dst_unused:UNUSED_PAD src0_sel:WORD_0 src1_sel:DWORD
	v_mul_u32_u24_sdwa v70, v33, s12 dst_sel:DWORD dst_unused:UNUSED_PAD src0_sel:WORD_1 src1_sel:DWORD
	s_waitcnt lgkmcnt(1)
	v_pk_fma_f16 v71, v26, v47, v51
	v_pk_fma_f16 v72, v26, v64, v52
	v_pk_fma_f16 v73, v26, v65, v53
	v_pk_fma_f16 v74, v26, v66, v54
	v_pk_fma_f16 v75, v26, v67, v55
	v_pk_fma_f16 v18, v27, v47, v18
	ds_read2_b64 v[30:33], v2 offset0:192 offset1:224
	ds_read_b128 v[47:50], v22 offset:17120
	ds_read_b128 v[51:54], v22 offset:17136
	s_waitcnt lgkmcnt(0)
	s_barrier
	buffer_store_dword v44, off, s[0:3], 0
	buffer_store_dword v44, off, s[0:3], 0 offset:4
	buffer_store_dword v44, off, s[0:3], 0 offset:8
	;; [unrolled: 1-line block ×3, first 2 shown]
	v_mov_b32_e32 v44, s7
	v_add_co_u32_e32 v55, vcc, s6, v5
	s_sub_i32 s8, s39, 48
	v_addc_co_u32_e32 v5, vcc, v6, v44, vcc
	v_cmp_gt_i32_e32 vcc, s8, v4
	v_cndmask_b32_e32 v5, v45, v5, vcc
	v_cndmask_b32_e32 v4, v46, v55, vcc
	v_pk_fma_f16 v76, v26, v68, v56
	v_pk_fma_f16 v42, v26, v69, v42
	;; [unrolled: 1-line block ×3, first 2 shown]
	flat_load_dwordx4 v[55:58], v[4:5]
	v_pk_fma_f16 v4, v27, v64, v8
	v_pk_fma_f16 v5, v27, v65, v9
	v_pk_fma_f16 v6, v27, v66, v59
	v_pk_fma_f16 v8, v27, v67, v60
	v_pk_fma_f16 v9, v27, v68, v61
	v_pk_fma_f16 v44, v27, v69, v62
	v_pk_fma_f16 v27, v27, v70, v63
	v_mul_u32_u24_sdwa v45, v34, s12 dst_sel:DWORD dst_unused:UNUSED_PAD src0_sel:WORD_0 src1_sel:DWORD
	v_mul_u32_u24_sdwa v34, v34, s12 dst_sel:DWORD dst_unused:UNUSED_PAD src0_sel:WORD_1 src1_sel:DWORD
	v_mul_u32_u24_sdwa v46, v35, s12 dst_sel:DWORD dst_unused:UNUSED_PAD src0_sel:WORD_0 src1_sel:DWORD
	v_mul_u32_u24_sdwa v35, v35, s12 dst_sel:DWORD dst_unused:UNUSED_PAD src0_sel:WORD_1 src1_sel:DWORD
	v_mul_u32_u24_sdwa v59, v36, s12 dst_sel:DWORD dst_unused:UNUSED_PAD src0_sel:WORD_0 src1_sel:DWORD
	v_mul_u32_u24_sdwa v36, v36, s12 dst_sel:DWORD dst_unused:UNUSED_PAD src0_sel:WORD_1 src1_sel:DWORD
	v_mul_u32_u24_sdwa v60, v37, s12 dst_sel:DWORD dst_unused:UNUSED_PAD src0_sel:WORD_0 src1_sel:DWORD
	v_mul_u32_u24_sdwa v37, v37, s12 dst_sel:DWORD dst_unused:UNUSED_PAD src0_sel:WORD_1 src1_sel:DWORD
	v_pk_fma_f16 v61, v28, v45, v71
	v_pk_fma_f16 v62, v28, v34, v72
	v_pk_fma_f16 v63, v28, v46, v73
	v_pk_fma_f16 v64, v28, v35, v74
	v_pk_fma_f16 v65, v28, v59, v75
	v_pk_fma_f16 v66, v28, v36, v76
	v_pk_fma_f16 v42, v28, v60, v42
	v_pk_fma_f16 v26, v28, v37, v26
	v_pk_fma_f16 v18, v29, v45, v18
	v_pk_fma_f16 v4, v29, v34, v4
	v_pk_fma_f16 v5, v29, v46, v5
	v_pk_fma_f16 v6, v29, v35, v6
	v_pk_fma_f16 v8, v29, v59, v8
	v_pk_fma_f16 v9, v29, v36, v9
	v_pk_fma_f16 v28, v29, v60, v44
	v_pk_fma_f16 v27, v29, v37, v27
	v_mul_u32_u24_sdwa v29, v47, s12 dst_sel:DWORD dst_unused:UNUSED_PAD src0_sel:WORD_0 src1_sel:DWORD
	v_mul_u32_u24_sdwa v34, v47, s12 dst_sel:DWORD dst_unused:UNUSED_PAD src0_sel:WORD_1 src1_sel:DWORD
	v_mul_u32_u24_sdwa v35, v48, s12 dst_sel:DWORD dst_unused:UNUSED_PAD src0_sel:WORD_0 src1_sel:DWORD
	v_mul_u32_u24_sdwa v36, v48, s12 dst_sel:DWORD dst_unused:UNUSED_PAD src0_sel:WORD_1 src1_sel:DWORD
	v_mul_u32_u24_sdwa v37, v49, s12 dst_sel:DWORD dst_unused:UNUSED_PAD src0_sel:WORD_0 src1_sel:DWORD
	v_mul_u32_u24_sdwa v44, v49, s12 dst_sel:DWORD dst_unused:UNUSED_PAD src0_sel:WORD_1 src1_sel:DWORD
	v_mul_u32_u24_sdwa v45, v50, s12 dst_sel:DWORD dst_unused:UNUSED_PAD src0_sel:WORD_0 src1_sel:DWORD
	v_mul_u32_u24_sdwa v46, v50, s12 dst_sel:DWORD dst_unused:UNUSED_PAD src0_sel:WORD_1 src1_sel:DWORD
	v_pk_fma_f16 v47, v30, v29, v61
	v_pk_fma_f16 v48, v30, v34, v62
	v_pk_fma_f16 v49, v30, v35, v63
	v_pk_fma_f16 v50, v30, v36, v64
	v_pk_fma_f16 v59, v30, v37, v65
	v_pk_fma_f16 v60, v30, v44, v66
	v_pk_fma_f16 v42, v30, v45, v42
	v_pk_fma_f16 v26, v30, v46, v26
	v_pk_fma_f16 v18, v31, v29, v18
	;; [unrolled: 24-line block ×3, first 2 shown]
	v_pk_fma_f16 v59, v33, v30, v4
	v_pk_fma_f16 v60, v33, v31, v5
	;; [unrolled: 1-line block ×7, first 2 shown]
	s_waitcnt vmcnt(0) lgkmcnt(0)
	ds_write_b128 v7, v[55:58] offset:24576
	s_waitcnt lgkmcnt(0)
	s_barrier
	ds_read_b128 v[4:7], v22 offset:17152
	ds_read2_b64 v[26:29], v3 offset1:32
	ds_read_b128 v[30:33], v22 offset:17168
	ds_read_b128 v[34:37], v22 offset:17184
	;; [unrolled: 1-line block ×3, first 2 shown]
	s_waitcnt lgkmcnt(4)
	v_mul_u32_u24_sdwa v55, v4, s12 dst_sel:DWORD dst_unused:UNUSED_PAD src0_sel:WORD_0 src1_sel:DWORD
	v_mul_u32_u24_sdwa v4, v4, s12 dst_sel:DWORD dst_unused:UNUSED_PAD src0_sel:WORD_1 src1_sel:DWORD
	v_mul_u32_u24_sdwa v56, v5, s12 dst_sel:DWORD dst_unused:UNUSED_PAD src0_sel:WORD_0 src1_sel:DWORD
	v_mul_u32_u24_sdwa v5, v5, s12 dst_sel:DWORD dst_unused:UNUSED_PAD src0_sel:WORD_1 src1_sel:DWORD
	;; [unrolled: 2-line block ×4, first 2 shown]
	s_waitcnt lgkmcnt(3)
	v_pk_fma_f16 v51, v26, v55, v51
	v_pk_fma_f16 v48, v26, v4, v48
	;; [unrolled: 1-line block ×16, first 2 shown]
	s_waitcnt lgkmcnt(2)
	v_mul_u32_u24_sdwa v27, v30, s12 dst_sel:DWORD dst_unused:UNUSED_PAD src0_sel:WORD_0 src1_sel:DWORD
	v_mul_u32_u24_sdwa v30, v30, s12 dst_sel:DWORD dst_unused:UNUSED_PAD src0_sel:WORD_1 src1_sel:DWORD
	v_mul_u32_u24_sdwa v55, v31, s12 dst_sel:DWORD dst_unused:UNUSED_PAD src0_sel:WORD_0 src1_sel:DWORD
	v_mul_u32_u24_sdwa v31, v31, s12 dst_sel:DWORD dst_unused:UNUSED_PAD src0_sel:WORD_1 src1_sel:DWORD
	;; [unrolled: 2-line block ×4, first 2 shown]
	v_pk_fma_f16 v51, v28, v27, v51
	v_pk_fma_f16 v48, v28, v30, v48
	;; [unrolled: 1-line block ×16, first 2 shown]
	ds_read2_b64 v[4:7], v3 offset0:64 offset1:96
	s_waitcnt lgkmcnt(2)
	v_mul_u32_u24_sdwa v32, v34, s12 dst_sel:DWORD dst_unused:UNUSED_PAD src0_sel:WORD_0 src1_sel:DWORD
	v_mul_u32_u24_sdwa v33, v34, s12 dst_sel:DWORD dst_unused:UNUSED_PAD src0_sel:WORD_1 src1_sel:DWORD
	v_mul_u32_u24_sdwa v34, v35, s12 dst_sel:DWORD dst_unused:UNUSED_PAD src0_sel:WORD_0 src1_sel:DWORD
	v_mul_u32_u24_sdwa v35, v35, s12 dst_sel:DWORD dst_unused:UNUSED_PAD src0_sel:WORD_1 src1_sel:DWORD
	v_mul_u32_u24_sdwa v54, v36, s12 dst_sel:DWORD dst_unused:UNUSED_PAD src0_sel:WORD_0 src1_sel:DWORD
	v_mul_u32_u24_sdwa v36, v36, s12 dst_sel:DWORD dst_unused:UNUSED_PAD src0_sel:WORD_1 src1_sel:DWORD
	v_mul_u32_u24_sdwa v55, v37, s12 dst_sel:DWORD dst_unused:UNUSED_PAD src0_sel:WORD_0 src1_sel:DWORD
	v_mul_u32_u24_sdwa v37, v37, s12 dst_sel:DWORD dst_unused:UNUSED_PAD src0_sel:WORD_1 src1_sel:DWORD
	s_waitcnt lgkmcnt(0)
	v_pk_fma_f16 v51, v4, v32, v51
	v_pk_fma_f16 v48, v4, v33, v48
	;; [unrolled: 1-line block ×16, first 2 shown]
	v_mul_u32_u24_sdwa v29, v44, s12 dst_sel:DWORD dst_unused:UNUSED_PAD src0_sel:WORD_0 src1_sel:DWORD
	v_mul_u32_u24_sdwa v31, v44, s12 dst_sel:DWORD dst_unused:UNUSED_PAD src0_sel:WORD_1 src1_sel:DWORD
	v_mul_u32_u24_sdwa v32, v45, s12 dst_sel:DWORD dst_unused:UNUSED_PAD src0_sel:WORD_0 src1_sel:DWORD
	v_mul_u32_u24_sdwa v33, v45, s12 dst_sel:DWORD dst_unused:UNUSED_PAD src0_sel:WORD_1 src1_sel:DWORD
	;; [unrolled: 2-line block ×4, first 2 shown]
	v_pk_fma_f16 v44, v6, v29, v51
	v_pk_fma_f16 v45, v6, v31, v48
	;; [unrolled: 1-line block ×9, first 2 shown]
	ds_read_b128 v[26:29], v22 offset:17216
	v_pk_fma_f16 v47, v6, v33, v50
	v_pk_fma_f16 v42, v6, v36, v42
	;; [unrolled: 1-line block ×7, first 2 shown]
	ds_read2_b64 v[4:7], v3 offset0:128 offset1:160
	ds_read_b128 v[30:33], v22 offset:17232
	s_waitcnt lgkmcnt(2)
	v_mul_u32_u24_sdwa v36, v26, s12 dst_sel:DWORD dst_unused:UNUSED_PAD src0_sel:WORD_0 src1_sel:DWORD
	v_mul_u32_u24_sdwa v26, v26, s12 dst_sel:DWORD dst_unused:UNUSED_PAD src0_sel:WORD_1 src1_sel:DWORD
	v_mul_u32_u24_sdwa v37, v27, s12 dst_sel:DWORD dst_unused:UNUSED_PAD src0_sel:WORD_0 src1_sel:DWORD
	v_mul_u32_u24_sdwa v27, v27, s12 dst_sel:DWORD dst_unused:UNUSED_PAD src0_sel:WORD_1 src1_sel:DWORD
	v_mul_u32_u24_sdwa v54, v28, s12 dst_sel:DWORD dst_unused:UNUSED_PAD src0_sel:WORD_0 src1_sel:DWORD
	v_mul_u32_u24_sdwa v28, v28, s12 dst_sel:DWORD dst_unused:UNUSED_PAD src0_sel:WORD_1 src1_sel:DWORD
	v_mul_u32_u24_sdwa v55, v29, s12 dst_sel:DWORD dst_unused:UNUSED_PAD src0_sel:WORD_0 src1_sel:DWORD
	v_mul_u32_u24_sdwa v29, v29, s12 dst_sel:DWORD dst_unused:UNUSED_PAD src0_sel:WORD_1 src1_sel:DWORD
	s_waitcnt lgkmcnt(1)
	v_pk_fma_f16 v44, v4, v36, v44
	v_pk_fma_f16 v45, v4, v26, v45
	;; [unrolled: 1-line block ×16, first 2 shown]
	s_waitcnt lgkmcnt(0)
	v_mul_u32_u24_sdwa v29, v30, s12 dst_sel:DWORD dst_unused:UNUSED_PAD src0_sel:WORD_0 src1_sel:DWORD
	v_mul_u32_u24_sdwa v30, v30, s12 dst_sel:DWORD dst_unused:UNUSED_PAD src0_sel:WORD_1 src1_sel:DWORD
	v_mul_u32_u24_sdwa v34, v31, s12 dst_sel:DWORD dst_unused:UNUSED_PAD src0_sel:WORD_0 src1_sel:DWORD
	v_mul_u32_u24_sdwa v31, v31, s12 dst_sel:DWORD dst_unused:UNUSED_PAD src0_sel:WORD_1 src1_sel:DWORD
	;; [unrolled: 2-line block ×4, first 2 shown]
	v_pk_fma_f16 v44, v6, v29, v44
	v_pk_fma_f16 v46, v6, v34, v46
	;; [unrolled: 1-line block ×9, first 2 shown]
	ds_read_b128 v[26:29], v22 offset:17248
	v_pk_fma_f16 v45, v6, v30, v45
	v_pk_fma_f16 v47, v6, v31, v47
	;; [unrolled: 1-line block ×7, first 2 shown]
	ds_read2_b64 v[3:6], v3 offset0:192 offset1:224
	ds_read_b128 v[30:33], v22 offset:17264
	s_waitcnt lgkmcnt(2)
	v_mul_u32_u24_sdwa v37, v26, s12 dst_sel:DWORD dst_unused:UNUSED_PAD src0_sel:WORD_0 src1_sel:DWORD
	v_mul_u32_u24_sdwa v26, v26, s12 dst_sel:DWORD dst_unused:UNUSED_PAD src0_sel:WORD_1 src1_sel:DWORD
	v_mul_u32_u24_sdwa v52, v27, s12 dst_sel:DWORD dst_unused:UNUSED_PAD src0_sel:WORD_0 src1_sel:DWORD
	v_mul_u32_u24_sdwa v27, v27, s12 dst_sel:DWORD dst_unused:UNUSED_PAD src0_sel:WORD_1 src1_sel:DWORD
	;; [unrolled: 2-line block ×4, first 2 shown]
	s_waitcnt lgkmcnt(1)
	v_pk_fma_f16 v44, v3, v37, v44
	v_pk_fma_f16 v45, v3, v26, v45
	;; [unrolled: 1-line block ×16, first 2 shown]
	s_waitcnt lgkmcnt(0)
	v_mul_u32_u24_sdwa v7, v30, s12 dst_sel:DWORD dst_unused:UNUSED_PAD src0_sel:WORD_0 src1_sel:DWORD
	v_mul_u32_u24_sdwa v29, v30, s12 dst_sel:DWORD dst_unused:UNUSED_PAD src0_sel:WORD_1 src1_sel:DWORD
	v_mul_u32_u24_sdwa v30, v31, s12 dst_sel:DWORD dst_unused:UNUSED_PAD src0_sel:WORD_0 src1_sel:DWORD
	v_mul_u32_u24_sdwa v31, v31, s12 dst_sel:DWORD dst_unused:UNUSED_PAD src0_sel:WORD_1 src1_sel:DWORD
	;; [unrolled: 2-line block ×4, first 2 shown]
	v_pk_fma_f16 v37, v5, v7, v44
	v_pk_fma_f16 v44, v5, v29, v45
	;; [unrolled: 1-line block ×10, first 2 shown]
	ds_read_b128 v[26:29], v22 offset:17280
	v_pk_fma_f16 v48, v5, v32, v49
	v_pk_fma_f16 v42, v5, v36, v42
	;; [unrolled: 1-line block ×6, first 2 shown]
	ds_read2_b64 v[3:6], v2 offset1:32
	ds_read_b128 v[30:33], v22 offset:17296
	s_waitcnt lgkmcnt(2)
	v_mul_u32_u24_sdwa v51, v26, s12 dst_sel:DWORD dst_unused:UNUSED_PAD src0_sel:WORD_0 src1_sel:DWORD
	v_mul_u32_u24_sdwa v26, v26, s12 dst_sel:DWORD dst_unused:UNUSED_PAD src0_sel:WORD_1 src1_sel:DWORD
	v_mul_u32_u24_sdwa v52, v27, s12 dst_sel:DWORD dst_unused:UNUSED_PAD src0_sel:WORD_0 src1_sel:DWORD
	v_mul_u32_u24_sdwa v27, v27, s12 dst_sel:DWORD dst_unused:UNUSED_PAD src0_sel:WORD_1 src1_sel:DWORD
	v_mul_u32_u24_sdwa v53, v28, s12 dst_sel:DWORD dst_unused:UNUSED_PAD src0_sel:WORD_0 src1_sel:DWORD
	v_mul_u32_u24_sdwa v28, v28, s12 dst_sel:DWORD dst_unused:UNUSED_PAD src0_sel:WORD_1 src1_sel:DWORD
	v_mul_u32_u24_sdwa v54, v29, s12 dst_sel:DWORD dst_unused:UNUSED_PAD src0_sel:WORD_0 src1_sel:DWORD
	v_mul_u32_u24_sdwa v29, v29, s12 dst_sel:DWORD dst_unused:UNUSED_PAD src0_sel:WORD_1 src1_sel:DWORD
	s_waitcnt lgkmcnt(1)
	v_pk_fma_f16 v37, v3, v51, v37
	v_pk_fma_f16 v44, v3, v26, v44
	;; [unrolled: 1-line block ×16, first 2 shown]
	s_waitcnt lgkmcnt(0)
	v_mul_u32_u24_sdwa v29, v30, s12 dst_sel:DWORD dst_unused:UNUSED_PAD src0_sel:WORD_0 src1_sel:DWORD
	v_mul_u32_u24_sdwa v34, v31, s12 dst_sel:DWORD dst_unused:UNUSED_PAD src0_sel:WORD_0 src1_sel:DWORD
	v_mul_u32_u24_sdwa v31, v31, s12 dst_sel:DWORD dst_unused:UNUSED_PAD src0_sel:WORD_1 src1_sel:DWORD
	v_mul_u32_u24_sdwa v35, v32, s12 dst_sel:DWORD dst_unused:UNUSED_PAD src0_sel:WORD_0 src1_sel:DWORD
	v_mul_u32_u24_sdwa v32, v32, s12 dst_sel:DWORD dst_unused:UNUSED_PAD src0_sel:WORD_1 src1_sel:DWORD
	v_mul_u32_u24_sdwa v30, v30, s12 dst_sel:DWORD dst_unused:UNUSED_PAD src0_sel:WORD_1 src1_sel:DWORD
	v_mul_u32_u24_sdwa v36, v33, s12 dst_sel:DWORD dst_unused:UNUSED_PAD src0_sel:WORD_0 src1_sel:DWORD
	v_mul_u32_u24_sdwa v33, v33, s12 dst_sel:DWORD dst_unused:UNUSED_PAD src0_sel:WORD_1 src1_sel:DWORD
	v_pk_fma_f16 v37, v5, v29, v37
	v_pk_fma_f16 v45, v5, v34, v45
	v_pk_fma_f16 v47, v5, v35, v47
	v_pk_fma_f16 v7, v6, v29, v7
	v_pk_fma_f16 v34, v6, v34, v26
	v_pk_fma_f16 v50, v6, v31, v27
	v_pk_fma_f16 v8, v6, v35, v8
	v_pk_fma_f16 v35, v6, v32, v28
	ds_read_b128 v[26:29], v22 offset:17312
	v_pk_fma_f16 v44, v5, v30, v44
	v_pk_fma_f16 v46, v5, v31, v46
	;; [unrolled: 1-line block ×8, first 2 shown]
	ds_read2_b64 v[3:6], v2 offset0:64 offset1:96
	ds_read_b128 v[30:33], v22 offset:17328
	s_waitcnt lgkmcnt(2)
	v_mul_u32_u24_sdwa v51, v26, s12 dst_sel:DWORD dst_unused:UNUSED_PAD src0_sel:WORD_0 src1_sel:DWORD
	v_mul_u32_u24_sdwa v26, v26, s12 dst_sel:DWORD dst_unused:UNUSED_PAD src0_sel:WORD_1 src1_sel:DWORD
	v_mul_u32_u24_sdwa v52, v27, s12 dst_sel:DWORD dst_unused:UNUSED_PAD src0_sel:WORD_0 src1_sel:DWORD
	v_mul_u32_u24_sdwa v27, v27, s12 dst_sel:DWORD dst_unused:UNUSED_PAD src0_sel:WORD_1 src1_sel:DWORD
	;; [unrolled: 2-line block ×4, first 2 shown]
	s_waitcnt lgkmcnt(1)
	v_pk_fma_f16 v37, v3, v51, v37
	v_pk_fma_f16 v44, v3, v26, v44
	;; [unrolled: 1-line block ×16, first 2 shown]
	s_waitcnt lgkmcnt(0)
	v_mul_u32_u24_sdwa v29, v30, s12 dst_sel:DWORD dst_unused:UNUSED_PAD src0_sel:WORD_0 src1_sel:DWORD
	v_mul_u32_u24_sdwa v34, v31, s12 dst_sel:DWORD dst_unused:UNUSED_PAD src0_sel:WORD_0 src1_sel:DWORD
	v_mul_u32_u24_sdwa v31, v31, s12 dst_sel:DWORD dst_unused:UNUSED_PAD src0_sel:WORD_1 src1_sel:DWORD
	v_mul_u32_u24_sdwa v35, v32, s12 dst_sel:DWORD dst_unused:UNUSED_PAD src0_sel:WORD_0 src1_sel:DWORD
	v_mul_u32_u24_sdwa v32, v32, s12 dst_sel:DWORD dst_unused:UNUSED_PAD src0_sel:WORD_1 src1_sel:DWORD
	v_mul_u32_u24_sdwa v30, v30, s12 dst_sel:DWORD dst_unused:UNUSED_PAD src0_sel:WORD_1 src1_sel:DWORD
	v_mul_u32_u24_sdwa v36, v33, s12 dst_sel:DWORD dst_unused:UNUSED_PAD src0_sel:WORD_0 src1_sel:DWORD
	v_mul_u32_u24_sdwa v33, v33, s12 dst_sel:DWORD dst_unused:UNUSED_PAD src0_sel:WORD_1 src1_sel:DWORD
	v_pk_fma_f16 v37, v5, v29, v37
	v_pk_fma_f16 v45, v5, v34, v45
	;; [unrolled: 1-line block ×8, first 2 shown]
	ds_read_b128 v[26:29], v22 offset:17344
	v_pk_fma_f16 v44, v5, v30, v44
	v_pk_fma_f16 v46, v5, v31, v46
	;; [unrolled: 1-line block ×8, first 2 shown]
	ds_read2_b64 v[3:6], v2 offset0:128 offset1:160
	ds_read_b128 v[30:33], v22 offset:17360
	s_waitcnt lgkmcnt(2)
	v_mul_u32_u24_sdwa v51, v26, s12 dst_sel:DWORD dst_unused:UNUSED_PAD src0_sel:WORD_0 src1_sel:DWORD
	v_mul_u32_u24_sdwa v26, v26, s12 dst_sel:DWORD dst_unused:UNUSED_PAD src0_sel:WORD_1 src1_sel:DWORD
	v_mul_u32_u24_sdwa v52, v27, s12 dst_sel:DWORD dst_unused:UNUSED_PAD src0_sel:WORD_0 src1_sel:DWORD
	v_mul_u32_u24_sdwa v27, v27, s12 dst_sel:DWORD dst_unused:UNUSED_PAD src0_sel:WORD_1 src1_sel:DWORD
	;; [unrolled: 2-line block ×4, first 2 shown]
	s_waitcnt lgkmcnt(1)
	v_pk_fma_f16 v37, v3, v51, v37
	v_pk_fma_f16 v44, v3, v26, v44
	;; [unrolled: 1-line block ×16, first 2 shown]
	s_waitcnt lgkmcnt(0)
	v_mul_u32_u24_sdwa v29, v30, s12 dst_sel:DWORD dst_unused:UNUSED_PAD src0_sel:WORD_0 src1_sel:DWORD
	v_mul_u32_u24_sdwa v30, v30, s12 dst_sel:DWORD dst_unused:UNUSED_PAD src0_sel:WORD_1 src1_sel:DWORD
	v_mul_u32_u24_sdwa v34, v31, s12 dst_sel:DWORD dst_unused:UNUSED_PAD src0_sel:WORD_0 src1_sel:DWORD
	v_mul_u32_u24_sdwa v31, v31, s12 dst_sel:DWORD dst_unused:UNUSED_PAD src0_sel:WORD_1 src1_sel:DWORD
	;; [unrolled: 2-line block ×4, first 2 shown]
	v_pk_fma_f16 v37, v5, v29, v37
	v_pk_fma_f16 v44, v5, v30, v44
	;; [unrolled: 1-line block ×9, first 2 shown]
	ds_read_b128 v[26:29], v22 offset:17376
	v_pk_fma_f16 v45, v5, v34, v45
	v_pk_fma_f16 v47, v5, v35, v47
	;; [unrolled: 1-line block ×7, first 2 shown]
	ds_read2_b64 v[2:5], v2 offset0:192 offset1:224
	ds_read_b128 v[6:9], v22 offset:17392
	s_waitcnt lgkmcnt(2)
	v_mul_u32_u24_sdwa v22, v26, s12 dst_sel:DWORD dst_unused:UNUSED_PAD src0_sel:WORD_0 src1_sel:DWORD
	v_mul_u32_u24_sdwa v26, v26, s12 dst_sel:DWORD dst_unused:UNUSED_PAD src0_sel:WORD_1 src1_sel:DWORD
	v_mul_u32_u24_sdwa v36, v27, s12 dst_sel:DWORD dst_unused:UNUSED_PAD src0_sel:WORD_0 src1_sel:DWORD
	v_mul_u32_u24_sdwa v27, v27, s12 dst_sel:DWORD dst_unused:UNUSED_PAD src0_sel:WORD_1 src1_sel:DWORD
	v_mul_u32_u24_sdwa v51, v28, s12 dst_sel:DWORD dst_unused:UNUSED_PAD src0_sel:WORD_0 src1_sel:DWORD
	v_mul_u32_u24_sdwa v28, v28, s12 dst_sel:DWORD dst_unused:UNUSED_PAD src0_sel:WORD_1 src1_sel:DWORD
	v_mul_u32_u24_sdwa v52, v29, s12 dst_sel:DWORD dst_unused:UNUSED_PAD src0_sel:WORD_0 src1_sel:DWORD
	v_mul_u32_u24_sdwa v29, v29, s12 dst_sel:DWORD dst_unused:UNUSED_PAD src0_sel:WORD_1 src1_sel:DWORD
	s_waitcnt lgkmcnt(1)
	v_pk_fma_f16 v37, v2, v22, v37
	v_pk_fma_f16 v44, v2, v26, v44
	;; [unrolled: 1-line block ×16, first 2 shown]
	s_waitcnt lgkmcnt(0)
	v_mul_u32_u24_sdwa v29, v6, s12 dst_sel:DWORD dst_unused:UNUSED_PAD src0_sel:WORD_0 src1_sel:DWORD
	v_mul_u32_u24_sdwa v6, v6, s12 dst_sel:DWORD dst_unused:UNUSED_PAD src0_sel:WORD_1 src1_sel:DWORD
	v_mul_u32_u24_sdwa v32, v7, s12 dst_sel:DWORD dst_unused:UNUSED_PAD src0_sel:WORD_0 src1_sel:DWORD
	v_mul_u32_u24_sdwa v7, v7, s12 dst_sel:DWORD dst_unused:UNUSED_PAD src0_sel:WORD_1 src1_sel:DWORD
	v_mul_u32_u24_sdwa v33, v8, s12 dst_sel:DWORD dst_unused:UNUSED_PAD src0_sel:WORD_0 src1_sel:DWORD
	v_mul_u32_u24_sdwa v8, v8, s12 dst_sel:DWORD dst_unused:UNUSED_PAD src0_sel:WORD_1 src1_sel:DWORD
	v_mul_u32_u24_sdwa v34, v9, s12 dst_sel:DWORD dst_unused:UNUSED_PAD src0_sel:WORD_0 src1_sel:DWORD
	v_mul_u32_u24_sdwa v9, v9, s12 dst_sel:DWORD dst_unused:UNUSED_PAD src0_sel:WORD_1 src1_sel:DWORD
	v_pk_fma_f16 v71, v4, v29, v37
	v_pk_fma_f16 v62, v4, v6, v44
	;; [unrolled: 1-line block ×16, first 2 shown]
	v_mov_b32_e32 v9, v17
	v_mov_b32_e32 v8, v16
	;; [unrolled: 1-line block ×16, first 2 shown]
	s_barrier
.LBB86_263:
	v_cmp_lt_i32_e32 vcc, v79, v78
	v_cndmask_b32_e32 v1, v77, v79, vcc
	v_cmp_lt_i32_e32 vcc, v82, v78
	v_lshlrev_b32_e32 v1, 2, v1
	v_cndmask_b32_e32 v18, v77, v82, vcc
	v_lshlrev_b32_e32 v21, 2, v18
	ds_bpermute_b32 v18, v1, v66
	v_cmp_lt_i32_e32 vcc, v80, v78
	v_cndmask_b32_e32 v19, v77, v80, vcc
	v_cmp_lt_i32_e32 vcc, v83, v78
	v_lshlrev_b32_e32 v22, 2, v19
	v_cndmask_b32_e32 v19, v77, v83, vcc
	s_waitcnt lgkmcnt(0)
	v_add_f32_e32 v18, v66, v18
	v_lshlrev_b32_e32 v23, 2, v19
	ds_bpermute_b32 v19, v1, v67
	s_waitcnt vmcnt(0)
	ds_bpermute_b32 v20, v21, v18
	ds_bpermute_b32 v26, v1, v69
	v_cmp_lt_i32_e32 vcc, v81, v78
	v_cndmask_b32_e32 v24, v77, v81, vcc
	s_waitcnt lgkmcnt(2)
	v_add_f32_e32 v19, v67, v19
	s_waitcnt lgkmcnt(1)
	v_add_f32_e32 v18, v18, v20
	ds_bpermute_b32 v25, v21, v19
	ds_bpermute_b32 v20, v22, v18
	s_waitcnt lgkmcnt(2)
	v_add_f32_e32 v26, v69, v26
	ds_bpermute_b32 v27, v21, v26
	v_lshlrev_b32_e32 v24, 2, v24
	s_waitcnt lgkmcnt(2)
	v_add_f32_e32 v19, v19, v25
	s_waitcnt lgkmcnt(1)
	v_add_f32_e32 v18, v18, v20
	ds_bpermute_b32 v25, v22, v19
	ds_bpermute_b32 v20, v23, v18
	s_waitcnt lgkmcnt(2)
	v_add_f32_e32 v26, v26, v27
	ds_bpermute_b32 v27, v22, v26
	ds_bpermute_b32 v28, v1, v70
	s_waitcnt lgkmcnt(3)
	v_add_f32_e32 v19, v19, v25
	s_waitcnt lgkmcnt(2)
	v_add_f32_e32 v18, v18, v20
	ds_bpermute_b32 v25, v23, v19
	ds_bpermute_b32 v20, v24, v18
	s_cmp_eq_u64 s[20:21], 0
	s_cselect_b64 s[6:7], -1, 0
	s_cmp_lg_u32 s9, 0
	s_waitcnt lgkmcnt(1)
	v_add_f32_e32 v19, v19, v25
	v_add_f32_e32 v25, v26, v27
	;; [unrolled: 1-line block ×3, first 2 shown]
	s_waitcnt lgkmcnt(0)
	v_add_f32_e32 v18, v18, v20
	ds_bpermute_b32 v20, v1, v64
	ds_bpermute_b32 v27, v21, v26
	;; [unrolled: 1-line block ×4, first 2 shown]
	s_cselect_b64 s[10:11], -1, 0
	s_waitcnt lgkmcnt(3)
	v_add_f32_e32 v20, v64, v20
	s_waitcnt lgkmcnt(2)
	v_add_f32_e32 v26, v26, v27
	ds_bpermute_b32 v29, v21, v20
	ds_bpermute_b32 v27, v22, v26
	s_waitcnt lgkmcnt(3)
	v_add_f32_e32 v25, v25, v28
	s_waitcnt lgkmcnt(2)
	v_add_f32_e32 v19, v19, v30
	s_or_b64 s[6:7], s[10:11], s[6:7]
	s_waitcnt lgkmcnt(1)
	v_add_f32_e32 v20, v20, v29
	s_waitcnt lgkmcnt(0)
	v_add_f32_e32 v26, v26, v27
	ds_bpermute_b32 v28, v22, v20
	ds_bpermute_b32 v29, v24, v25
	ds_bpermute_b32 v27, v23, v26
	s_and_b64 vcc, exec, s[6:7]
	s_waitcnt lgkmcnt(2)
	v_add_f32_e32 v28, v20, v28
	s_waitcnt lgkmcnt(1)
	v_add_f32_e32 v20, v25, v29
	;; [unrolled: 2-line block ×3, first 2 shown]
	ds_bpermute_b32 v27, v1, v65
	ds_bpermute_b32 v29, v1, v68
	;; [unrolled: 1-line block ×5, first 2 shown]
	s_waitcnt lgkmcnt(4)
	v_add_f32_e32 v27, v65, v27
	s_waitcnt lgkmcnt(3)
	v_add_f32_e32 v29, v68, v29
	;; [unrolled: 2-line block ×3, first 2 shown]
	ds_bpermute_b32 v31, v21, v27
	ds_bpermute_b32 v32, v21, v29
	;; [unrolled: 1-line block ×3, first 2 shown]
	s_waitcnt lgkmcnt(4)
	v_add_f32_e32 v28, v28, v30
	ds_bpermute_b32 v30, v24, v28
	s_waitcnt lgkmcnt(3)
	v_add_f32_e32 v27, v27, v31
	s_waitcnt lgkmcnt(2)
	v_add_f32_e32 v29, v29, v32
	s_waitcnt lgkmcnt(1)
	v_add_f32_e32 v1, v1, v21
	ds_bpermute_b32 v31, v22, v27
	ds_bpermute_b32 v32, v22, v29
	ds_bpermute_b32 v21, v22, v1
	s_waitcnt lgkmcnt(2)
	v_add_f32_e32 v22, v27, v31
	s_waitcnt lgkmcnt(1)
	v_add_f32_e32 v29, v29, v32
	s_waitcnt lgkmcnt(0)
	v_add_f32_e32 v1, v1, v21
	ds_bpermute_b32 v27, v23, v22
	ds_bpermute_b32 v31, v23, v29
	;; [unrolled: 9-line block ×3, first 2 shown]
	ds_bpermute_b32 v32, v24, v1
	v_add_f32_e32 v21, v25, v26
	v_add_f32_e32 v22, v28, v30
	s_waitcnt lgkmcnt(2)
	v_add_f32_e32 v23, v23, v27
	s_waitcnt lgkmcnt(1)
	;; [unrolled: 2-line block ×3, first 2 shown]
	v_add_f32_e32 v25, v1, v32
	s_cbranch_vccnz .LBB86_265
; %bb.264:
	s_lshl_b64 s[6:7], s[34:35], 2
	s_add_u32 s6, s20, s6
	s_addc_u32 s7, s21, s7
	v_mov_b32_e32 v1, 0
	global_load_dword v44, v1, s[6:7]
	v_max_f32_e32 v1, v2, v2
	v_max_f32_e32 v11, v3, v3
	s_mov_b32 s8, 0x3fb8aa3b
	v_max_f32_e32 v12, v4, v4
	s_mov_b32 s7, 0xc2ce8ed0
	s_mov_b32 s6, 0x42b17218
	v_mov_b32_e32 v43, 0x7f800000
	s_waitcnt vmcnt(0)
	v_max_f32_e32 v17, v44, v44
	v_max_f32_e32 v10, v1, v17
	v_sub_f32_e32 v1, v2, v10
	v_max_f32_e32 v11, v11, v17
	v_sub_f32_e32 v2, v44, v10
	v_mul_f32_e32 v15, 0x3fb8aa3b, v1
	v_sub_f32_e32 v3, v3, v11
	v_mul_f32_e32 v16, 0x3fb8aa3b, v2
	v_fma_f32 v30, v1, s8, -v15
	v_rndne_f32_e32 v31, v15
	v_max_f32_e32 v12, v12, v17
	v_sub_f32_e32 v13, v44, v11
	v_mul_f32_e32 v26, 0x3fb8aa3b, v3
	v_fma_f32 v32, v2, s8, -v16
	v_rndne_f32_e32 v33, v16
	v_fmac_f32_e32 v30, 0x32a5705f, v1
	v_sub_f32_e32 v15, v15, v31
	v_sub_f32_e32 v4, v4, v12
	v_mul_f32_e32 v27, 0x3fb8aa3b, v13
	v_fma_f32 v34, v3, s8, -v26
	v_rndne_f32_e32 v35, v26
	v_fmac_f32_e32 v32, 0x32a5705f, v2
	v_sub_f32_e32 v16, v16, v33
	v_add_f32_e32 v15, v15, v30
	v_mul_f32_e32 v28, 0x3fb8aa3b, v4
	v_fma_f32 v36, v13, s8, -v27
	v_rndne_f32_e32 v37, v27
	v_cvt_i32_f32_e32 v31, v31
	v_fmac_f32_e32 v34, 0x32a5705f, v3
	v_sub_f32_e32 v26, v26, v35
	v_add_f32_e32 v16, v16, v32
	v_exp_f32_e32 v15, v15
	v_fma_f32 v42, v4, s8, -v28
	v_rndne_f32_e32 v45, v28
	v_cvt_i32_f32_e32 v33, v33
	v_fmac_f32_e32 v36, 0x32a5705f, v13
	v_sub_f32_e32 v27, v27, v37
	v_add_f32_e32 v26, v26, v34
	v_exp_f32_e32 v16, v16
	v_cvt_i32_f32_e32 v35, v35
	v_fmac_f32_e32 v42, 0x32a5705f, v4
	v_sub_f32_e32 v28, v28, v45
	v_add_f32_e32 v27, v27, v36
	v_exp_f32_e32 v26, v26
	v_cvt_i32_f32_e32 v37, v37
	v_add_f32_e32 v28, v28, v42
	v_exp_f32_e32 v27, v27
	v_cvt_i32_f32_e32 v45, v45
	v_exp_f32_e32 v28, v28
	v_ldexp_f32 v15, v15, v31
	v_cmp_ngt_f32_e32 vcc, s7, v1
	v_ldexp_f32 v16, v16, v33
	v_cndmask_b32_e32 v15, 0, v15, vcc
	v_cmp_ngt_f32_e32 vcc, s7, v2
	v_ldexp_f32 v26, v26, v35
	v_cndmask_b32_e32 v16, 0, v16, vcc
	;; [unrolled: 3-line block ×4, first 2 shown]
	v_cmp_ngt_f32_e32 vcc, s7, v4
	v_cndmask_b32_e32 v28, 0, v28, vcc
	v_cmp_nlt_f32_e32 vcc, s6, v1
	v_cndmask_b32_e32 v15, v43, v15, vcc
	v_cmp_nlt_f32_e32 vcc, s6, v2
	v_sub_f32_e32 v14, v44, v12
	v_cndmask_b32_e32 v1, v43, v16, vcc
	v_cmp_nlt_f32_e32 vcc, s6, v3
	v_mul_f32_e32 v29, 0x3fb8aa3b, v14
	v_cndmask_b32_e32 v3, v43, v26, vcc
	v_fma_f32 v46, v14, s8, -v29
	v_rndne_f32_e32 v47, v29
	v_cmp_nlt_f32_e32 vcc, s6, v13
	v_cvt_f16_f32_e32 v13, v15
	v_cvt_f16_f32_e32 v16, v3
	v_fmac_f32_e32 v46, 0x32a5705f, v14
	v_sub_f32_e32 v29, v29, v47
	v_add_f32_e32 v29, v29, v46
	v_cvt_i32_f32_e32 v47, v47
	v_exp_f32_e32 v29, v29
	v_cndmask_b32_e32 v2, v43, v27, vcc
	v_fmac_f32_e32 v2, v19, v3
	v_mul_u32_u24_e32 v3, 0x10001, v13
	v_mul_u32_u24_e32 v13, 0x10001, v16
	v_pk_mul_f16 v62, v62, v13
	v_pk_mul_f16 v63, v63, v13
	v_max_f32_e32 v13, v5, v5
	v_cmp_nlt_f32_e32 vcc, s6, v4
	v_max_f32_e32 v13, v13, v17
	v_pk_mul_f16 v71, v71, v3
	v_pk_mul_f16 v72, v72, v3
	v_cndmask_b32_e32 v4, v43, v28, vcc
	v_ldexp_f32 v3, v29, v47
	v_cmp_ngt_f32_e32 vcc, s7, v14
	v_sub_f32_e32 v5, v5, v13
	v_cndmask_b32_e32 v3, 0, v3, vcc
	v_cmp_nlt_f32_e32 vcc, s6, v14
	v_mul_f32_e32 v14, 0x3fb8aa3b, v5
	v_fmac_f32_e32 v1, v18, v15
	v_fma_f32 v15, v5, s8, -v14
	v_rndne_f32_e32 v16, v14
	v_cndmask_b32_e32 v3, v43, v3, vcc
	v_fmac_f32_e32 v15, 0x32a5705f, v5
	v_sub_f32_e32 v14, v14, v16
	v_fmac_f32_e32 v3, v20, v4
	v_cvt_f16_f32_e32 v4, v4
	v_add_f32_e32 v14, v14, v15
	v_exp_f32_e32 v14, v14
	v_cvt_i32_f32_e32 v15, v16
	v_mul_u32_u24_e32 v4, 0x10001, v4
	v_pk_mul_f16 v59, v59, v4
	v_pk_mul_f16 v60, v60, v4
	v_ldexp_f32 v4, v14, v15
	v_sub_f32_e32 v14, v44, v13
	v_mul_f32_e32 v15, 0x3fb8aa3b, v14
	v_fma_f32 v16, v14, s8, -v15
	v_rndne_f32_e32 v18, v15
	v_fmac_f32_e32 v16, 0x32a5705f, v14
	v_sub_f32_e32 v15, v15, v18
	v_add_f32_e32 v15, v15, v16
	v_exp_f32_e32 v15, v15
	v_cvt_i32_f32_e32 v16, v18
	v_cmp_ngt_f32_e32 vcc, s7, v5
	v_cndmask_b32_e32 v4, 0, v4, vcc
	v_cmp_nlt_f32_e32 vcc, s6, v5
	v_cndmask_b32_e32 v5, v43, v4, vcc
	v_ldexp_f32 v4, v15, v16
	v_cmp_ngt_f32_e32 vcc, s7, v14
	v_cndmask_b32_e32 v4, 0, v4, vcc
	v_cmp_nlt_f32_e32 vcc, s6, v14
	v_max_f32_e32 v14, v6, v6
	v_max_f32_e32 v14, v14, v17
	v_sub_f32_e32 v6, v6, v14
	v_mul_f32_e32 v15, 0x3fb8aa3b, v6
	v_fma_f32 v16, v6, s8, -v15
	v_rndne_f32_e32 v18, v15
	v_cndmask_b32_e32 v4, v43, v4, vcc
	v_fmac_f32_e32 v16, 0x32a5705f, v6
	v_sub_f32_e32 v15, v15, v18
	v_fmac_f32_e32 v4, v21, v5
	v_cvt_f16_f32_e32 v5, v5
	v_add_f32_e32 v15, v15, v16
	v_exp_f32_e32 v15, v15
	v_cvt_i32_f32_e32 v16, v18
	v_mul_u32_u24_e32 v5, 0x10001, v5
	v_pk_mul_f16 v57, v57, v5
	v_pk_mul_f16 v58, v58, v5
	v_ldexp_f32 v5, v15, v16
	v_sub_f32_e32 v15, v44, v14
	v_mul_f32_e32 v16, 0x3fb8aa3b, v15
	v_fma_f32 v18, v15, s8, -v16
	v_rndne_f32_e32 v19, v16
	v_fmac_f32_e32 v18, 0x32a5705f, v15
	v_sub_f32_e32 v16, v16, v19
	v_add_f32_e32 v16, v16, v18
	v_exp_f32_e32 v16, v16
	v_cvt_i32_f32_e32 v18, v19
	v_cmp_ngt_f32_e32 vcc, s7, v6
	v_cndmask_b32_e32 v5, 0, v5, vcc
	v_cmp_nlt_f32_e32 vcc, s6, v6
	v_cndmask_b32_e32 v6, v43, v5, vcc
	v_ldexp_f32 v5, v16, v18
	v_cmp_ngt_f32_e32 vcc, s7, v15
	v_cndmask_b32_e32 v5, 0, v5, vcc
	v_cmp_nlt_f32_e32 vcc, s6, v15
	v_max_f32_e32 v15, v7, v7
	v_max_f32_e32 v15, v15, v17
	v_sub_f32_e32 v7, v7, v15
	v_mul_f32_e32 v16, 0x3fb8aa3b, v7
	;; [unrolled: 35-line block ×4, first 2 shown]
	v_fma_f32 v19, v9, s8, -v18
	v_rndne_f32_e32 v20, v18
	v_cndmask_b32_e32 v7, v43, v7, vcc
	v_fmac_f32_e32 v19, 0x32a5705f, v9
	v_sub_f32_e32 v18, v18, v20
	v_fmac_f32_e32 v7, v24, v8
	v_cvt_f16_f32_e32 v8, v8
	v_add_f32_e32 v18, v18, v19
	v_exp_f32_e32 v18, v18
	v_cvt_i32_f32_e32 v19, v20
	v_mul_u32_u24_e32 v8, 0x10001, v8
	v_pk_mul_f16 v51, v51, v8
	v_pk_mul_f16 v52, v52, v8
	v_ldexp_f32 v8, v18, v19
	v_sub_f32_e32 v18, v44, v17
	v_mul_f32_e32 v19, 0x3fb8aa3b, v18
	v_fma_f32 v20, v18, s8, -v19
	v_rndne_f32_e32 v21, v19
	v_fmac_f32_e32 v20, 0x32a5705f, v18
	v_sub_f32_e32 v19, v19, v21
	v_add_f32_e32 v19, v19, v20
	v_exp_f32_e32 v19, v19
	v_cvt_i32_f32_e32 v20, v21
	v_cmp_ngt_f32_e32 vcc, s7, v9
	v_cndmask_b32_e32 v8, 0, v8, vcc
	v_cmp_nlt_f32_e32 vcc, s6, v9
	v_cndmask_b32_e32 v9, v43, v8, vcc
	v_ldexp_f32 v8, v19, v20
	v_cmp_ngt_f32_e32 vcc, s7, v18
	v_cvt_f16_f32_e32 v19, v9
	v_cndmask_b32_e32 v8, 0, v8, vcc
	v_cmp_nlt_f32_e32 vcc, s6, v18
	v_cndmask_b32_e32 v8, v43, v8, vcc
	v_fmac_f32_e32 v8, v25, v9
	v_mul_u32_u24_e32 v9, 0x10001, v19
	v_mov_b32_e32 v25, v8
	v_pk_mul_f16 v50, v50, v9
	v_pk_mul_f16 v49, v49, v9
	v_mov_b32_e32 v24, v7
	v_mov_b32_e32 v23, v6
	;; [unrolled: 1-line block ×7, first 2 shown]
	v_cmp_gt_i32_e32 vcc, s30, v41
	s_and_saveexec_b64 s[6:7], vcc
	s_cbranch_execnz .LBB86_266
	s_branch .LBB86_305
.LBB86_265:
	v_mov_b32_e32 v1, v18
	v_mov_b32_e32 v2, v19
	;; [unrolled: 1-line block ×8, first 2 shown]
	v_cmp_gt_i32_e32 vcc, s30, v41
	s_and_saveexec_b64 s[6:7], vcc
	s_cbranch_execz .LBB86_305
.LBB86_266:
	s_load_dword s8, s[4:5], 0xd4
	v_mov_b32_e32 v9, 1.0
	s_waitcnt lgkmcnt(0)
	s_cmp_lg_u32 s8, 1
	s_cselect_b64 s[6:7], -1, 0
	s_cmp_eq_u32 s8, 1
	s_cselect_b64 s[10:11], -1, 0
	s_and_b64 vcc, exec, s[6:7]
	s_cbranch_vccnz .LBB86_268
; %bb.267:
	v_div_scale_f32 v9, s[4:5], v1, v1, 1.0
	v_div_scale_f32 v26, vcc, 1.0, v1, 1.0
	v_rcp_f32_e32 v27, v9
	v_fma_f32 v28, -v9, v27, 1.0
	v_fmac_f32_e32 v27, v28, v27
	v_mul_f32_e32 v28, v26, v27
	v_fma_f32 v29, -v9, v28, v26
	v_fmac_f32_e32 v28, v29, v27
	v_fma_f32 v9, -v9, v28, v26
	v_div_fmas_f32 v9, v9, v27, v28
	v_div_fixup_f32 v9, v9, v1, 1.0
.LBB86_268:
	s_mul_i32 s12, s33, s30
	s_add_i32 s12, s12, s18
	v_add_u32_e32 v1, s12, v39
	v_mul_lo_u32 v1, v1, s31
	v_cmp_eq_u32_e32 vcc, 0, v0
	v_mov_b32_e32 v31, 0
	v_cvt_f32_f16_e32 v26, v71
	v_add_u32_e32 v0, s34, v1
	v_mul_lo_u32 v0, s8, v0
	v_cvt_f32_f16_sdwa v1, v71 dst_sel:DWORD dst_unused:UNUSED_PAD src0_sel:WORD_1
	v_cvt_f32_f16_e32 v28, v72
	v_cvt_f32_f16_sdwa v29, v72 dst_sel:DWORD dst_unused:UNUSED_PAD src0_sel:WORD_1
	v_add_u32_e32 v0, s9, v0
	v_lshl_add_u32 v30, v0, 7, v114
	v_lshlrev_b64 v[30:31], 2, v[30:31]
	v_mul_f32_e32 v27, v9, v1
	v_mov_b32_e32 v1, s25
	v_add_co_u32_e64 v30, s[4:5], s24, v30
	v_mul_f32_e32 v26, v9, v26
	v_mul_f32_e32 v28, v9, v28
	;; [unrolled: 1-line block ×3, first 2 shown]
	v_addc_co_u32_e64 v31, s[4:5], v1, v31, s[4:5]
	s_and_b64 s[6:7], vcc, s[6:7]
	global_store_dwordx4 v[30:31], v[26:29], off
	s_and_saveexec_b64 s[4:5], s[6:7]
	s_cbranch_execz .LBB86_270
; %bb.269:
	v_ashrrev_i32_e32 v1, 31, v0
	v_lshlrev_b64 v[0:1], 3, v[0:1]
	v_mov_b32_e32 v9, s27
	v_add_co_u32_e32 v0, vcc, s26, v0
	v_addc_co_u32_e32 v1, vcc, v9, v1, vcc
	v_mov_b32_e32 v9, v10
	v_mov_b32_e32 v10, v18
	global_store_dwordx2 v[0:1], v[9:10], off
.LBB86_270:
	s_or_b64 exec, exec, s[4:5]
	v_cmp_gt_i32_e32 vcc, s30, v38
	s_and_b64 exec, exec, vcc
	s_cbranch_execz .LBB86_305
; %bb.271:
	v_cndmask_b32_e64 v0, 0, 1, s[10:11]
	v_cmp_ne_u32_e64 s[4:5], 1, v0
	s_andn2_b64 vcc, exec, s[10:11]
	v_mov_b32_e32 v1, 1.0
	s_cbranch_vccnz .LBB86_273
; %bb.272:
	v_div_scale_f32 v0, s[10:11], v2, v2, 1.0
	v_div_scale_f32 v1, vcc, 1.0, v2, 1.0
	v_rcp_f32_e32 v9, v0
	v_fma_f32 v10, -v0, v9, 1.0
	v_fmac_f32_e32 v9, v10, v9
	v_mul_f32_e32 v10, v1, v9
	v_fma_f32 v18, -v0, v10, v1
	v_fmac_f32_e32 v10, v18, v9
	v_fma_f32 v0, -v0, v10, v1
	v_div_fmas_f32 v0, v0, v9, v10
	v_div_fixup_f32 v1, v0, v2, 1.0
.LBB86_273:
	v_add_u32_e32 v0, s12, v120
	v_mul_lo_u32 v0, v0, s31
	v_cvt_f32_f16_e32 v2, v62
	v_cvt_f32_f16_sdwa v18, v62 dst_sel:DWORD dst_unused:UNUSED_PAD src0_sel:WORD_1
	v_cvt_f32_f16_e32 v28, v63
	v_add_u32_e32 v0, s34, v0
	v_mul_lo_u32 v0, s8, v0
	v_cvt_f32_f16_sdwa v29, v63 dst_sel:DWORD dst_unused:UNUSED_PAD src0_sel:WORD_1
	v_mov_b32_e32 v10, 0
	v_mul_f32_e32 v26, v1, v2
	v_add_u32_e32 v0, s9, v0
	v_lshl_add_u32 v9, v0, 7, v114
	v_mul_f32_e32 v27, v1, v18
	v_mul_f32_e32 v28, v1, v28
	v_mul_f32_e32 v29, v1, v29
	v_lshlrev_b64 v[1:2], 2, v[9:10]
	v_mov_b32_e32 v9, s25
	v_add_co_u32_e32 v1, vcc, s24, v1
	v_addc_co_u32_e32 v2, vcc, v9, v2, vcc
	global_store_dwordx4 v[1:2], v[26:29], off
	s_and_saveexec_b64 s[10:11], s[6:7]
	s_cbranch_execz .LBB86_275
; %bb.274:
	v_ashrrev_i32_e32 v1, 31, v0
	v_lshlrev_b64 v[0:1], 3, v[0:1]
	v_mov_b32_e32 v2, s27
	v_add_co_u32_e32 v0, vcc, s26, v0
	v_addc_co_u32_e32 v1, vcc, v2, v1, vcc
	v_mov_b32_e32 v18, v11
	global_store_dwordx2 v[0:1], v[18:19], off
.LBB86_275:
	s_or_b64 exec, exec, s[10:11]
	v_cmp_gt_i32_e32 vcc, s30, v40
	s_and_b64 exec, exec, vcc
	s_cbranch_execz .LBB86_305
; %bb.276:
	s_and_b64 vcc, exec, s[4:5]
	v_mov_b32_e32 v1, 1.0
	s_cbranch_vccnz .LBB86_278
; %bb.277:
	v_div_scale_f32 v0, s[10:11], v3, v3, 1.0
	v_div_scale_f32 v1, vcc, 1.0, v3, 1.0
	v_rcp_f32_e32 v2, v0
	v_fma_f32 v9, -v0, v2, 1.0
	v_fmac_f32_e32 v2, v9, v2
	v_mul_f32_e32 v9, v1, v2
	v_fma_f32 v10, -v0, v9, v1
	v_fmac_f32_e32 v9, v10, v2
	v_fma_f32 v0, -v0, v9, v1
	v_div_fmas_f32 v0, v0, v2, v9
	v_div_fixup_f32 v1, v0, v3, 1.0
.LBB86_278:
	v_add_u32_e32 v0, s12, v118
	v_mul_lo_u32 v0, v0, s31
	v_cvt_f32_f16_e32 v2, v59
	v_cvt_f32_f16_sdwa v9, v59 dst_sel:DWORD dst_unused:UNUSED_PAD src0_sel:WORD_1
	v_cvt_f32_f16_e32 v10, v60
	v_add_u32_e32 v0, s34, v0
	v_mul_lo_u32 v0, s8, v0
	v_cvt_f32_f16_sdwa v11, v60 dst_sel:DWORD dst_unused:UNUSED_PAD src0_sel:WORD_1
	v_mov_b32_e32 v3, 0
	v_mul_f32_e32 v26, v1, v2
	v_add_u32_e32 v0, s9, v0
	v_lshl_add_u32 v2, v0, 7, v114
	v_mul_f32_e32 v27, v1, v9
	v_mul_f32_e32 v28, v1, v10
	v_mul_f32_e32 v29, v1, v11
	v_lshlrev_b64 v[1:2], 2, v[2:3]
	v_mov_b32_e32 v3, s25
	v_add_co_u32_e32 v1, vcc, s24, v1
	v_addc_co_u32_e32 v2, vcc, v3, v2, vcc
	global_store_dwordx4 v[1:2], v[26:29], off
	s_and_saveexec_b64 s[10:11], s[6:7]
	s_cbranch_execz .LBB86_280
; %bb.279:
	v_ashrrev_i32_e32 v1, 31, v0
	v_lshlrev_b64 v[0:1], 3, v[0:1]
	v_mov_b32_e32 v2, s27
	v_add_co_u32_e32 v0, vcc, s26, v0
	v_addc_co_u32_e32 v1, vcc, v2, v1, vcc
	v_mov_b32_e32 v19, v12
	global_store_dwordx2 v[0:1], v[19:20], off
.LBB86_280:
	s_or_b64 exec, exec, s[10:11]
	v_cmp_gt_i32_e32 vcc, s30, v119
	s_and_b64 exec, exec, vcc
	s_cbranch_execz .LBB86_305
; %bb.281:
	s_and_b64 vcc, exec, s[4:5]
	;; [unrolled: 52-line block ×3, first 2 shown]
	v_mov_b32_e32 v1, 1.0
	s_cbranch_vccnz .LBB86_288
; %bb.287:
	v_div_scale_f32 v0, s[10:11], v5, v5, 1.0
	v_div_scale_f32 v1, vcc, 1.0, v5, 1.0
	v_rcp_f32_e32 v2, v0
	v_fma_f32 v3, -v0, v2, 1.0
	v_fmac_f32_e32 v2, v3, v2
	v_mul_f32_e32 v3, v1, v2
	v_fma_f32 v4, -v0, v3, v1
	v_fmac_f32_e32 v3, v4, v2
	v_fma_f32 v0, -v0, v3, v1
	v_div_fmas_f32 v0, v0, v2, v3
	v_div_fixup_f32 v1, v0, v5, 1.0
.LBB86_288:
	v_add_u32_e32 v0, s12, v113
	v_mul_lo_u32 v0, v0, s31
	v_cvt_f32_f16_e32 v2, v55
	v_cvt_f32_f16_sdwa v3, v55 dst_sel:DWORD dst_unused:UNUSED_PAD src0_sel:WORD_1
	v_cvt_f32_f16_e32 v4, v56
	v_add_u32_e32 v0, s34, v0
	v_mul_lo_u32 v0, s8, v0
	v_cvt_f32_f16_sdwa v5, v56 dst_sel:DWORD dst_unused:UNUSED_PAD src0_sel:WORD_1
	v_mov_b32_e32 v10, 0
	v_mul_f32_e32 v2, v1, v2
	v_add_u32_e32 v0, s9, v0
	v_lshl_add_u32 v9, v0, 7, v114
	v_lshlrev_b64 v[9:10], 2, v[9:10]
	v_mul_f32_e32 v3, v1, v3
	v_mul_f32_e32 v4, v1, v4
	v_mul_f32_e32 v5, v1, v5
	v_mov_b32_e32 v1, s25
	v_add_co_u32_e32 v9, vcc, s24, v9
	v_addc_co_u32_e32 v10, vcc, v1, v10, vcc
	global_store_dwordx4 v[9:10], v[2:5], off
	s_and_saveexec_b64 s[10:11], s[6:7]
	s_cbranch_execz .LBB86_290
; %bb.289:
	v_ashrrev_i32_e32 v1, 31, v0
	v_lshlrev_b64 v[0:1], 3, v[0:1]
	v_mov_b32_e32 v2, s27
	v_add_co_u32_e32 v0, vcc, s26, v0
	v_addc_co_u32_e32 v1, vcc, v2, v1, vcc
	v_mov_b32_e32 v21, v14
	global_store_dwordx2 v[0:1], v[21:22], off
.LBB86_290:
	s_or_b64 exec, exec, s[10:11]
	v_cmp_gt_i32_e32 vcc, s30, v115
	s_and_b64 exec, exec, vcc
	s_cbranch_execz .LBB86_305
; %bb.291:
	s_and_b64 vcc, exec, s[4:5]
	v_mov_b32_e32 v1, 1.0
	s_cbranch_vccnz .LBB86_293
; %bb.292:
	v_div_scale_f32 v0, s[10:11], v6, v6, 1.0
	v_div_scale_f32 v1, vcc, 1.0, v6, 1.0
	v_rcp_f32_e32 v2, v0
	v_fma_f32 v3, -v0, v2, 1.0
	v_fmac_f32_e32 v2, v3, v2
	v_mul_f32_e32 v3, v1, v2
	v_fma_f32 v4, -v0, v3, v1
	v_fmac_f32_e32 v3, v4, v2
	v_fma_f32 v0, -v0, v3, v1
	v_div_fmas_f32 v0, v0, v2, v3
	v_div_fixup_f32 v1, v0, v6, 1.0
.LBB86_293:
	v_add_u32_e32 v0, s12, v112
	v_mul_lo_u32 v0, v0, s31
	v_cvt_f32_f16_e32 v2, v53
	v_cvt_f32_f16_sdwa v3, v53 dst_sel:DWORD dst_unused:UNUSED_PAD src0_sel:WORD_1
	v_cvt_f32_f16_e32 v4, v54
	v_add_u32_e32 v0, s34, v0
	v_mul_lo_u32 v0, s8, v0
	v_cvt_f32_f16_sdwa v5, v54 dst_sel:DWORD dst_unused:UNUSED_PAD src0_sel:WORD_1
	v_mov_b32_e32 v10, 0
	v_mul_f32_e32 v2, v1, v2
	v_add_u32_e32 v0, s9, v0
	v_lshl_add_u32 v9, v0, 7, v114
	v_lshlrev_b64 v[9:10], 2, v[9:10]
	v_mul_f32_e32 v3, v1, v3
	v_mul_f32_e32 v4, v1, v4
	v_mul_f32_e32 v5, v1, v5
	v_mov_b32_e32 v1, s25
	v_add_co_u32_e32 v9, vcc, s24, v9
	v_addc_co_u32_e32 v10, vcc, v1, v10, vcc
	global_store_dwordx4 v[9:10], v[2:5], off
	s_and_saveexec_b64 s[10:11], s[6:7]
	s_cbranch_execz .LBB86_295
; %bb.294:
	v_ashrrev_i32_e32 v1, 31, v0
	v_lshlrev_b64 v[0:1], 3, v[0:1]
	v_mov_b32_e32 v2, s27
	v_add_co_u32_e32 v0, vcc, s26, v0
	v_addc_co_u32_e32 v1, vcc, v2, v1, vcc
	v_mov_b32_e32 v22, v15
	global_store_dwordx2 v[0:1], v[22:23], off
.LBB86_295:
	s_or_b64 exec, exec, s[10:11]
	v_cmp_gt_i32_e32 vcc, s30, v111
	s_and_b64 exec, exec, vcc
	s_cbranch_execz .LBB86_305
; %bb.296:
	s_and_b64 vcc, exec, s[4:5]
	;; [unrolled: 52-line block ×3, first 2 shown]
	v_mov_b32_e32 v1, 1.0
	s_cbranch_vccnz .LBB86_303
; %bb.302:
	v_div_scale_f32 v0, s[4:5], v8, v8, 1.0
	v_div_scale_f32 v1, vcc, 1.0, v8, 1.0
	v_rcp_f32_e32 v2, v0
	v_fma_f32 v3, -v0, v2, 1.0
	v_fmac_f32_e32 v2, v3, v2
	v_mul_f32_e32 v3, v1, v2
	v_fma_f32 v4, -v0, v3, v1
	v_fmac_f32_e32 v3, v4, v2
	v_fma_f32 v0, -v0, v3, v1
	v_div_fmas_f32 v0, v0, v2, v3
	v_div_fixup_f32 v1, v0, v8, 1.0
.LBB86_303:
	v_add_u32_e32 v0, s12, v108
	v_mul_lo_u32 v0, v0, s31
	v_cvt_f32_f16_e32 v2, v50
	v_cvt_f32_f16_sdwa v3, v50 dst_sel:DWORD dst_unused:UNUSED_PAD src0_sel:WORD_1
	v_cvt_f32_f16_e32 v4, v49
	v_add_u32_e32 v0, s34, v0
	v_mul_lo_u32 v0, s8, v0
	v_cvt_f32_f16_sdwa v5, v49 dst_sel:DWORD dst_unused:UNUSED_PAD src0_sel:WORD_1
	v_mov_b32_e32 v7, 0
	v_mul_f32_e32 v2, v1, v2
	v_add_u32_e32 v0, s9, v0
	v_lshl_add_u32 v6, v0, 7, v114
	v_lshlrev_b64 v[6:7], 2, v[6:7]
	v_mul_f32_e32 v3, v1, v3
	v_mul_f32_e32 v4, v1, v4
	;; [unrolled: 1-line block ×3, first 2 shown]
	v_mov_b32_e32 v1, s25
	v_add_co_u32_e32 v6, vcc, s24, v6
	v_addc_co_u32_e32 v7, vcc, v1, v7, vcc
	global_store_dwordx4 v[6:7], v[2:5], off
	s_and_b64 exec, exec, s[6:7]
	s_cbranch_execz .LBB86_305
; %bb.304:
	v_ashrrev_i32_e32 v1, 31, v0
	v_lshlrev_b64 v[0:1], 3, v[0:1]
	v_mov_b32_e32 v2, s27
	v_add_co_u32_e32 v0, vcc, s26, v0
	v_addc_co_u32_e32 v1, vcc, v2, v1, vcc
	v_mov_b32_e32 v24, v17
	global_store_dwordx2 v[0:1], v[24:25], off
	s_endpgm
.LBB86_305:
	s_endpgm
	.section	.rodata,"a",@progbits
	.p2align	6, 0x0
	.amdhsa_kernel _ZL15flash_attn_tileILi128ELi128ELi64ELi1ELb1EEvPKcS1_S1_S1_S1_PKiPfP15HIP_vector_typeIfLj2EEffffjfiS5_IjLj3EEiiiiiiiiiiiliiliiiiil
		.amdhsa_group_segment_fixed_size 29696
		.amdhsa_private_segment_fixed_size 48
		.amdhsa_kernarg_size 464
		.amdhsa_user_sgpr_count 8
		.amdhsa_user_sgpr_private_segment_buffer 1
		.amdhsa_user_sgpr_dispatch_ptr 0
		.amdhsa_user_sgpr_queue_ptr 0
		.amdhsa_user_sgpr_kernarg_segment_ptr 1
		.amdhsa_user_sgpr_dispatch_id 0
		.amdhsa_user_sgpr_flat_scratch_init 1
		.amdhsa_user_sgpr_private_segment_size 0
		.amdhsa_uses_dynamic_stack 0
		.amdhsa_system_sgpr_private_segment_wavefront_offset 1
		.amdhsa_system_sgpr_workgroup_id_x 1
		.amdhsa_system_sgpr_workgroup_id_y 1
		.amdhsa_system_sgpr_workgroup_id_z 1
		.amdhsa_system_sgpr_workgroup_info 0
		.amdhsa_system_vgpr_workitem_id 1
		.amdhsa_next_free_vgpr 128
		.amdhsa_next_free_sgpr 96
		.amdhsa_reserve_vcc 1
		.amdhsa_reserve_flat_scratch 1
		.amdhsa_float_round_mode_32 0
		.amdhsa_float_round_mode_16_64 0
		.amdhsa_float_denorm_mode_32 3
		.amdhsa_float_denorm_mode_16_64 3
		.amdhsa_dx10_clamp 1
		.amdhsa_ieee_mode 1
		.amdhsa_fp16_overflow 0
		.amdhsa_exception_fp_ieee_invalid_op 0
		.amdhsa_exception_fp_denorm_src 0
		.amdhsa_exception_fp_ieee_div_zero 0
		.amdhsa_exception_fp_ieee_overflow 0
		.amdhsa_exception_fp_ieee_underflow 0
		.amdhsa_exception_fp_ieee_inexact 0
		.amdhsa_exception_int_div_zero 0
	.end_amdhsa_kernel
	.section	.text._ZL15flash_attn_tileILi128ELi128ELi64ELi1ELb1EEvPKcS1_S1_S1_S1_PKiPfP15HIP_vector_typeIfLj2EEffffjfiS5_IjLj3EEiiiiiiiiiiiliiliiiiil,"axG",@progbits,_ZL15flash_attn_tileILi128ELi128ELi64ELi1ELb1EEvPKcS1_S1_S1_S1_PKiPfP15HIP_vector_typeIfLj2EEffffjfiS5_IjLj3EEiiiiiiiiiiiliiliiiiil,comdat
.Lfunc_end86:
	.size	_ZL15flash_attn_tileILi128ELi128ELi64ELi1ELb1EEvPKcS1_S1_S1_S1_PKiPfP15HIP_vector_typeIfLj2EEffffjfiS5_IjLj3EEiiiiiiiiiiiliiliiiiil, .Lfunc_end86-_ZL15flash_attn_tileILi128ELi128ELi64ELi1ELb1EEvPKcS1_S1_S1_S1_PKiPfP15HIP_vector_typeIfLj2EEffffjfiS5_IjLj3EEiiiiiiiiiiiliiliiiiil
                                        ; -- End function
	.set _ZL15flash_attn_tileILi128ELi128ELi64ELi1ELb1EEvPKcS1_S1_S1_S1_PKiPfP15HIP_vector_typeIfLj2EEffffjfiS5_IjLj3EEiiiiiiiiiiiliiliiiiil.num_vgpr, 128
	.set _ZL15flash_attn_tileILi128ELi128ELi64ELi1ELb1EEvPKcS1_S1_S1_S1_PKiPfP15HIP_vector_typeIfLj2EEffffjfiS5_IjLj3EEiiiiiiiiiiiliiliiiiil.num_agpr, 0
	.set _ZL15flash_attn_tileILi128ELi128ELi64ELi1ELb1EEvPKcS1_S1_S1_S1_PKiPfP15HIP_vector_typeIfLj2EEffffjfiS5_IjLj3EEiiiiiiiiiiiliiliiiiil.numbered_sgpr, 52
	.set _ZL15flash_attn_tileILi128ELi128ELi64ELi1ELb1EEvPKcS1_S1_S1_S1_PKiPfP15HIP_vector_typeIfLj2EEffffjfiS5_IjLj3EEiiiiiiiiiiiliiliiiiil.num_named_barrier, 0
	.set _ZL15flash_attn_tileILi128ELi128ELi64ELi1ELb1EEvPKcS1_S1_S1_S1_PKiPfP15HIP_vector_typeIfLj2EEffffjfiS5_IjLj3EEiiiiiiiiiiiliiliiiiil.private_seg_size, 48
	.set _ZL15flash_attn_tileILi128ELi128ELi64ELi1ELb1EEvPKcS1_S1_S1_S1_PKiPfP15HIP_vector_typeIfLj2EEffffjfiS5_IjLj3EEiiiiiiiiiiiliiliiiiil.uses_vcc, 1
	.set _ZL15flash_attn_tileILi128ELi128ELi64ELi1ELb1EEvPKcS1_S1_S1_S1_PKiPfP15HIP_vector_typeIfLj2EEffffjfiS5_IjLj3EEiiiiiiiiiiiliiliiiiil.uses_flat_scratch, 1
	.set _ZL15flash_attn_tileILi128ELi128ELi64ELi1ELb1EEvPKcS1_S1_S1_S1_PKiPfP15HIP_vector_typeIfLj2EEffffjfiS5_IjLj3EEiiiiiiiiiiiliiliiiiil.has_dyn_sized_stack, 0
	.set _ZL15flash_attn_tileILi128ELi128ELi64ELi1ELb1EEvPKcS1_S1_S1_S1_PKiPfP15HIP_vector_typeIfLj2EEffffjfiS5_IjLj3EEiiiiiiiiiiiliiliiiiil.has_recursion, 0
	.set _ZL15flash_attn_tileILi128ELi128ELi64ELi1ELb1EEvPKcS1_S1_S1_S1_PKiPfP15HIP_vector_typeIfLj2EEffffjfiS5_IjLj3EEiiiiiiiiiiiliiliiiiil.has_indirect_call, 0
	.section	.AMDGPU.csdata,"",@progbits
; Kernel info:
; codeLenInByte = 74228
; TotalNumSgprs: 58
; NumVgprs: 128
; ScratchSize: 48
; MemoryBound: 0
; FloatMode: 240
; IeeeMode: 1
; LDSByteSize: 29696 bytes/workgroup (compile time only)
; SGPRBlocks: 12
; VGPRBlocks: 31
; NumSGPRsForWavesPerEU: 102
; NumVGPRsForWavesPerEU: 128
; Occupancy: 2
; WaveLimiterHint : 0
; COMPUTE_PGM_RSRC2:SCRATCH_EN: 1
; COMPUTE_PGM_RSRC2:USER_SGPR: 8
; COMPUTE_PGM_RSRC2:TRAP_HANDLER: 0
; COMPUTE_PGM_RSRC2:TGID_X_EN: 1
; COMPUTE_PGM_RSRC2:TGID_Y_EN: 1
; COMPUTE_PGM_RSRC2:TGID_Z_EN: 1
; COMPUTE_PGM_RSRC2:TIDIG_COMP_CNT: 1
	.section	.text._ZL15flash_attn_tileILi128ELi128ELi32ELi1ELb1EEvPKcS1_S1_S1_S1_PKiPfP15HIP_vector_typeIfLj2EEffffjfiS5_IjLj3EEiiiiiiiiiiiliiliiiiil,"axG",@progbits,_ZL15flash_attn_tileILi128ELi128ELi32ELi1ELb1EEvPKcS1_S1_S1_S1_PKiPfP15HIP_vector_typeIfLj2EEffffjfiS5_IjLj3EEiiiiiiiiiiiliiliiiiil,comdat
	.globl	_ZL15flash_attn_tileILi128ELi128ELi32ELi1ELb1EEvPKcS1_S1_S1_S1_PKiPfP15HIP_vector_typeIfLj2EEffffjfiS5_IjLj3EEiiiiiiiiiiiliiliiiiil ; -- Begin function _ZL15flash_attn_tileILi128ELi128ELi32ELi1ELb1EEvPKcS1_S1_S1_S1_PKiPfP15HIP_vector_typeIfLj2EEffffjfiS5_IjLj3EEiiiiiiiiiiiliiliiiiil
	.p2align	8
	.type	_ZL15flash_attn_tileILi128ELi128ELi32ELi1ELb1EEvPKcS1_S1_S1_S1_PKiPfP15HIP_vector_typeIfLj2EEffffjfiS5_IjLj3EEiiiiiiiiiiiliiliiiiil,@function
_ZL15flash_attn_tileILi128ELi128ELi32ELi1ELb1EEvPKcS1_S1_S1_S1_PKiPfP15HIP_vector_typeIfLj2EEffffjfiS5_IjLj3EEiiiiiiiiiiiliiliiiiil: ; @_ZL15flash_attn_tileILi128ELi128ELi32ELi1ELb1EEvPKcS1_S1_S1_S1_PKiPfP15HIP_vector_typeIfLj2EEffffjfiS5_IjLj3EEiiiiiiiiiiiliiliiiiil
; %bb.0:
	s_load_dwordx4 s[28:31], s[4:5], 0x5c
	s_load_dwordx2 s[46:47], s[4:5], 0x80
	s_add_u32 flat_scratch_lo, s6, s11
	s_addc_u32 flat_scratch_hi, s7, 0
	s_add_u32 s0, s0, s11
	s_waitcnt lgkmcnt(0)
	v_cvt_f32_u32_e32 v2, s31
	s_addc_u32 s1, s1, 0
	s_sub_i32 s6, 0, s31
	s_load_dwordx2 s[48:49], s[4:5], 0xb8
	v_rcp_iflag_f32_e32 v2, v2
	s_mov_b64 s[44:45], 0
	v_mul_f32_e32 v2, 0x4f7ffffe, v2
	v_cvt_u32_f32_e32 v2, v2
	v_readfirstlane_b32 s7, v2
	s_mul_i32 s6, s6, s7
	s_mul_hi_u32 s6, s7, s6
	s_add_i32 s7, s7, s6
	s_mul_hi_u32 s6, s10, s7
	s_mul_i32 s7, s6, s31
	s_sub_i32 s7, s10, s7
	s_add_i32 s11, s6, 1
	s_sub_i32 s12, s7, s31
	s_cmp_ge_u32 s7, s31
	s_cselect_b32 s6, s11, s6
	s_cselect_b32 s7, s12, s7
	s_add_i32 s11, s6, 1
	s_cmp_ge_u32 s7, s31
	s_cselect_b32 s33, s11, s6
	s_abs_i32 s6, s47
	v_cvt_f32_u32_e32 v2, s6
	s_mul_i32 s12, s33, s31
	s_sub_i32 s13, 0, s6
	s_sub_i32 s34, s10, s12
	v_rcp_iflag_f32_e32 v2, v2
	s_abs_i32 s11, s31
	s_xor_b32 s7, s31, s47
	s_ashr_i32 s7, s7, 31
	v_mul_f32_e32 v2, 0x4f7ffffe, v2
	v_cvt_u32_f32_e32 v2, v2
	v_readfirstlane_b32 s10, v2
	s_mul_i32 s13, s13, s10
	s_mul_hi_u32 s12, s10, s13
	s_add_i32 s10, s10, s12
	s_mul_hi_u32 s10, s11, s10
	s_mul_i32 s12, s10, s6
	s_sub_i32 s11, s11, s12
	s_add_i32 s13, s10, 1
	s_sub_i32 s12, s11, s6
	s_cmp_ge_u32 s11, s6
	s_cselect_b32 s10, s13, s10
	s_cselect_b32 s11, s12, s11
	s_add_i32 s12, s10, 1
	s_cmp_ge_u32 s11, s6
	s_cselect_b32 s6, s12, s10
	s_xor_b32 s6, s6, s7
	s_sub_i32 s51, s6, s7
	s_abs_i32 s47, s51
	v_cvt_f32_u32_e32 v2, s47
	s_load_dwordx16 s[12:27], s[4:5], 0x0
	s_sub_i32 s6, 0, s47
	s_abs_i32 s50, s34
	v_rcp_iflag_f32_e32 v2, v2
	v_mul_f32_e32 v2, 0x4f7ffffe, v2
	v_cvt_u32_f32_e32 v2, v2
	v_readfirstlane_b32 s7, v2
	s_mul_i32 s6, s6, s7
	s_mul_hi_u32 s6, s7, s6
	s_add_i32 s6, s7, s6
	s_waitcnt lgkmcnt(0)
	s_cmp_eq_u64 s[18:19], 0
	s_cbranch_scc1 .LBB87_2
; %bb.1:
	s_abs_i32 s7, s48
	v_cvt_f32_u32_e32 v2, s7
	s_sub_i32 s37, 0, s7
	s_abs_i32 s36, s33
	s_ashr_i32 s35, s33, 31
	v_rcp_iflag_f32_e32 v2, v2
	s_load_dwordx2 s[10:11], s[4:5], 0xc8
	v_mul_f32_e32 v2, 0x4f7ffffe, v2
	v_cvt_u32_f32_e32 v2, v2
	v_readfirstlane_b32 s38, v2
	s_mul_i32 s37, s37, s38
	s_mul_hi_u32 s37, s38, s37
	s_add_i32 s38, s38, s37
	s_mul_hi_u32 s37, s36, s38
	s_mul_i32 s37, s37, s7
	s_sub_i32 s36, s36, s37
	s_sub_i32 s37, s36, s7
	s_cmp_ge_u32 s36, s7
	s_cselect_b32 s36, s37, s36
	s_sub_i32 s37, s36, s7
	s_cmp_ge_u32 s36, s7
	s_cselect_b32 s7, s37, s36
	s_xor_b32 s7, s7, s35
	s_sub_i32 s7, s7, s35
	s_ashr_i32 s35, s7, 31
	s_waitcnt lgkmcnt(0)
	s_mul_hi_u32 s36, s10, s7
	s_mul_i32 s35, s10, s35
	s_mul_i32 s11, s11, s7
	s_add_i32 s35, s36, s35
	s_add_i32 s35, s35, s11
	s_mul_i32 s7, s10, s7
	s_add_u32 s44, s18, s7
	s_addc_u32 s45, s19, s35
.LBB87_2:
	s_load_dwordx4 s[36:39], s[4:5], 0x40
	s_load_dwordx2 s[18:19], s[4:5], 0x50
	s_mul_hi_u32 s48, s50, s6
	v_mov_b32_e32 v26, 1.0
	s_waitcnt lgkmcnt(0)
	v_cmp_le_f32_e64 s[6:7], s37, 0
	s_and_b64 vcc, exec, s[6:7]
	s_cbranch_vccnz .LBB87_4
; %bb.3:
	v_mov_b32_e32 v2, s18
	v_sub_co_u32_e32 v2, vcc, s34, v2
	v_mov_b32_e32 v3, s39
	v_mov_b32_e32 v4, s38
	s_add_i32 s6, s34, 1
	v_lshlrev_b32_e32 v2, 1, v2
	v_cndmask_b32_e32 v3, v3, v4, vcc
	v_or_b32_e32 v2, 1, v2
	v_mov_b32_e32 v4, s6
	v_cndmask_b32_e32 v2, v2, v4, vcc
	v_cvt_f32_i32_e32 v2, v2
	v_cmp_neq_f32_e32 vcc, 1.0, v3
	s_mov_b32 s6, 0x3f2aaaab
	s_movk_i32 s10, 0x204
	v_cndmask_b32_e32 v4, 1.0, v2, vcc
	v_cmp_neq_f32_e32 vcc, 0, v4
	v_cndmask_b32_e32 v5, 1.0, v3, vcc
	v_frexp_mant_f32_e64 v2, |v5|
	v_cmp_gt_f32_e32 vcc, s6, v2
	v_cndmask_b32_e64 v3, 1.0, 2.0, vcc
	v_mul_f32_e32 v2, v2, v3
	v_add_f32_e32 v3, 1.0, v2
	v_rcp_f32_e32 v6, v3
	v_add_f32_e32 v7, -1.0, v2
	v_add_f32_e32 v8, -1.0, v3
	v_sub_f32_e32 v2, v2, v8
	v_mul_f32_e32 v8, v7, v6
	v_mul_f32_e32 v9, v3, v8
	v_fma_f32 v3, v8, v3, -v9
	v_fmac_f32_e32 v3, v8, v2
	v_add_f32_e32 v2, v9, v3
	v_sub_f32_e32 v10, v7, v2
	v_sub_f32_e32 v9, v2, v9
	;; [unrolled: 1-line block ×5, first 2 shown]
	v_add_f32_e32 v2, v3, v2
	v_add_f32_e32 v2, v10, v2
	v_mul_f32_e32 v2, v6, v2
	v_add_f32_e32 v6, v8, v2
	v_sub_f32_e32 v3, v6, v8
	v_sub_f32_e32 v7, v2, v3
	v_mul_f32_e32 v2, v6, v6
	v_fma_f32 v3, v6, v6, -v2
	v_add_f32_e32 v8, v7, v7
	v_fmac_f32_e32 v3, v6, v8
	v_add_f32_e32 v8, v2, v3
	v_mov_b32_e32 v9, 0x3e91f4c4
	v_sub_f32_e32 v2, v8, v2
	v_fmac_f32_e32 v9, 0x3e76c4e1, v8
	v_mov_b32_e32 v10, 0x3ecccdef
	v_sub_f32_e32 v2, v3, v2
	v_mul_f32_e32 v3, v6, v8
	v_fmac_f32_e32 v10, v8, v9
	v_fma_f32 v9, v8, v6, -v3
	v_fmac_f32_e32 v9, v8, v7
	v_fmac_f32_e32 v9, v2, v6
	v_add_f32_e32 v11, v3, v9
	v_sub_f32_e32 v3, v11, v3
	v_sub_f32_e32 v9, v9, v3
	v_mul_f32_e32 v3, v8, v10
	v_fma_f32 v8, v8, v10, -v3
	v_fmac_f32_e32 v8, v2, v10
	v_add_f32_e32 v10, v3, v8
	v_sub_f32_e32 v2, v10, v3
	v_sub_f32_e32 v8, v8, v2
	v_cvt_f64_f32_e64 v[2:3], |v5|
	v_add_f32_e32 v12, 0x3f2aaaaa, v10
	v_add_f32_e32 v13, 0xbf2aaaaa, v12
	;; [unrolled: 1-line block ×3, first 2 shown]
	v_frexp_exp_i32_f64_e32 v2, v[2:3]
	v_sub_f32_e32 v10, v10, v13
	v_add_f32_e32 v3, v8, v10
	v_add_f32_e32 v8, v12, v3
	v_sub_f32_e32 v10, v12, v8
	v_add_f32_e32 v3, v3, v10
	v_mul_f32_e32 v10, v11, v8
	v_fma_f32 v12, v11, v8, -v10
	v_subbrev_co_u32_e32 v2, vcc, 0, v2, vcc
	v_cvt_f32_i32_e32 v2, v2
	v_fmac_f32_e32 v12, v11, v3
	s_mov_b32 s6, 0x3f317218
	v_fmac_f32_e32 v12, v9, v8
	v_mul_f32_e32 v3, 0x3f317218, v2
	v_fma_f32 v8, v2, s6, -v3
	v_fmac_f32_e32 v8, 0xb102e308, v2
	v_ldexp_f32 v2, v7, 1
	v_add_f32_e32 v7, v3, v8
	v_sub_f32_e32 v3, v7, v3
	v_ldexp_f32 v6, v6, 1
	v_sub_f32_e32 v3, v8, v3
	v_add_f32_e32 v8, v10, v12
	v_sub_f32_e32 v9, v8, v10
	v_add_f32_e32 v10, v6, v8
	v_sub_f32_e32 v9, v12, v9
	v_sub_f32_e32 v6, v10, v6
	;; [unrolled: 1-line block ×3, first 2 shown]
	v_add_f32_e32 v2, v2, v9
	v_add_f32_e32 v2, v2, v6
	;; [unrolled: 1-line block ×3, first 2 shown]
	v_sub_f32_e32 v8, v6, v10
	v_sub_f32_e32 v2, v2, v8
	v_add_f32_e32 v8, v7, v6
	v_sub_f32_e32 v9, v8, v7
	v_sub_f32_e32 v10, v8, v9
	;; [unrolled: 1-line block ×4, first 2 shown]
	v_add_f32_e32 v6, v6, v7
	v_add_f32_e32 v7, v3, v2
	v_sub_f32_e32 v9, v7, v3
	v_sub_f32_e32 v10, v7, v9
	;; [unrolled: 1-line block ×4, first 2 shown]
	v_add_f32_e32 v2, v2, v3
	v_add_f32_e32 v3, v7, v6
	;; [unrolled: 1-line block ×3, first 2 shown]
	v_sub_f32_e32 v7, v6, v8
	v_sub_f32_e32 v3, v3, v7
	v_add_f32_e32 v2, v2, v3
	v_add_f32_e32 v3, v6, v2
	v_sub_f32_e32 v6, v3, v6
	v_sub_f32_e32 v2, v2, v6
	v_mul_f32_e32 v6, v4, v3
	v_fma_f32 v3, v4, v3, -v6
	v_fmac_f32_e32 v3, v4, v2
	v_add_f32_e32 v2, v6, v3
	v_cmp_class_f32_e64 vcc, v6, s10
	v_sub_f32_e32 v7, v2, v6
	v_cndmask_b32_e32 v2, v2, v6, vcc
	s_mov_b32 s7, 0x42b17218
	v_mov_b32_e32 v6, 0x37000000
	v_cmp_eq_f32_e32 vcc, s7, v2
	v_cndmask_b32_e32 v6, 0, v6, vcc
	v_sub_f32_e32 v3, v3, v7
	v_sub_f32_e32 v7, v2, v6
	s_mov_b32 s11, 0x3fb8aa3b
	v_mul_f32_e32 v8, 0x3fb8aa3b, v7
	v_fma_f32 v9, v7, s11, -v8
	v_rndne_f32_e32 v10, v8
	v_fmac_f32_e32 v9, 0x32a5705f, v7
	v_sub_f32_e32 v8, v8, v10
	v_add_f32_e32 v8, v8, v9
	v_exp_f32_e32 v8, v8
	v_cvt_i32_f32_e32 v9, v10
	s_mov_b32 s6, 0x7f800000
	v_cmp_neq_f32_e64 vcc, |v2|, s6
	s_mov_b32 s6, 0xc2ce8ed0
	v_cndmask_b32_e32 v2, 0, v3, vcc
	v_ldexp_f32 v3, v8, v9
	v_cmp_ngt_f32_e32 vcc, s6, v7
	v_add_f32_e32 v2, v6, v2
	v_cndmask_b32_e32 v3, 0, v3, vcc
	v_mov_b32_e32 v6, 0x7f800000
	v_cmp_nlt_f32_e32 vcc, s7, v7
	v_cndmask_b32_e32 v3, v6, v3, vcc
	v_fma_f32 v2, v3, v2, v3
	v_cmp_class_f32_e64 vcc, v3, s10
	v_cndmask_b32_e32 v2, v2, v3, vcc
	v_trunc_f32_e32 v3, v4
	v_cmp_eq_f32_e32 vcc, v3, v4
	v_mul_f32_e32 v3, 0.5, v4
	v_trunc_f32_e32 v8, v3
	v_cmp_neq_f32_e64 s[6:7], v8, v3
	s_and_b64 s[6:7], vcc, s[6:7]
	v_cndmask_b32_e64 v3, 1.0, v5, s[6:7]
	s_brev_b32 s18, -2
	v_mov_b32_e32 v7, 0x7fc00000
	v_bfi_b32 v2, s18, v2, v3
	v_cndmask_b32_e32 v3, v7, v2, vcc
	v_cmp_gt_f32_e32 vcc, 0, v5
	v_cndmask_b32_e32 v2, v2, v3, vcc
	v_cmp_class_f32_e64 s[38:39], v5, s10
	v_cmp_eq_f32_e32 vcc, 0, v5
	v_cmp_gt_f32_e64 s[10:11], 0, v4
	s_xor_b64 s[10:11], s[10:11], vcc
	v_cndmask_b32_e64 v3, v6, 0, s[10:11]
	v_cndmask_b32_e64 v4, 0, v5, s[6:7]
	v_bfi_b32 v3, s18, v3, v4
	s_or_b64 vcc, vcc, s[38:39]
	v_cndmask_b32_e32 v2, v2, v3, vcc
	v_cmp_o_f32_e32 vcc, v5, v5
	v_cndmask_b32_e32 v26, v7, v2, vcc
.LBB87_4:
	s_lshl_b32 s18, s8, 5
	v_lshlrev_b32_e32 v20, 2, v1
	s_load_dwordx4 s[40:43], s[4:5], 0x70
	v_add_u32_e32 v22, s18, v20
	v_mul_hi_u32 v2, v22, s28
	s_ashr_i32 s35, s34, 31
	s_ashr_i32 s10, s51, 31
	s_waitcnt lgkmcnt(0)
	s_mul_i32 s6, s33, s42
	v_add_u32_e32 v2, v22, v2
	s_ashr_i32 s7, s6, 31
	v_lshrrev_b32_e32 v2, s29, v2
	s_add_u32 s6, s12, s6
	s_mul_i32 s11, s34, s41
	v_mul_lo_u32 v2, v2, s30
	s_addc_u32 s7, s13, s7
	s_ashr_i32 s12, s11, 31
	s_add_u32 s11, s6, s11
	s_addc_u32 s37, s7, s12
	s_ashr_i32 s41, s40, 31
	s_lshr_b64 s[6:7], s[40:41], 2
	v_sub_u32_e32 v2, v22, v2
	v_or_b32_e32 v19, 1, v20
	v_mad_u64_u32 v[3:4], s[12:13], s6, v2, 0
	v_add_u32_e32 v21, s18, v19
	v_mul_hi_u32 v8, v21, s28
	v_mov_b32_e32 v7, s37
	s_lshr_b32 s37, s41, 2
	v_mad_u64_u32 v[4:5], s[12:13], s37, v2, v[4:5]
	v_add_u32_e32 v5, v21, v8
	v_lshrrev_b32_e32 v5, s29, v5
	v_mul_lo_u32 v5, v5, s30
	v_lshlrev_b32_e32 v6, 4, v0
	v_add_co_u32_e32 v18, vcc, s11, v6
	v_sub_u32_e32 v6, v21, v5
	v_addc_co_u32_e32 v25, vcc, 0, v7, vcc
	v_mad_u64_u32 v[7:8], s[12:13], s6, v6, 0
	v_or_b32_e32 v16, 2, v20
	v_add_u32_e32 v17, s18, v16
	v_mov_b32_e32 v5, v8
	v_mad_u64_u32 v[8:9], s[12:13], s37, v6, v[5:6]
	v_mul_hi_u32 v9, v17, s28
	v_or_b32_e32 v14, 3, v20
	v_add_u32_e32 v15, s18, v14
	v_mul_hi_u32 v23, v15, s28
	v_add_u32_e32 v9, v17, v9
	v_lshrrev_b32_e32 v9, s29, v9
	v_mul_lo_u32 v11, v9, s30
	v_lshlrev_b64 v[3:4], 2, v[3:4]
	v_lshlrev_b64 v[7:8], 2, v[7:8]
	v_add_co_u32_e32 v3, vcc, v18, v3
	v_sub_u32_e32 v13, v17, v11
	v_mad_u64_u32 v[11:12], s[12:13], s6, v13, 0
	v_addc_co_u32_e32 v4, vcc, v25, v4, vcc
	v_mad_u64_u32 v[12:13], s[12:13], s37, v13, v[12:13]
	v_add_u32_e32 v13, v15, v23
	v_lshrrev_b32_e32 v13, s29, v13
	v_mul_lo_u32 v13, v13, s30
	global_load_dwordx4 v[3:6], v[3:4], off
	v_add_co_u32_e32 v7, vcc, v18, v7
	v_sub_u32_e32 v13, v15, v13
	v_lshlrev_b64 v[11:12], 2, v[11:12]
	v_mad_u64_u32 v[23:24], s[6:7], s6, v13, 0
	v_addc_co_u32_e32 v8, vcc, v25, v8, vcc
	v_add_co_u32_e32 v11, vcc, v18, v11
	v_addc_co_u32_e32 v12, vcc, v25, v12, vcc
	global_load_dwordx4 v[7:10], v[7:8], off
	v_lshlrev_b32_e32 v39, 10, v1
	global_load_dwordx4 v[27:30], v[11:12], off
	v_mov_b32_e32 v11, v24
	v_mad_u64_u32 v[11:12], s[6:7], s37, v13, v[11:12]
	v_mov_b32_e32 v43, 0
	s_cmp_eq_u64 s[22:23], 0
	v_mov_b32_e32 v24, v11
	v_lshlrev_b64 v[11:12], 2, v[23:24]
	v_lshlrev_b32_e32 v23, 3, v0
	v_add_co_u32_e32 v11, vcc, v18, v11
	v_addc_co_u32_e32 v12, vcc, v25, v12, vcc
	global_load_dwordx4 v[31:34], v[11:12], off
	v_add_u32_e32 v11, 0x2400, v23
	v_add_u32_e32 v12, v11, v39
	s_waitcnt vmcnt(3)
	v_fma_mixlo_f16 v3, s36, v3, 0
	v_fma_mixlo_f16 v4, s36, v4, 0
	;; [unrolled: 1-line block ×4, first 2 shown]
	v_lshlrev_b32_e32 v4, 16, v4
	v_and_b32_e32 v3, 0xffff, v3
	v_or_b32_e32 v3, v4, v3
	v_lshlrev_b32_e32 v4, 16, v6
	v_and_b32_e32 v5, 0xffff, v5
	v_or3_b32 v4, v4, v5, 0
	v_or3_b32 v3, 0, 0, v3
	ds_write_b64 v12, v[3:4]
	v_lshl_add_u32 v6, v19, 8, v11
	s_waitcnt vmcnt(2)
	v_fma_mixlo_f16 v3, s36, v7, 0
	v_fma_mixlo_f16 v4, s36, v8, 0
	v_lshlrev_b32_e32 v4, 16, v4
	v_and_b32_e32 v3, 0xffff, v3
	v_or_b32_e32 v3, v4, v3
	v_fma_mixlo_f16 v4, s36, v9, 0
	v_fma_mixlo_f16 v5, s36, v10, 0
	v_lshlrev_b32_e32 v5, 16, v5
	v_and_b32_e32 v4, 0xffff, v4
	v_or3_b32 v4, v5, v4, 0
	v_or3_b32 v3, 0, 0, v3
	ds_write_b64 v6, v[3:4]
	s_waitcnt vmcnt(1)
	v_fma_mixlo_f16 v3, s36, v27, 0
	v_fma_mixlo_f16 v4, s36, v28, 0
	v_lshlrev_b32_e32 v4, 16, v4
	v_and_b32_e32 v3, 0xffff, v3
	v_or_b32_e32 v3, v4, v3
	v_fma_mixlo_f16 v4, s36, v29, 0
	v_fma_mixlo_f16 v5, s36, v30, 0
	v_lshlrev_b32_e32 v5, 16, v5
	v_and_b32_e32 v4, 0xffff, v4
	v_lshl_add_u32 v6, v16, 8, v11
	v_or3_b32 v4, v5, v4, 0
	v_or3_b32 v3, 0, 0, v3
	ds_write_b64 v6, v[3:4]
	s_waitcnt vmcnt(0)
	v_fma_mixlo_f16 v3, s36, v31, 0
	v_fma_mixlo_f16 v4, s36, v32, 0
	v_lshlrev_b32_e32 v4, 16, v4
	v_and_b32_e32 v3, 0xffff, v3
	v_or_b32_e32 v3, v4, v3
	v_fma_mixlo_f16 v4, s36, v33, 0
	v_fma_mixlo_f16 v5, s36, v34, 0
	v_lshlrev_b32_e32 v5, 16, v5
	v_and_b32_e32 v4, 0xffff, v4
	v_lshl_add_u32 v6, v14, 8, v11
	v_or3_b32 v4, v5, v4, 0
	v_or3_b32 v3, 0, 0, v3
	ds_write_b64 v6, v[3:4]
	s_waitcnt lgkmcnt(0)
	s_barrier
	s_cbranch_scc1 .LBB87_6
; %bb.5:
	s_load_dword s6, s[4:5], 0xd0
	s_mov_b32 s7, 0
	s_waitcnt lgkmcnt(0)
	s_mul_i32 s6, s6, s33
	s_add_i32 s6, s6, s8
	s_lshl_b64 s[6:7], s[6:7], 2
	s_add_u32 s6, s22, s6
	s_addc_u32 s7, s23, s7
	s_load_dword s46, s[6:7], 0x0
.LBB87_6:
	s_nop 0
	s_load_dwordx2 s[6:7], s[4:5], 0x8c
	s_load_dwordx4 s[40:43], s[4:5], 0x98
	s_ashr_i32 s23, s49, 1
	s_load_dwordx2 s[12:13], s[4:5], 0xa8
	v_mul_lo_u32 v40, v2, s23
	s_waitcnt lgkmcnt(0)
	s_ashr_i32 s36, s6, 2
	s_ashr_i32 s6, s33, 31
	s_mul_hi_u32 s11, s40, s33
	s_mul_i32 s22, s40, s6
	s_add_i32 s11, s11, s22
	s_mul_i32 s22, s41, s33
	s_ashr_i32 s8, s42, 2
	s_add_i32 s11, s11, s22
	s_mul_i32 s22, s40, s33
	s_add_u32 s14, s14, s22
	s_addc_u32 s11, s15, s11
	s_mul_i32 s15, s48, s47
	s_sub_i32 s15, s50, s15
	s_xor_b32 s10, s35, s10
	s_add_i32 s22, s48, 1
	s_sub_i32 s37, s15, s47
	s_cmp_ge_u32 s15, s47
	s_cselect_b32 s22, s22, s48
	s_cselect_b32 s15, s37, s15
	s_add_i32 s37, s22, 1
	s_cmp_ge_u32 s15, s47
	s_cselect_b32 s15, s37, s22
	s_xor_b32 s15, s15, s10
	s_sub_i32 s10, s15, s10
	s_mul_i32 s7, s10, s7
	s_ashr_i32 s15, s7, 31
	s_add_u32 s37, s14, s7
	s_mul_hi_u32 s7, s12, s33
	s_mul_i32 s6, s12, s6
	s_addc_u32 s38, s11, s15
	s_add_i32 s6, s7, s6
	s_mul_i32 s7, s13, s33
	s_add_i32 s6, s6, s7
	s_mul_i32 s7, s12, s33
	s_add_u32 s7, s16, s7
	s_mul_i32 s10, s10, s43
	s_addc_u32 s6, s17, s6
	s_ashr_i32 s11, s10, 31
	s_add_u32 s16, s7, s10
	v_lshlrev_b32_e32 v18, 2, v0
	s_addc_u32 s17, s6, s11
	s_lshl_b32 s22, s9, 6
	s_sub_i32 s39, s46, 64
	s_cmp_ge_i32 s22, s39
	v_lshrrev_b32_e32 v46, 3, v0
	v_and_b32_e32 v45, 28, v18
	v_or_b32_e32 v36, 1, v22
	v_or_b32_e32 v34, 2, v22
	;; [unrolled: 1-line block ×3, first 2 shown]
	v_lshrrev_b32_e32 v25, 4, v0
	v_and_b32_e32 v24, 60, v18
	v_mbcnt_lo_u32_b32 v38, -1, 0
	s_cbranch_scc1 .LBB87_62
; %bb.7:
	v_mul_hi_u32 v6, s28, v36
	v_mul_hi_u32 v7, s28, v34
	;; [unrolled: 1-line block ×3, first 2 shown]
	v_add_u32_e32 v3, v46, v20
	v_add_u32_e32 v6, v36, v6
	v_lshrrev_b32_e32 v6, s29, v6
	v_add_u32_e32 v7, v34, v7
	v_mul_lo_u32 v6, v6, s30
	v_lshrrev_b32_e32 v7, s29, v7
	v_mul_lo_u32 v7, v7, s30
	v_add_u32_e32 v8, v28, v8
	v_sub_u32_e32 v6, v36, v6
	v_lshrrev_b32_e32 v8, s29, v8
	v_mul_lo_u32 v8, v8, s30
	v_mul_lo_u32 v51, v6, s23
	v_sub_u32_e32 v6, v34, v7
	v_lshl_add_u32 v7, v1, 1, v25
	v_mul_lo_u32 v2, s36, v3
	v_mul_lo_u32 v10, s8, v7
	v_lshlrev_b32_e32 v4, 2, v45
	s_movk_i32 s6, 0x90
	v_mul_lo_u32 v52, v6, s23
	v_sub_u32_e32 v6, v28, v8
	v_mad_u32_u24 v47, v3, s6, v4
	v_lshl_add_u32 v4, s36, 5, v2
	v_mul_lo_u32 v53, v6, s23
	v_mov_b32_e32 v6, 0x4400
	v_lshl_add_u32 v12, s8, 4, v10
	v_ashrrev_i32_e32 v3, 31, v2
	v_ashrrev_i32_e32 v5, 31, v4
	s_cmp_lg_u64 s[44:45], 0
	v_lshl_add_u32 v54, v1, 9, v6
	v_lshlrev_b32_e32 v6, 2, v24
	v_ashrrev_i32_e32 v11, 31, v10
	v_ashrrev_i32_e32 v13, 31, v12
	s_cselect_b64 s[10:11], -1, 0
	v_lshl_or_b32 v55, v7, 8, v6
	s_add_u32 s12, s4, 0xd0
	v_lshlrev_b64 v[6:7], 2, v[2:3]
	v_lshlrev_b64 v[8:9], 2, v[4:5]
	;; [unrolled: 1-line block ×4, first 2 shown]
	v_mov_b32_e32 v27, 0
	v_add_u32_e32 v48, 0x1200, v47
	v_add_u32_e32 v49, 0x2400, v39
	v_mul_u32_u24_e32 v50, 0x90, v0
	v_add_u32_e32 v56, 0x1000, v55
	s_addc_u32 s13, s5, 0
	v_mov_b32_e32 v71, 0xfeffffff
	v_lshlrev_b32_e32 v57, 2, v45
	s_mov_b32 s40, 0x3f200000
	s_mov_b32 s41, 0x3fb8aa3b
	;; [unrolled: 1-line block ×4, first 2 shown]
	v_mov_b32_e32 v58, 0xbd5c1c4e
	v_mov_b32_e32 v59, 0x3e088382
	;; [unrolled: 1-line block ×3, first 2 shown]
	s_brev_b32 s47, -2
	s_mov_b32 s48, 0x10001
	v_lshlrev_b32_e32 v61, 2, v24
	v_mov_b32_e32 v62, 0x7f800000
	v_mbcnt_hi_u32_b32 v63, -1, v38
	v_mov_b32_e32 v29, 0
	v_mov_b32_e32 v32, 0
	;; [unrolled: 1-line block ×14, first 2 shown]
.LBB87_8:                               ; =>This Inner Loop Header: Depth=1
	s_mul_hi_i32 s7, s22, s36
	s_mul_i32 s6, s22, s36
	s_lshl_b64 s[6:7], s[6:7], 2
	s_add_u32 s6, s37, s6
	s_addc_u32 s7, s38, s7
	v_mov_b32_e32 v2, s7
	v_add_co_u32_e32 v3, vcc, s6, v6
	v_addc_co_u32_e32 v4, vcc, v2, v7, vcc
	v_add_co_u32_e32 v2, vcc, v3, v57
	v_addc_co_u32_e32 v3, vcc, 0, v4, vcc
	v_mov_b32_e32 v4, s7
	v_add_co_u32_e32 v5, vcc, s6, v8
	v_addc_co_u32_e32 v41, vcc, v4, v9, vcc
	v_add_co_u32_e32 v4, vcc, v5, v57
	v_addc_co_u32_e32 v5, vcc, 0, v41, vcc
	global_load_dwordx4 v[76:79], v[2:3], off
	global_load_dwordx4 v[80:83], v[4:5], off
	v_mov_b32_e32 v74, 0
	v_mov_b32_e32 v72, 0
	;; [unrolled: 1-line block ×8, first 2 shown]
	s_waitcnt vmcnt(1)
	ds_write_b128 v47, v[76:79]
	s_waitcnt vmcnt(0)
	ds_write_b128 v48, v[80:83]
	s_waitcnt lgkmcnt(0)
	s_barrier
	ds_read_b128 v[76:79], v49
	ds_read_b128 v[80:83], v50
	ds_read_b128 v[84:87], v50 offset:4608
	ds_read_b128 v[88:91], v49 offset:256
	;; [unrolled: 1-line block ×4, first 2 shown]
	s_waitcnt lgkmcnt(4)
	;;#ASMSTART
	v_dot2_f32_f16 v74, v80, v76, v74
	;;#ASMEND
	;;#ASMSTART
	v_dot2_f32_f16 v74, v81, v77, v74
	;;#ASMEND
	;;#ASMSTART
	v_dot2_f32_f16 v74, v82, v78, v74
	;;#ASMEND
	;;#ASMSTART
	v_dot2_f32_f16 v74, v83, v79, v74
	;;#ASMEND
	s_waitcnt lgkmcnt(2)
	;;#ASMSTART
	v_dot2_f32_f16 v72, v80, v88, v72
	;;#ASMEND
	;;#ASMSTART
	v_dot2_f32_f16 v72, v81, v89, v72
	;;#ASMEND
	;;#ASMSTART
	v_dot2_f32_f16 v72, v82, v90, v72
	;;#ASMEND
	;;#ASMSTART
	v_dot2_f32_f16 v72, v83, v91, v72
	;;#ASMEND
	;; [unrolled: 13-line block ×4, first 2 shown]
	;;#ASMSTART
	v_dot2_f32_f16 v75, v84, v76, v75
	;;#ASMEND
	;;#ASMSTART
	v_dot2_f32_f16 v75, v85, v77, v75
	;;#ASMEND
	;; [unrolled: 3-line block ×16, first 2 shown]
	ds_read_b128 v[76:79], v49 offset:16
	ds_read_b128 v[80:83], v50 offset:16
	;; [unrolled: 1-line block ×6, first 2 shown]
	s_waitcnt lgkmcnt(4)
	;;#ASMSTART
	v_dot2_f32_f16 v74, v80, v76, v74
	;;#ASMEND
	;;#ASMSTART
	v_dot2_f32_f16 v74, v81, v77, v74
	;;#ASMEND
	;;#ASMSTART
	v_dot2_f32_f16 v74, v82, v78, v74
	;;#ASMEND
	;;#ASMSTART
	v_dot2_f32_f16 v74, v83, v79, v74
	;;#ASMEND
	s_waitcnt lgkmcnt(2)
	;;#ASMSTART
	v_dot2_f32_f16 v72, v80, v88, v72
	;;#ASMEND
	;;#ASMSTART
	v_dot2_f32_f16 v72, v81, v89, v72
	;;#ASMEND
	;;#ASMSTART
	v_dot2_f32_f16 v72, v82, v90, v72
	;;#ASMEND
	;;#ASMSTART
	v_dot2_f32_f16 v72, v83, v91, v72
	;;#ASMEND
	;; [unrolled: 13-line block ×4, first 2 shown]
	;;#ASMSTART
	v_dot2_f32_f16 v75, v84, v76, v75
	;;#ASMEND
	;;#ASMSTART
	v_dot2_f32_f16 v75, v85, v77, v75
	;;#ASMEND
	;; [unrolled: 3-line block ×16, first 2 shown]
	ds_read_b128 v[76:79], v49 offset:32
	ds_read_b128 v[80:83], v50 offset:32
	;; [unrolled: 1-line block ×6, first 2 shown]
	s_waitcnt lgkmcnt(4)
	;;#ASMSTART
	v_dot2_f32_f16 v74, v80, v76, v74
	;;#ASMEND
	;;#ASMSTART
	v_dot2_f32_f16 v74, v81, v77, v74
	;;#ASMEND
	;;#ASMSTART
	v_dot2_f32_f16 v74, v82, v78, v74
	;;#ASMEND
	;;#ASMSTART
	v_dot2_f32_f16 v74, v83, v79, v74
	;;#ASMEND
	s_waitcnt lgkmcnt(2)
	;;#ASMSTART
	v_dot2_f32_f16 v72, v80, v88, v72
	;;#ASMEND
	;;#ASMSTART
	v_dot2_f32_f16 v72, v81, v89, v72
	;;#ASMEND
	;;#ASMSTART
	v_dot2_f32_f16 v72, v82, v90, v72
	;;#ASMEND
	;;#ASMSTART
	v_dot2_f32_f16 v72, v83, v91, v72
	;;#ASMEND
	;; [unrolled: 13-line block ×4, first 2 shown]
	;;#ASMSTART
	v_dot2_f32_f16 v75, v84, v76, v75
	;;#ASMEND
	;;#ASMSTART
	v_dot2_f32_f16 v75, v85, v77, v75
	;;#ASMEND
	;; [unrolled: 3-line block ×16, first 2 shown]
	ds_read_b128 v[76:79], v49 offset:48
	ds_read_b128 v[80:83], v50 offset:48
	;; [unrolled: 1-line block ×6, first 2 shown]
	s_waitcnt lgkmcnt(4)
	;;#ASMSTART
	v_dot2_f32_f16 v74, v80, v76, v74
	;;#ASMEND
	;;#ASMSTART
	v_dot2_f32_f16 v74, v81, v77, v74
	;;#ASMEND
	;;#ASMSTART
	v_dot2_f32_f16 v74, v82, v78, v74
	;;#ASMEND
	;;#ASMSTART
	v_dot2_f32_f16 v74, v83, v79, v74
	;;#ASMEND
	s_waitcnt lgkmcnt(2)
	;;#ASMSTART
	v_dot2_f32_f16 v72, v80, v88, v72
	;;#ASMEND
	;;#ASMSTART
	v_dot2_f32_f16 v72, v81, v89, v72
	;;#ASMEND
	;;#ASMSTART
	v_dot2_f32_f16 v72, v82, v90, v72
	;;#ASMEND
	;;#ASMSTART
	v_dot2_f32_f16 v72, v83, v91, v72
	;;#ASMEND
	;; [unrolled: 13-line block ×4, first 2 shown]
	;;#ASMSTART
	v_dot2_f32_f16 v75, v84, v76, v75
	;;#ASMEND
	;;#ASMSTART
	v_dot2_f32_f16 v75, v85, v77, v75
	;;#ASMEND
	;; [unrolled: 3-line block ×16, first 2 shown]
	ds_read_b128 v[76:79], v49 offset:64
	ds_read_b128 v[80:83], v50 offset:64
	;; [unrolled: 1-line block ×6, first 2 shown]
	s_waitcnt lgkmcnt(4)
	;;#ASMSTART
	v_dot2_f32_f16 v74, v80, v76, v74
	;;#ASMEND
	;;#ASMSTART
	v_dot2_f32_f16 v74, v81, v77, v74
	;;#ASMEND
	;;#ASMSTART
	v_dot2_f32_f16 v74, v82, v78, v74
	;;#ASMEND
	;;#ASMSTART
	v_dot2_f32_f16 v74, v83, v79, v74
	;;#ASMEND
	s_waitcnt lgkmcnt(2)
	;;#ASMSTART
	v_dot2_f32_f16 v72, v80, v88, v72
	;;#ASMEND
	;;#ASMSTART
	v_dot2_f32_f16 v72, v81, v89, v72
	;;#ASMEND
	;;#ASMSTART
	v_dot2_f32_f16 v72, v82, v90, v72
	;;#ASMEND
	;;#ASMSTART
	v_dot2_f32_f16 v72, v83, v91, v72
	;;#ASMEND
	;; [unrolled: 13-line block ×4, first 2 shown]
	;;#ASMSTART
	v_dot2_f32_f16 v75, v84, v76, v75
	;;#ASMEND
	;;#ASMSTART
	v_dot2_f32_f16 v75, v85, v77, v75
	;;#ASMEND
	;; [unrolled: 3-line block ×16, first 2 shown]
	ds_read_b128 v[76:79], v49 offset:80
	ds_read_b128 v[80:83], v50 offset:80
	;; [unrolled: 1-line block ×6, first 2 shown]
	s_waitcnt lgkmcnt(4)
	;;#ASMSTART
	v_dot2_f32_f16 v74, v80, v76, v74
	;;#ASMEND
	;;#ASMSTART
	v_dot2_f32_f16 v74, v81, v77, v74
	;;#ASMEND
	;;#ASMSTART
	v_dot2_f32_f16 v74, v82, v78, v74
	;;#ASMEND
	;;#ASMSTART
	v_dot2_f32_f16 v74, v83, v79, v74
	;;#ASMEND
	s_waitcnt lgkmcnt(2)
	;;#ASMSTART
	v_dot2_f32_f16 v72, v80, v88, v72
	;;#ASMEND
	;;#ASMSTART
	v_dot2_f32_f16 v72, v81, v89, v72
	;;#ASMEND
	;;#ASMSTART
	v_dot2_f32_f16 v72, v82, v90, v72
	;;#ASMEND
	;;#ASMSTART
	v_dot2_f32_f16 v72, v83, v91, v72
	;;#ASMEND
	;; [unrolled: 13-line block ×4, first 2 shown]
	;;#ASMSTART
	v_dot2_f32_f16 v75, v84, v76, v75
	;;#ASMEND
	;;#ASMSTART
	v_dot2_f32_f16 v75, v85, v77, v75
	;;#ASMEND
	;; [unrolled: 3-line block ×16, first 2 shown]
	ds_read_b128 v[76:79], v49 offset:96
	ds_read_b128 v[80:83], v50 offset:96
	;; [unrolled: 1-line block ×6, first 2 shown]
	s_waitcnt lgkmcnt(4)
	;;#ASMSTART
	v_dot2_f32_f16 v74, v80, v76, v74
	;;#ASMEND
	;;#ASMSTART
	v_dot2_f32_f16 v74, v81, v77, v74
	;;#ASMEND
	;;#ASMSTART
	v_dot2_f32_f16 v74, v82, v78, v74
	;;#ASMEND
	;;#ASMSTART
	v_dot2_f32_f16 v74, v83, v79, v74
	;;#ASMEND
	s_waitcnt lgkmcnt(2)
	;;#ASMSTART
	v_dot2_f32_f16 v72, v80, v88, v72
	;;#ASMEND
	;;#ASMSTART
	v_dot2_f32_f16 v72, v81, v89, v72
	;;#ASMEND
	;;#ASMSTART
	v_dot2_f32_f16 v72, v82, v90, v72
	;;#ASMEND
	;;#ASMSTART
	v_dot2_f32_f16 v72, v83, v91, v72
	;;#ASMEND
	;; [unrolled: 13-line block ×4, first 2 shown]
	;;#ASMSTART
	v_dot2_f32_f16 v75, v84, v76, v75
	;;#ASMEND
	;;#ASMSTART
	v_dot2_f32_f16 v75, v85, v77, v75
	;;#ASMEND
	;; [unrolled: 3-line block ×16, first 2 shown]
	ds_read_b128 v[76:79], v49 offset:112
	ds_read_b128 v[80:83], v50 offset:112
	;; [unrolled: 1-line block ×6, first 2 shown]
	s_waitcnt lgkmcnt(4)
	;;#ASMSTART
	v_dot2_f32_f16 v74, v80, v76, v74
	;;#ASMEND
	;;#ASMSTART
	v_dot2_f32_f16 v74, v81, v77, v74
	;;#ASMEND
	;;#ASMSTART
	v_dot2_f32_f16 v74, v82, v78, v74
	;;#ASMEND
	;;#ASMSTART
	v_dot2_f32_f16 v74, v83, v79, v74
	;;#ASMEND
	s_waitcnt lgkmcnt(2)
	;;#ASMSTART
	v_dot2_f32_f16 v72, v80, v88, v72
	;;#ASMEND
	;;#ASMSTART
	v_dot2_f32_f16 v72, v81, v89, v72
	;;#ASMEND
	;;#ASMSTART
	v_dot2_f32_f16 v72, v82, v90, v72
	;;#ASMEND
	;;#ASMSTART
	v_dot2_f32_f16 v72, v83, v91, v72
	;;#ASMEND
	;; [unrolled: 13-line block ×4, first 2 shown]
	;;#ASMSTART
	v_dot2_f32_f16 v75, v84, v76, v75
	;;#ASMEND
	;;#ASMSTART
	v_dot2_f32_f16 v75, v85, v77, v75
	;;#ASMEND
	;; [unrolled: 3-line block ×16, first 2 shown]
	s_barrier
	global_load_dwordx4 v[76:79], v[2:3], off offset:128
	s_nop 0
	global_load_dwordx4 v[2:5], v[4:5], off offset:128
	s_waitcnt vmcnt(1)
	ds_write_b128 v47, v[76:79]
	s_waitcnt vmcnt(0)
	ds_write_b128 v48, v[2:5]
	s_waitcnt lgkmcnt(0)
	s_barrier
	ds_read_b128 v[2:5], v49 offset:128
	ds_read_b128 v[76:79], v50
	ds_read_b128 v[80:83], v50 offset:4608
	ds_read_b128 v[84:87], v49 offset:384
	;; [unrolled: 1-line block ×4, first 2 shown]
	s_waitcnt lgkmcnt(4)
	;;#ASMSTART
	v_dot2_f32_f16 v74, v76, v2, v74
	;;#ASMEND
	;;#ASMSTART
	v_dot2_f32_f16 v74, v77, v3, v74
	;;#ASMEND
	;;#ASMSTART
	v_dot2_f32_f16 v74, v78, v4, v74
	;;#ASMEND
	;;#ASMSTART
	v_dot2_f32_f16 v74, v79, v5, v74
	;;#ASMEND
	s_waitcnt lgkmcnt(2)
	;;#ASMSTART
	v_dot2_f32_f16 v72, v76, v84, v72
	;;#ASMEND
	;;#ASMSTART
	v_dot2_f32_f16 v72, v77, v85, v72
	;;#ASMEND
	;;#ASMSTART
	v_dot2_f32_f16 v72, v78, v86, v72
	;;#ASMEND
	;;#ASMSTART
	v_dot2_f32_f16 v72, v79, v87, v72
	;;#ASMEND
	s_waitcnt lgkmcnt(1)
	;;#ASMSTART
	v_dot2_f32_f16 v43, v76, v88, v43
	;;#ASMEND
	;;#ASMSTART
	v_dot2_f32_f16 v43, v77, v89, v43
	;;#ASMEND
	;;#ASMSTART
	v_dot2_f32_f16 v43, v78, v90, v43
	;;#ASMEND
	;;#ASMSTART
	v_dot2_f32_f16 v43, v79, v91, v43
	;;#ASMEND
	s_waitcnt lgkmcnt(0)
	;;#ASMSTART
	v_dot2_f32_f16 v41, v76, v92, v41
	;;#ASMEND
	;;#ASMSTART
	v_dot2_f32_f16 v41, v77, v93, v41
	;;#ASMEND
	;;#ASMSTART
	v_dot2_f32_f16 v41, v78, v94, v41
	;;#ASMEND
	;;#ASMSTART
	v_dot2_f32_f16 v41, v79, v95, v41
	;;#ASMEND
	;;#ASMSTART
	v_dot2_f32_f16 v75, v80, v2, v75
	;;#ASMEND
	;;#ASMSTART
	v_dot2_f32_f16 v75, v81, v3, v75
	;;#ASMEND
	;; [unrolled: 3-line block ×16, first 2 shown]
	ds_read_b128 v[2:5], v49 offset:144
	ds_read_b128 v[76:79], v50 offset:16
	;; [unrolled: 1-line block ×6, first 2 shown]
	s_waitcnt lgkmcnt(4)
	;;#ASMSTART
	v_dot2_f32_f16 v74, v76, v2, v74
	;;#ASMEND
	;;#ASMSTART
	v_dot2_f32_f16 v74, v77, v3, v74
	;;#ASMEND
	;;#ASMSTART
	v_dot2_f32_f16 v74, v78, v4, v74
	;;#ASMEND
	;;#ASMSTART
	v_dot2_f32_f16 v74, v79, v5, v74
	;;#ASMEND
	s_waitcnt lgkmcnt(2)
	;;#ASMSTART
	v_dot2_f32_f16 v72, v76, v84, v72
	;;#ASMEND
	;;#ASMSTART
	v_dot2_f32_f16 v72, v77, v85, v72
	;;#ASMEND
	;;#ASMSTART
	v_dot2_f32_f16 v72, v78, v86, v72
	;;#ASMEND
	;;#ASMSTART
	v_dot2_f32_f16 v72, v79, v87, v72
	;;#ASMEND
	;; [unrolled: 13-line block ×4, first 2 shown]
	;;#ASMSTART
	v_dot2_f32_f16 v75, v80, v2, v75
	;;#ASMEND
	;;#ASMSTART
	v_dot2_f32_f16 v75, v81, v3, v75
	;;#ASMEND
	;; [unrolled: 3-line block ×16, first 2 shown]
	ds_read_b128 v[2:5], v49 offset:160
	ds_read_b128 v[76:79], v50 offset:32
	ds_read_b128 v[80:83], v50 offset:4640
	ds_read_b128 v[84:87], v49 offset:416
	ds_read_b128 v[88:91], v49 offset:672
	ds_read_b128 v[92:95], v49 offset:928
	s_waitcnt lgkmcnt(4)
	;;#ASMSTART
	v_dot2_f32_f16 v74, v76, v2, v74
	;;#ASMEND
	;;#ASMSTART
	v_dot2_f32_f16 v74, v77, v3, v74
	;;#ASMEND
	;;#ASMSTART
	v_dot2_f32_f16 v74, v78, v4, v74
	;;#ASMEND
	;;#ASMSTART
	v_dot2_f32_f16 v74, v79, v5, v74
	;;#ASMEND
	s_waitcnt lgkmcnt(2)
	;;#ASMSTART
	v_dot2_f32_f16 v72, v76, v84, v72
	;;#ASMEND
	;;#ASMSTART
	v_dot2_f32_f16 v72, v77, v85, v72
	;;#ASMEND
	;;#ASMSTART
	v_dot2_f32_f16 v72, v78, v86, v72
	;;#ASMEND
	;;#ASMSTART
	v_dot2_f32_f16 v72, v79, v87, v72
	;;#ASMEND
	;; [unrolled: 13-line block ×4, first 2 shown]
	;;#ASMSTART
	v_dot2_f32_f16 v75, v80, v2, v75
	;;#ASMEND
	;;#ASMSTART
	v_dot2_f32_f16 v75, v81, v3, v75
	;;#ASMEND
	;; [unrolled: 3-line block ×16, first 2 shown]
	ds_read_b128 v[2:5], v49 offset:176
	ds_read_b128 v[76:79], v50 offset:48
	;; [unrolled: 1-line block ×6, first 2 shown]
	s_waitcnt lgkmcnt(4)
	;;#ASMSTART
	v_dot2_f32_f16 v74, v76, v2, v74
	;;#ASMEND
	;;#ASMSTART
	v_dot2_f32_f16 v74, v77, v3, v74
	;;#ASMEND
	;;#ASMSTART
	v_dot2_f32_f16 v74, v78, v4, v74
	;;#ASMEND
	;;#ASMSTART
	v_dot2_f32_f16 v74, v79, v5, v74
	;;#ASMEND
	s_waitcnt lgkmcnt(2)
	;;#ASMSTART
	v_dot2_f32_f16 v72, v76, v84, v72
	;;#ASMEND
	;;#ASMSTART
	v_dot2_f32_f16 v72, v77, v85, v72
	;;#ASMEND
	;;#ASMSTART
	v_dot2_f32_f16 v72, v78, v86, v72
	;;#ASMEND
	;;#ASMSTART
	v_dot2_f32_f16 v72, v79, v87, v72
	;;#ASMEND
	;; [unrolled: 13-line block ×4, first 2 shown]
	;;#ASMSTART
	v_dot2_f32_f16 v75, v80, v2, v75
	;;#ASMEND
	;;#ASMSTART
	v_dot2_f32_f16 v75, v81, v3, v75
	;;#ASMEND
	;; [unrolled: 3-line block ×16, first 2 shown]
	ds_read_b128 v[2:5], v49 offset:192
	ds_read_b128 v[76:79], v50 offset:64
	;; [unrolled: 1-line block ×6, first 2 shown]
	s_waitcnt lgkmcnt(4)
	;;#ASMSTART
	v_dot2_f32_f16 v74, v76, v2, v74
	;;#ASMEND
	;;#ASMSTART
	v_dot2_f32_f16 v74, v77, v3, v74
	;;#ASMEND
	;;#ASMSTART
	v_dot2_f32_f16 v74, v78, v4, v74
	;;#ASMEND
	;;#ASMSTART
	v_dot2_f32_f16 v74, v79, v5, v74
	;;#ASMEND
	s_waitcnt lgkmcnt(2)
	;;#ASMSTART
	v_dot2_f32_f16 v72, v76, v84, v72
	;;#ASMEND
	;;#ASMSTART
	v_dot2_f32_f16 v72, v77, v85, v72
	;;#ASMEND
	;;#ASMSTART
	v_dot2_f32_f16 v72, v78, v86, v72
	;;#ASMEND
	;;#ASMSTART
	v_dot2_f32_f16 v72, v79, v87, v72
	;;#ASMEND
	;; [unrolled: 13-line block ×4, first 2 shown]
	;;#ASMSTART
	v_dot2_f32_f16 v75, v80, v2, v75
	;;#ASMEND
	;;#ASMSTART
	v_dot2_f32_f16 v75, v81, v3, v75
	;;#ASMEND
	;; [unrolled: 3-line block ×16, first 2 shown]
	ds_read_b128 v[2:5], v49 offset:208
	ds_read_b128 v[76:79], v50 offset:80
	;; [unrolled: 1-line block ×6, first 2 shown]
	s_waitcnt lgkmcnt(4)
	;;#ASMSTART
	v_dot2_f32_f16 v74, v76, v2, v74
	;;#ASMEND
	;;#ASMSTART
	v_dot2_f32_f16 v74, v77, v3, v74
	;;#ASMEND
	;;#ASMSTART
	v_dot2_f32_f16 v74, v78, v4, v74
	;;#ASMEND
	;;#ASMSTART
	v_dot2_f32_f16 v74, v79, v5, v74
	;;#ASMEND
	s_waitcnt lgkmcnt(2)
	;;#ASMSTART
	v_dot2_f32_f16 v72, v76, v84, v72
	;;#ASMEND
	;;#ASMSTART
	v_dot2_f32_f16 v72, v77, v85, v72
	;;#ASMEND
	;;#ASMSTART
	v_dot2_f32_f16 v72, v78, v86, v72
	;;#ASMEND
	;;#ASMSTART
	v_dot2_f32_f16 v72, v79, v87, v72
	;;#ASMEND
	;; [unrolled: 13-line block ×4, first 2 shown]
	;;#ASMSTART
	v_dot2_f32_f16 v75, v80, v2, v75
	;;#ASMEND
	;;#ASMSTART
	v_dot2_f32_f16 v75, v81, v3, v75
	;;#ASMEND
	;; [unrolled: 3-line block ×16, first 2 shown]
	ds_read_b128 v[2:5], v49 offset:224
	ds_read_b128 v[76:79], v50 offset:96
	;; [unrolled: 1-line block ×6, first 2 shown]
	s_waitcnt lgkmcnt(4)
	;;#ASMSTART
	v_dot2_f32_f16 v74, v76, v2, v74
	;;#ASMEND
	;;#ASMSTART
	v_dot2_f32_f16 v74, v77, v3, v74
	;;#ASMEND
	;;#ASMSTART
	v_dot2_f32_f16 v74, v78, v4, v74
	;;#ASMEND
	;;#ASMSTART
	v_dot2_f32_f16 v74, v79, v5, v74
	;;#ASMEND
	s_waitcnt lgkmcnt(2)
	;;#ASMSTART
	v_dot2_f32_f16 v72, v76, v84, v72
	;;#ASMEND
	;;#ASMSTART
	v_dot2_f32_f16 v72, v77, v85, v72
	;;#ASMEND
	;;#ASMSTART
	v_dot2_f32_f16 v72, v78, v86, v72
	;;#ASMEND
	;;#ASMSTART
	v_dot2_f32_f16 v72, v79, v87, v72
	;;#ASMEND
	;; [unrolled: 13-line block ×4, first 2 shown]
	;;#ASMSTART
	v_dot2_f32_f16 v75, v80, v2, v75
	;;#ASMEND
	;;#ASMSTART
	v_dot2_f32_f16 v75, v81, v3, v75
	;;#ASMEND
	;; [unrolled: 3-line block ×16, first 2 shown]
	ds_read_b128 v[2:5], v49 offset:240
	ds_read_b128 v[76:79], v50 offset:112
	;; [unrolled: 1-line block ×6, first 2 shown]
	s_waitcnt lgkmcnt(4)
	;;#ASMSTART
	v_dot2_f32_f16 v74, v76, v2, v74
	;;#ASMEND
	;;#ASMSTART
	v_dot2_f32_f16 v74, v77, v3, v74
	;;#ASMEND
	;;#ASMSTART
	v_dot2_f32_f16 v74, v78, v4, v74
	;;#ASMEND
	;;#ASMSTART
	v_dot2_f32_f16 v74, v79, v5, v74
	;;#ASMEND
	s_waitcnt lgkmcnt(2)
	;;#ASMSTART
	v_dot2_f32_f16 v72, v76, v84, v72
	;;#ASMEND
	;;#ASMSTART
	v_dot2_f32_f16 v72, v77, v85, v72
	;;#ASMEND
	;;#ASMSTART
	v_dot2_f32_f16 v72, v78, v86, v72
	;;#ASMEND
	;;#ASMSTART
	v_dot2_f32_f16 v72, v79, v87, v72
	;;#ASMEND
	s_waitcnt lgkmcnt(1)
	;;#ASMSTART
	v_dot2_f32_f16 v43, v76, v88, v43
	;;#ASMEND
	;;#ASMSTART
	v_dot2_f32_f16 v43, v77, v89, v43
	;;#ASMEND
	;;#ASMSTART
	v_dot2_f32_f16 v43, v78, v90, v43
	;;#ASMEND
	;;#ASMSTART
	v_dot2_f32_f16 v43, v79, v91, v43
	;;#ASMEND
	s_waitcnt lgkmcnt(0)
	;;#ASMSTART
	v_dot2_f32_f16 v41, v76, v92, v41
	;;#ASMEND
	;;#ASMSTART
	v_dot2_f32_f16 v41, v77, v93, v41
	;;#ASMEND
	;;#ASMSTART
	v_dot2_f32_f16 v41, v78, v94, v41
	;;#ASMEND
	;;#ASMSTART
	v_dot2_f32_f16 v41, v79, v95, v41
	;;#ASMEND
	;;#ASMSTART
	v_dot2_f32_f16 v75, v80, v2, v75
	;;#ASMEND
	;;#ASMSTART
	v_dot2_f32_f16 v75, v81, v3, v75
	;;#ASMEND
	;; [unrolled: 3-line block ×15, first 2 shown]
	v_cmp_nlt_f32_e64 s[6:7], |v74|, s40
	;;#ASMSTART
	v_dot2_f32_f16 v42, v83, v95, v42
	;;#ASMEND
                                        ; implicit-def: $vgpr4
	s_and_saveexec_b64 s[14:15], s[6:7]
	s_xor_b64 s[6:7], exec, s[14:15]
	s_cbranch_execz .LBB87_10
; %bb.9:                                ;   in Loop: Header=BB87_8 Depth=1
	v_add_f32_e64 v2, |v74|, |v74|
	v_mul_f32_e32 v3, 0x3fb8aa3b, v2
	v_rndne_f32_e32 v4, v3
	v_sub_f32_e32 v5, v3, v4
	v_fma_f32 v3, v2, s41, -v3
	v_fmac_f32_e32 v3, 0x32a5705f, v2
	v_add_f32_e32 v3, v5, v3
	v_cvt_i32_f32_e32 v4, v4
	v_exp_f32_e32 v3, v3
	v_cmp_ngt_f32_e32 vcc, s42, v2
	v_ldexp_f32 v3, v3, v4
	v_cndmask_b32_e32 v3, 0, v3, vcc
	v_cmp_nlt_f32_e32 vcc, s43, v2
	v_cndmask_b32_e32 v2, v62, v3, vcc
	v_add_f32_e32 v2, 1.0, v2
	v_rcp_f32_e32 v2, v2
	v_fma_f32 v4, v2, -2.0, 1.0
.LBB87_10:                              ;   in Loop: Header=BB87_8 Depth=1
	s_andn2_saveexec_b64 s[6:7], s[6:7]
; %bb.11:                               ;   in Loop: Header=BB87_8 Depth=1
	v_mul_f32_e32 v2, v74, v74
	v_mov_b32_e32 v3, 0x3ca908c9
	v_fmac_f32_e32 v3, 0xbbbac73d, v2
	v_fma_f32 v3, v2, v3, v58
	v_fma_f32 v3, v2, v3, v59
	;; [unrolled: 1-line block ×3, first 2 shown]
	v_mul_f32_e64 v3, |v74|, v3
	v_fma_f32 v4, v2, v3, |v74|
; %bb.12:                               ;   in Loop: Header=BB87_8 Depth=1
	s_or_b64 exec, exec, s[6:7]
	v_add_u32_e32 v77, s22, v0
	v_add_u32_e32 v2, v77, v40
	v_cndmask_b32_e64 v3, 0, 1, s[10:11]
	v_cmp_ne_u32_e64 s[6:7], 1, v3
	s_andn2_b64 vcc, exec, s[10:11]
	v_ashrrev_i32_e32 v3, 31, v2
	s_cbranch_vccnz .LBB87_58
; %bb.13:                               ;   in Loop: Header=BB87_8 Depth=1
	v_lshlrev_b64 v[78:79], 1, v[2:3]
	v_mov_b32_e32 v5, s45
	v_add_co_u32_e32 v78, vcc, s44, v78
	v_addc_co_u32_e32 v79, vcc, v5, v79, vcc
	global_load_ushort v5, v[78:79], off
	s_waitcnt vmcnt(0)
	v_cvt_f32_f16_e32 v5, v5
	v_mul_f32_e32 v5, v26, v5
	v_cmp_nlt_f32_e64 s[14:15], |v75|, s40
                                        ; implicit-def: $vgpr78
	s_and_saveexec_b64 s[50:51], s[14:15]
	s_xor_b64 s[14:15], exec, s[50:51]
	s_cbranch_execz .LBB87_15
.LBB87_14:                              ;   in Loop: Header=BB87_8 Depth=1
	v_add_f32_e64 v76, |v75|, |v75|
	v_mul_f32_e32 v78, 0x3fb8aa3b, v76
	v_rndne_f32_e32 v79, v78
	v_sub_f32_e32 v80, v78, v79
	v_fma_f32 v78, v76, s41, -v78
	v_fmac_f32_e32 v78, 0x32a5705f, v76
	v_add_f32_e32 v78, v80, v78
	v_cvt_i32_f32_e32 v79, v79
	v_exp_f32_e32 v78, v78
	v_cmp_ngt_f32_e32 vcc, s42, v76
	v_ldexp_f32 v78, v78, v79
	v_cndmask_b32_e32 v78, 0, v78, vcc
	v_cmp_nlt_f32_e32 vcc, s43, v76
	v_cndmask_b32_e32 v76, v62, v78, vcc
	v_add_f32_e32 v76, 1.0, v76
	v_rcp_f32_e32 v76, v76
	v_fma_f32 v78, v76, -2.0, 1.0
.LBB87_15:                              ;   in Loop: Header=BB87_8 Depth=1
	s_andn2_saveexec_b64 s[14:15], s[14:15]
	s_cbranch_execz .LBB87_18
; %bb.16:                               ;   in Loop: Header=BB87_8 Depth=1
	v_mul_f32_e32 v76, v75, v75
	v_mov_b32_e32 v78, 0x3ca908c9
	v_fmac_f32_e32 v78, 0xbbbac73d, v76
	v_fma_f32 v78, v76, v78, v58
	v_fma_f32 v78, v76, v78, v59
	;; [unrolled: 1-line block ×3, first 2 shown]
	v_mul_f32_e64 v78, |v75|, v78
	v_fma_f32 v78, v76, v78, |v75|
	s_or_b64 exec, exec, s[14:15]
	s_and_b64 vcc, exec, s[6:7]
	s_cbranch_vccz .LBB87_19
.LBB87_17:                              ;   in Loop: Header=BB87_8 Depth=1
	v_mov_b32_e32 v76, 0
	s_branch .LBB87_20
.LBB87_18:                              ;   in Loop: Header=BB87_8 Depth=1
	s_or_b64 exec, exec, s[14:15]
	s_and_b64 vcc, exec, s[6:7]
	s_cbranch_vccnz .LBB87_17
.LBB87_19:                              ;   in Loop: Header=BB87_8 Depth=1
	v_lshlrev_b64 v[2:3], 1, v[2:3]
	v_mov_b32_e32 v76, s45
	v_add_co_u32_e32 v2, vcc, s44, v2
	v_addc_co_u32_e32 v3, vcc, v76, v3, vcc
	global_load_ushort v2, v[2:3], off offset:64
	s_waitcnt vmcnt(0)
	v_cvt_f32_f16_e32 v2, v2
	v_mul_f32_e32 v76, v26, v2
.LBB87_20:                              ;   in Loop: Header=BB87_8 Depth=1
	v_bfi_b32 v3, s47, v4, v74
	v_and_b32_e32 v4, 0x60, v63
	v_bfi_b32 v2, s47, v78, v75
	v_add_u32_e32 v74, 32, v4
	v_xor_b32_e32 v4, 16, v63
	v_fmac_f32_e32 v5, s19, v3
	v_cmp_lt_i32_e32 vcc, v4, v74
	v_fmac_f32_e32 v76, s19, v2
	v_add_f32_e32 v3, 0x40051340, v5
	v_cndmask_b32_e32 v4, v63, v4, vcc
	v_add_f32_e32 v2, 0x40051340, v76
	v_lshlrev_b32_e32 v4, 2, v4
	v_max3_f32 v2, v71, v3, v2
	ds_bpermute_b32 v3, v4, v2
	v_xor_b32_e32 v75, 8, v63
	v_cmp_lt_i32_e32 vcc, v75, v74
	v_cndmask_b32_e32 v75, v63, v75, vcc
	v_lshlrev_b32_e32 v79, 2, v75
	s_waitcnt lgkmcnt(0)
	v_max_f32_e32 v3, v3, v3
	v_max_f32_e32 v2, v2, v3
	ds_bpermute_b32 v3, v79, v2
	v_xor_b32_e32 v75, 4, v63
	v_cmp_lt_i32_e32 vcc, v75, v74
	v_cndmask_b32_e32 v75, v63, v75, vcc
	v_lshlrev_b32_e32 v80, 2, v75
	s_waitcnt lgkmcnt(0)
	v_max_f32_e32 v3, v3, v3
	v_max_f32_e32 v2, v2, v3
	;; [unrolled: 8-line block ×4, first 2 shown]
	ds_bpermute_b32 v82, v74, v81
	v_cmp_nlt_f32_e64 s[14:15], |v72|, s40
                                        ; implicit-def: $vgpr84
	s_and_saveexec_b64 s[50:51], s[14:15]
	s_xor_b64 s[14:15], exec, s[50:51]
	s_cbranch_execz .LBB87_22
; %bb.21:                               ;   in Loop: Header=BB87_8 Depth=1
	v_add_f32_e64 v2, |v72|, |v72|
	v_mul_f32_e32 v3, 0x3fb8aa3b, v2
	v_rndne_f32_e32 v78, v3
	v_sub_f32_e32 v83, v3, v78
	v_fma_f32 v3, v2, s41, -v3
	v_fmac_f32_e32 v3, 0x32a5705f, v2
	v_add_f32_e32 v3, v83, v3
	v_cvt_i32_f32_e32 v78, v78
	v_exp_f32_e32 v3, v3
	v_cmp_ngt_f32_e32 vcc, s42, v2
	v_ldexp_f32 v3, v3, v78
	v_cndmask_b32_e32 v3, 0, v3, vcc
	v_cmp_nlt_f32_e32 vcc, s43, v2
	v_cndmask_b32_e32 v2, v62, v3, vcc
	v_add_f32_e32 v2, 1.0, v2
	v_rcp_f32_e32 v2, v2
	v_fma_f32 v84, v2, -2.0, 1.0
.LBB87_22:                              ;   in Loop: Header=BB87_8 Depth=1
	s_andn2_saveexec_b64 s[14:15], s[14:15]
; %bb.23:                               ;   in Loop: Header=BB87_8 Depth=1
	v_mul_f32_e32 v2, v72, v72
	v_mov_b32_e32 v3, 0x3ca908c9
	v_fmac_f32_e32 v3, 0xbbbac73d, v2
	v_fma_f32 v3, v2, v3, v58
	v_fma_f32 v3, v2, v3, v59
	;; [unrolled: 1-line block ×3, first 2 shown]
	v_mul_f32_e64 v3, |v72|, v3
	v_fma_f32 v84, v2, v3, |v72|
; %bb.24:                               ;   in Loop: Header=BB87_8 Depth=1
	s_or_b64 exec, exec, s[14:15]
	v_add_u32_e32 v2, v77, v51
	s_and_b64 vcc, exec, s[6:7]
	v_ashrrev_i32_e32 v3, 31, v2
	s_cbranch_vccnz .LBB87_59
; %bb.25:                               ;   in Loop: Header=BB87_8 Depth=1
	v_lshlrev_b64 v[85:86], 1, v[2:3]
	v_mov_b32_e32 v78, s45
	v_add_co_u32_e32 v85, vcc, s44, v85
	v_addc_co_u32_e32 v86, vcc, v78, v86, vcc
	global_load_ushort v78, v[85:86], off
	s_waitcnt vmcnt(0)
	v_cvt_f32_f16_e32 v78, v78
	v_mul_f32_e32 v78, v26, v78
	v_cmp_nlt_f32_e64 s[14:15], |v73|, s40
                                        ; implicit-def: $vgpr85
	s_and_saveexec_b64 s[50:51], s[14:15]
	s_xor_b64 s[14:15], exec, s[50:51]
	s_cbranch_execz .LBB87_27
.LBB87_26:                              ;   in Loop: Header=BB87_8 Depth=1
	v_add_f32_e64 v83, |v73|, |v73|
	v_mul_f32_e32 v85, 0x3fb8aa3b, v83
	v_rndne_f32_e32 v86, v85
	v_sub_f32_e32 v87, v85, v86
	v_fma_f32 v85, v83, s41, -v85
	v_fmac_f32_e32 v85, 0x32a5705f, v83
	v_add_f32_e32 v85, v87, v85
	v_cvt_i32_f32_e32 v86, v86
	v_exp_f32_e32 v85, v85
	v_cmp_ngt_f32_e32 vcc, s42, v83
	v_ldexp_f32 v85, v85, v86
	v_cndmask_b32_e32 v85, 0, v85, vcc
	v_cmp_nlt_f32_e32 vcc, s43, v83
	v_cndmask_b32_e32 v83, v62, v85, vcc
	v_add_f32_e32 v83, 1.0, v83
	v_rcp_f32_e32 v83, v83
	v_fma_f32 v85, v83, -2.0, 1.0
.LBB87_27:                              ;   in Loop: Header=BB87_8 Depth=1
	s_andn2_saveexec_b64 s[14:15], s[14:15]
	s_cbranch_execz .LBB87_30
; %bb.28:                               ;   in Loop: Header=BB87_8 Depth=1
	v_mul_f32_e32 v83, v73, v73
	v_mov_b32_e32 v85, 0x3ca908c9
	v_fmac_f32_e32 v85, 0xbbbac73d, v83
	v_fma_f32 v85, v83, v85, v58
	v_fma_f32 v85, v83, v85, v59
	;; [unrolled: 1-line block ×3, first 2 shown]
	v_mul_f32_e64 v85, |v73|, v85
	v_fma_f32 v85, v83, v85, |v73|
	s_or_b64 exec, exec, s[14:15]
	s_and_b64 vcc, exec, s[6:7]
	s_cbranch_vccz .LBB87_31
.LBB87_29:                              ;   in Loop: Header=BB87_8 Depth=1
	v_mov_b32_e32 v83, 0
	s_branch .LBB87_32
.LBB87_30:                              ;   in Loop: Header=BB87_8 Depth=1
	s_or_b64 exec, exec, s[14:15]
	s_and_b64 vcc, exec, s[6:7]
	s_cbranch_vccnz .LBB87_29
.LBB87_31:                              ;   in Loop: Header=BB87_8 Depth=1
	v_lshlrev_b64 v[2:3], 1, v[2:3]
	v_mov_b32_e32 v83, s45
	v_add_co_u32_e32 v2, vcc, s44, v2
	v_addc_co_u32_e32 v3, vcc, v83, v3, vcc
	global_load_ushort v2, v[2:3], off offset:64
	s_waitcnt vmcnt(0)
	v_cvt_f32_f16_e32 v2, v2
	v_mul_f32_e32 v83, v26, v2
.LBB87_32:                              ;   in Loop: Header=BB87_8 Depth=1
	v_bfi_b32 v2, s47, v85, v73
	v_bfi_b32 v3, s47, v84, v72
	v_fmac_f32_e32 v78, s19, v3
	v_fmac_f32_e32 v83, s19, v2
	v_add_f32_e32 v3, 0x40051340, v78
	v_add_f32_e32 v2, 0x40051340, v83
	v_max3_f32 v2, v69, v3, v2
	ds_bpermute_b32 v3, v4, v2
	v_cmp_nlt_f32_e64 s[14:15], |v43|, s40
                                        ; implicit-def: $vgpr86
	s_waitcnt lgkmcnt(0)
	v_max_f32_e32 v3, v3, v3
	v_max_f32_e32 v2, v2, v3
	ds_bpermute_b32 v3, v79, v2
	s_waitcnt lgkmcnt(0)
	v_max_f32_e32 v3, v3, v3
	v_max_f32_e32 v2, v2, v3
	ds_bpermute_b32 v3, v80, v2
	;; [unrolled: 4-line block ×4, first 2 shown]
	s_and_saveexec_b64 s[50:51], s[14:15]
	s_xor_b64 s[14:15], exec, s[50:51]
	s_cbranch_execz .LBB87_34
; %bb.33:                               ;   in Loop: Header=BB87_8 Depth=1
	v_add_f32_e64 v2, |v43|, |v43|
	v_mul_f32_e32 v3, 0x3fb8aa3b, v2
	v_rndne_f32_e32 v72, v3
	v_sub_f32_e32 v73, v3, v72
	v_fma_f32 v3, v2, s41, -v3
	v_fmac_f32_e32 v3, 0x32a5705f, v2
	v_add_f32_e32 v3, v73, v3
	v_cvt_i32_f32_e32 v72, v72
	v_exp_f32_e32 v3, v3
	v_cmp_ngt_f32_e32 vcc, s42, v2
	v_ldexp_f32 v3, v3, v72
	v_cndmask_b32_e32 v3, 0, v3, vcc
	v_cmp_nlt_f32_e32 vcc, s43, v2
	v_cndmask_b32_e32 v2, v62, v3, vcc
	v_add_f32_e32 v2, 1.0, v2
	v_rcp_f32_e32 v2, v2
	v_fma_f32 v86, v2, -2.0, 1.0
.LBB87_34:                              ;   in Loop: Header=BB87_8 Depth=1
	s_andn2_saveexec_b64 s[14:15], s[14:15]
; %bb.35:                               ;   in Loop: Header=BB87_8 Depth=1
	v_mul_f32_e32 v2, v43, v43
	v_mov_b32_e32 v3, 0x3ca908c9
	v_fmac_f32_e32 v3, 0xbbbac73d, v2
	v_fma_f32 v3, v2, v3, v58
	v_fma_f32 v3, v2, v3, v59
	;; [unrolled: 1-line block ×3, first 2 shown]
	v_mul_f32_e64 v3, |v43|, v3
	v_fma_f32 v86, v2, v3, |v43|
; %bb.36:                               ;   in Loop: Header=BB87_8 Depth=1
	s_or_b64 exec, exec, s[14:15]
	v_add_u32_e32 v2, v77, v52
	s_and_b64 vcc, exec, s[6:7]
	v_ashrrev_i32_e32 v3, 31, v2
	s_cbranch_vccnz .LBB87_60
; %bb.37:                               ;   in Loop: Header=BB87_8 Depth=1
	v_lshlrev_b64 v[72:73], 1, v[2:3]
	v_mov_b32_e32 v87, s45
	v_add_co_u32_e32 v72, vcc, s44, v72
	v_addc_co_u32_e32 v73, vcc, v87, v73, vcc
	global_load_ushort v72, v[72:73], off
	s_waitcnt vmcnt(0)
	v_cvt_f32_f16_e32 v72, v72
	v_mul_f32_e32 v72, v26, v72
	v_cmp_nlt_f32_e64 s[14:15], |v44|, s40
                                        ; implicit-def: $vgpr87
	s_and_saveexec_b64 s[50:51], s[14:15]
	s_xor_b64 s[14:15], exec, s[50:51]
	s_cbranch_execz .LBB87_39
.LBB87_38:                              ;   in Loop: Header=BB87_8 Depth=1
	v_add_f32_e64 v73, |v44|, |v44|
	v_mul_f32_e32 v87, 0x3fb8aa3b, v73
	v_rndne_f32_e32 v88, v87
	v_sub_f32_e32 v89, v87, v88
	v_fma_f32 v87, v73, s41, -v87
	v_fmac_f32_e32 v87, 0x32a5705f, v73
	v_add_f32_e32 v87, v89, v87
	v_cvt_i32_f32_e32 v88, v88
	v_exp_f32_e32 v87, v87
	v_cmp_ngt_f32_e32 vcc, s42, v73
	v_ldexp_f32 v87, v87, v88
	v_cndmask_b32_e32 v87, 0, v87, vcc
	v_cmp_nlt_f32_e32 vcc, s43, v73
	v_cndmask_b32_e32 v73, v62, v87, vcc
	v_add_f32_e32 v73, 1.0, v73
	v_rcp_f32_e32 v73, v73
	v_fma_f32 v87, v73, -2.0, 1.0
.LBB87_39:                              ;   in Loop: Header=BB87_8 Depth=1
	s_andn2_saveexec_b64 s[14:15], s[14:15]
	s_cbranch_execz .LBB87_42
; %bb.40:                               ;   in Loop: Header=BB87_8 Depth=1
	v_mul_f32_e32 v73, v44, v44
	v_mov_b32_e32 v87, 0x3ca908c9
	v_fmac_f32_e32 v87, 0xbbbac73d, v73
	v_fma_f32 v87, v73, v87, v58
	v_fma_f32 v87, v73, v87, v59
	;; [unrolled: 1-line block ×3, first 2 shown]
	v_mul_f32_e64 v87, |v44|, v87
	v_fma_f32 v87, v73, v87, |v44|
	s_or_b64 exec, exec, s[14:15]
	s_and_b64 vcc, exec, s[6:7]
	s_cbranch_vccz .LBB87_43
.LBB87_41:                              ;   in Loop: Header=BB87_8 Depth=1
	v_mov_b32_e32 v73, 0
	s_branch .LBB87_44
.LBB87_42:                              ;   in Loop: Header=BB87_8 Depth=1
	s_or_b64 exec, exec, s[14:15]
	s_and_b64 vcc, exec, s[6:7]
	s_cbranch_vccnz .LBB87_41
.LBB87_43:                              ;   in Loop: Header=BB87_8 Depth=1
	v_lshlrev_b64 v[2:3], 1, v[2:3]
	v_mov_b32_e32 v73, s45
	v_add_co_u32_e32 v2, vcc, s44, v2
	v_addc_co_u32_e32 v3, vcc, v73, v3, vcc
	global_load_ushort v2, v[2:3], off offset:64
	s_waitcnt vmcnt(0)
	v_cvt_f32_f16_e32 v2, v2
	v_mul_f32_e32 v73, v26, v2
.LBB87_44:                              ;   in Loop: Header=BB87_8 Depth=1
	v_bfi_b32 v2, s47, v87, v44
	v_bfi_b32 v3, s47, v86, v43
	v_fmac_f32_e32 v72, s19, v3
	v_fmac_f32_e32 v73, s19, v2
	v_add_f32_e32 v3, 0x40051340, v72
	v_add_f32_e32 v2, 0x40051340, v73
	v_max3_f32 v2, v67, v3, v2
	ds_bpermute_b32 v3, v4, v2
	v_cmp_nlt_f32_e64 s[14:15], |v41|, s40
                                        ; implicit-def: $vgpr87
	s_waitcnt lgkmcnt(0)
	v_max_f32_e32 v3, v3, v3
	v_max_f32_e32 v2, v2, v3
	ds_bpermute_b32 v3, v79, v2
	s_waitcnt lgkmcnt(0)
	v_max_f32_e32 v3, v3, v3
	v_max_f32_e32 v2, v2, v3
	ds_bpermute_b32 v3, v80, v2
	;; [unrolled: 4-line block ×4, first 2 shown]
	s_and_saveexec_b64 s[50:51], s[14:15]
	s_xor_b64 s[14:15], exec, s[50:51]
	s_cbranch_execz .LBB87_46
; %bb.45:                               ;   in Loop: Header=BB87_8 Depth=1
	v_add_f32_e64 v2, |v41|, |v41|
	v_mul_f32_e32 v3, 0x3fb8aa3b, v2
	v_rndne_f32_e32 v43, v3
	v_sub_f32_e32 v87, v3, v43
	v_fma_f32 v3, v2, s41, -v3
	v_fmac_f32_e32 v3, 0x32a5705f, v2
	v_add_f32_e32 v3, v87, v3
	v_cvt_i32_f32_e32 v43, v43
	v_exp_f32_e32 v3, v3
	v_cmp_ngt_f32_e32 vcc, s42, v2
	v_ldexp_f32 v3, v3, v43
	v_cndmask_b32_e32 v3, 0, v3, vcc
	v_cmp_nlt_f32_e32 vcc, s43, v2
	v_cndmask_b32_e32 v2, v62, v3, vcc
	v_add_f32_e32 v2, 1.0, v2
	v_rcp_f32_e32 v2, v2
	v_fma_f32 v87, v2, -2.0, 1.0
.LBB87_46:                              ;   in Loop: Header=BB87_8 Depth=1
	s_andn2_saveexec_b64 s[14:15], s[14:15]
; %bb.47:                               ;   in Loop: Header=BB87_8 Depth=1
	v_mul_f32_e32 v2, v41, v41
	v_mov_b32_e32 v3, 0x3ca908c9
	v_fmac_f32_e32 v3, 0xbbbac73d, v2
	v_fma_f32 v3, v2, v3, v58
	v_fma_f32 v3, v2, v3, v59
	;; [unrolled: 1-line block ×3, first 2 shown]
	v_mul_f32_e64 v3, |v41|, v3
	v_fma_f32 v87, v2, v3, |v41|
; %bb.48:                               ;   in Loop: Header=BB87_8 Depth=1
	s_or_b64 exec, exec, s[14:15]
	v_add_u32_e32 v2, v77, v53
	s_and_b64 vcc, exec, s[6:7]
	v_ashrrev_i32_e32 v3, 31, v2
	s_cbranch_vccnz .LBB87_61
; %bb.49:                               ;   in Loop: Header=BB87_8 Depth=1
	v_lshlrev_b64 v[88:89], 1, v[2:3]
	v_mov_b32_e32 v43, s45
	v_add_co_u32_e32 v88, vcc, s44, v88
	v_addc_co_u32_e32 v89, vcc, v43, v89, vcc
	global_load_ushort v43, v[88:89], off
	s_waitcnt vmcnt(0)
	v_cvt_f32_f16_e32 v43, v43
	v_mul_f32_e32 v43, v26, v43
	v_cmp_nlt_f32_e64 s[14:15], |v42|, s40
                                        ; implicit-def: $vgpr88
	s_and_saveexec_b64 s[50:51], s[14:15]
	s_xor_b64 s[14:15], exec, s[50:51]
	s_cbranch_execz .LBB87_51
.LBB87_50:                              ;   in Loop: Header=BB87_8 Depth=1
	v_add_f32_e64 v77, |v42|, |v42|
	v_mul_f32_e32 v88, 0x3fb8aa3b, v77
	v_rndne_f32_e32 v89, v88
	v_sub_f32_e32 v90, v88, v89
	v_fma_f32 v88, v77, s41, -v88
	v_fmac_f32_e32 v88, 0x32a5705f, v77
	v_add_f32_e32 v88, v90, v88
	v_cvt_i32_f32_e32 v89, v89
	v_exp_f32_e32 v88, v88
	v_cmp_ngt_f32_e32 vcc, s42, v77
	v_ldexp_f32 v88, v88, v89
	v_cndmask_b32_e32 v88, 0, v88, vcc
	v_cmp_nlt_f32_e32 vcc, s43, v77
	v_cndmask_b32_e32 v77, v62, v88, vcc
	v_add_f32_e32 v77, 1.0, v77
	v_rcp_f32_e32 v77, v77
	v_fma_f32 v88, v77, -2.0, 1.0
.LBB87_51:                              ;   in Loop: Header=BB87_8 Depth=1
	s_andn2_saveexec_b64 s[14:15], s[14:15]
	s_cbranch_execz .LBB87_54
; %bb.52:                               ;   in Loop: Header=BB87_8 Depth=1
	v_mul_f32_e32 v77, v42, v42
	v_mov_b32_e32 v88, 0x3ca908c9
	v_fmac_f32_e32 v88, 0xbbbac73d, v77
	v_fma_f32 v88, v77, v88, v58
	v_fma_f32 v88, v77, v88, v59
	;; [unrolled: 1-line block ×3, first 2 shown]
	v_mul_f32_e64 v88, |v42|, v88
	v_fma_f32 v88, v77, v88, |v42|
	s_or_b64 exec, exec, s[14:15]
	s_and_b64 vcc, exec, s[6:7]
	s_cbranch_vccz .LBB87_55
.LBB87_53:                              ;   in Loop: Header=BB87_8 Depth=1
	v_mov_b32_e32 v77, 0
	s_branch .LBB87_56
.LBB87_54:                              ;   in Loop: Header=BB87_8 Depth=1
	s_or_b64 exec, exec, s[14:15]
	s_and_b64 vcc, exec, s[6:7]
	s_cbranch_vccnz .LBB87_53
.LBB87_55:                              ;   in Loop: Header=BB87_8 Depth=1
	v_lshlrev_b64 v[2:3], 1, v[2:3]
	v_mov_b32_e32 v77, s45
	v_add_co_u32_e32 v2, vcc, s44, v2
	v_addc_co_u32_e32 v3, vcc, v77, v3, vcc
	global_load_ushort v2, v[2:3], off offset:64
	s_waitcnt vmcnt(0)
	v_cvt_f32_f16_e32 v2, v2
	v_mul_f32_e32 v77, v26, v2
.LBB87_56:                              ;   in Loop: Header=BB87_8 Depth=1
	v_bfi_b32 v2, s47, v88, v42
	v_bfi_b32 v3, s47, v87, v41
	v_fmac_f32_e32 v43, s19, v3
	v_fmac_f32_e32 v77, s19, v2
	v_add_f32_e32 v3, 0x40051340, v43
	v_add_f32_e32 v2, 0x40051340, v77
	v_max3_f32 v2, v65, v3, v2
	ds_bpermute_b32 v3, v4, v2
	s_waitcnt lgkmcnt(1)
	v_max_f32_e32 v4, v86, v86
	v_max_f32_e32 v41, v44, v44
	;; [unrolled: 1-line block ×4, first 2 shown]
	s_waitcnt lgkmcnt(0)
	v_max_f32_e32 v3, v3, v3
	v_max_f32_e32 v2, v2, v3
	ds_bpermute_b32 v3, v79, v2
	v_max_f32_e32 v44, v84, v84
	v_max_f32_e32 v79, v82, v82
	;; [unrolled: 1-line block ×3, first 2 shown]
	s_mul_hi_i32 s7, s22, s8
	s_waitcnt lgkmcnt(0)
	v_max_f32_e32 v3, v3, v3
	v_max_f32_e32 v2, v2, v3
	ds_bpermute_b32 v80, v80, v2
	v_max_f32_e32 v3, v44, v42
	v_sub_f32_e32 v69, v69, v3
	s_mul_i32 s6, s22, s8
	s_lshl_b64 s[6:7], s[6:7], 2
	s_waitcnt lgkmcnt(0)
	v_max_f32_e32 v41, v80, v80
	v_max_f32_e32 v41, v2, v41
	ds_bpermute_b32 v42, v75, v41
	v_max_f32_e32 v2, v81, v79
	v_sub_f32_e32 v44, v5, v2
	v_mul_f32_e32 v5, 0x3fb8aa3b, v44
	v_fma_f32 v75, v44, s41, -v5
	s_waitcnt lgkmcnt(0)
	v_max_f32_e32 v42, v42, v42
	v_max_f32_e32 v41, v41, v42
	ds_bpermute_b32 v42, v74, v41
	v_rndne_f32_e32 v74, v5
	v_fmac_f32_e32 v75, 0x32a5705f, v44
	v_sub_f32_e32 v5, v5, v74
	v_add_f32_e32 v75, v5, v75
	s_waitcnt lgkmcnt(0)
	v_max_f32_e32 v5, v42, v42
	v_max_f32_e32 v5, v41, v5
	v_exp_f32_e32 v41, v75
	v_cvt_i32_f32_e32 v42, v74
	v_sub_f32_e32 v75, v71, v2
	v_cmp_ngt_f32_e32 vcc, s42, v44
	s_add_u32 s6, s16, s6
	v_ldexp_f32 v41, v41, v42
	v_sub_f32_e32 v42, v76, v2
	v_mul_f32_e32 v71, 0x3fb8aa3b, v42
	v_fma_f32 v74, v42, s41, -v71
	v_rndne_f32_e32 v76, v71
	v_fmac_f32_e32 v74, 0x32a5705f, v42
	v_sub_f32_e32 v71, v71, v76
	v_add_f32_e32 v71, v71, v74
	v_exp_f32_e32 v74, v71
	v_cvt_i32_f32_e32 v76, v76
	v_cndmask_b32_e32 v41, 0, v41, vcc
	v_cmp_nlt_f32_e32 vcc, s43, v44
	v_cndmask_b32_e32 v41, v62, v41, vcc
	v_ldexp_f32 v44, v74, v76
	v_mul_f32_e32 v74, 0x3fb8aa3b, v75
	v_fma_f32 v76, v75, s41, -v74
	v_rndne_f32_e32 v79, v74
	v_fmac_f32_e32 v76, 0x32a5705f, v75
	v_sub_f32_e32 v74, v74, v79
	v_add_f32_e32 v74, v74, v76
	v_exp_f32_e32 v76, v74
	v_cvt_i32_f32_e32 v79, v79
	v_cmp_ngt_f32_e32 vcc, s42, v42
	v_cndmask_b32_e32 v44, 0, v44, vcc
	v_cmp_nlt_f32_e32 vcc, s43, v42
	v_cndmask_b32_e32 v44, v62, v44, vcc
	v_cvt_f16_f32_e32 v71, v41
	v_add_f32_e32 v42, v41, v44
	v_ldexp_f32 v41, v76, v79
	v_cmp_ngt_f32_e32 vcc, s42, v75
	v_cndmask_b32_e32 v41, 0, v41, vcc
	v_cmp_nlt_f32_e32 vcc, s43, v75
	v_cvt_f16_f32_e32 v74, v44
	v_cndmask_b32_e32 v41, v62, v41, vcc
	v_sub_f32_e32 v44, v78, v3
	v_fmac_f32_e32 v42, v70, v41
	v_mul_f32_e32 v70, 0x3fb8aa3b, v44
	v_fma_f32 v75, v44, s41, -v70
	v_rndne_f32_e32 v76, v70
	v_fmac_f32_e32 v75, 0x32a5705f, v44
	v_sub_f32_e32 v70, v70, v76
	v_add_f32_e32 v70, v70, v75
	v_cvt_f16_f32_e32 v41, v41
	v_exp_f32_e32 v75, v70
	v_cvt_i32_f32_e32 v76, v76
	v_cmp_ngt_f32_e32 vcc, s42, v44
	v_mul_u32_u24_e32 v70, 0x10001, v41
	s_addc_u32 s7, s17, s7
	v_ldexp_f32 v41, v75, v76
	v_sub_f32_e32 v75, v83, v3
	v_mul_f32_e32 v76, 0x3fb8aa3b, v75
	v_fma_f32 v78, v75, s41, -v76
	v_rndne_f32_e32 v79, v76
	v_fmac_f32_e32 v78, 0x32a5705f, v75
	v_sub_f32_e32 v76, v76, v79
	v_add_f32_e32 v76, v76, v78
	v_exp_f32_e32 v76, v76
	v_cvt_i32_f32_e32 v78, v79
	v_cndmask_b32_e32 v41, 0, v41, vcc
	v_cmp_nlt_f32_e32 vcc, s43, v44
	v_cndmask_b32_e32 v41, v62, v41, vcc
	v_ldexp_f32 v44, v76, v78
	v_mul_f32_e32 v76, 0x3fb8aa3b, v69
	v_fma_f32 v78, v69, s41, -v76
	v_rndne_f32_e32 v79, v76
	v_fmac_f32_e32 v78, 0x32a5705f, v69
	v_sub_f32_e32 v76, v76, v79
	v_add_f32_e32 v76, v76, v78
	v_exp_f32_e32 v76, v76
	v_cvt_i32_f32_e32 v78, v79
	v_cmp_ngt_f32_e32 vcc, s42, v75
	v_cndmask_b32_e32 v44, 0, v44, vcc
	v_cmp_nlt_f32_e32 vcc, s43, v75
	v_cndmask_b32_e32 v44, v62, v44, vcc
	v_cvt_f16_f32_e32 v86, v41
	v_add_f32_e32 v41, v41, v44
	v_cvt_f16_f32_e32 v75, v44
	v_ldexp_f32 v44, v76, v78
	v_cmp_ngt_f32_e32 vcc, s42, v69
	v_cndmask_b32_e32 v44, 0, v44, vcc
	v_cmp_nlt_f32_e32 vcc, s43, v69
	v_cndmask_b32_e32 v44, v62, v44, vcc
	v_fmac_f32_e32 v41, v68, v44
	v_sub_f32_e32 v68, v72, v4
	v_mul_f32_e32 v69, 0x3fb8aa3b, v68
	v_fma_f32 v72, v68, s41, -v69
	v_rndne_f32_e32 v76, v69
	v_fmac_f32_e32 v72, 0x32a5705f, v68
	v_sub_f32_e32 v69, v69, v76
	v_add_f32_e32 v69, v69, v72
	v_cvt_f16_f32_e32 v44, v44
	v_exp_f32_e32 v69, v69
	v_cvt_i32_f32_e32 v72, v76
	v_sub_f32_e32 v76, v67, v4
	v_mul_u32_u24_e32 v87, 0x10001, v44
	v_cmp_ngt_f32_e32 vcc, s42, v68
	v_ldexp_f32 v44, v69, v72
	v_sub_f32_e32 v69, v73, v4
	v_mul_f32_e32 v67, 0x3fb8aa3b, v69
	v_fma_f32 v72, v69, s41, -v67
	v_rndne_f32_e32 v73, v67
	v_fmac_f32_e32 v72, 0x32a5705f, v69
	v_sub_f32_e32 v67, v67, v73
	v_add_f32_e32 v67, v67, v72
	v_exp_f32_e32 v67, v67
	v_cvt_i32_f32_e32 v72, v73
	v_cndmask_b32_e32 v44, 0, v44, vcc
	v_cmp_nlt_f32_e32 vcc, s43, v68
	v_cndmask_b32_e32 v44, v62, v44, vcc
	v_ldexp_f32 v89, v67, v72
	v_mov_b32_e32 v67, s7
	v_add_co_u32_e32 v68, vcc, s6, v10
	v_addc_co_u32_e32 v72, vcc, v67, v11, vcc
	v_add_co_u32_e32 v67, vcc, v68, v61
	v_addc_co_u32_e32 v68, vcc, 0, v72, vcc
	v_mov_b32_e32 v72, s7
	v_add_co_u32_e32 v73, vcc, s6, v12
	v_addc_co_u32_e32 v78, vcc, v72, v13, vcc
	v_add_co_u32_e32 v72, vcc, v73, v61
	s_barrier
	v_addc_co_u32_e32 v73, vcc, 0, v78, vcc
	global_load_dwordx4 v[78:81], v[67:68], off
	global_load_dwordx4 v[82:85], v[72:73], off
	v_mul_f32_e32 v68, 0x3fb8aa3b, v76
	v_fma_f32 v72, v76, s41, -v68
	v_rndne_f32_e32 v73, v68
	v_fmac_f32_e32 v72, 0x32a5705f, v76
	v_sub_f32_e32 v68, v68, v73
	v_add_f32_e32 v68, v68, v72
	v_exp_f32_e32 v68, v68
	v_cvt_i32_f32_e32 v72, v73
	v_cmp_ngt_f32_e32 vcc, s42, v69
	v_cndmask_b32_e32 v67, 0, v89, vcc
	v_cmp_nlt_f32_e32 vcc, s43, v69
	v_cndmask_b32_e32 v67, v62, v67, vcc
	v_ldexp_f32 v68, v68, v72
	v_cmp_ngt_f32_e32 vcc, s42, v76
	v_cndmask_b32_e32 v68, 0, v68, vcc
	v_cmp_nlt_f32_e32 vcc, s43, v76
	v_cvt_f16_f32_e32 v88, v44
	v_add_f32_e32 v44, v44, v67
	v_cndmask_b32_e32 v68, v62, v68, vcc
	v_sub_f32_e32 v43, v43, v5
	v_fmac_f32_e32 v44, v66, v68
	v_cvt_f16_f32_e32 v66, v68
	v_mul_f32_e32 v68, 0x3fb8aa3b, v43
	v_fma_f32 v69, v43, s41, -v68
	v_rndne_f32_e32 v72, v68
	v_fmac_f32_e32 v69, 0x32a5705f, v43
	v_sub_f32_e32 v68, v68, v72
	v_add_f32_e32 v68, v68, v69
	v_exp_f32_e32 v68, v68
	v_cvt_i32_f32_e32 v69, v72
	v_mul_u32_u24_e32 v89, 0x10001, v66
	v_sub_f32_e32 v65, v65, v5
	v_cmp_ngt_f32_e32 vcc, s42, v43
	v_ldexp_f32 v66, v68, v69
	v_sub_f32_e32 v68, v77, v5
	v_mul_f32_e32 v69, 0x3fb8aa3b, v68
	v_fma_f32 v72, v68, s41, -v69
	v_rndne_f32_e32 v73, v69
	v_fmac_f32_e32 v72, 0x32a5705f, v68
	v_sub_f32_e32 v69, v69, v73
	v_add_f32_e32 v69, v69, v72
	v_exp_f32_e32 v69, v69
	v_cvt_i32_f32_e32 v72, v73
	v_cndmask_b32_e32 v66, 0, v66, vcc
	v_cmp_nlt_f32_e32 vcc, s43, v43
	v_cndmask_b32_e32 v43, v62, v66, vcc
	v_ldexp_f32 v69, v69, v72
	v_mul_f32_e32 v72, 0x3fb8aa3b, v65
	v_fma_f32 v73, v65, s41, -v72
	v_rndne_f32_e32 v76, v72
	v_fmac_f32_e32 v73, 0x32a5705f, v65
	v_sub_f32_e32 v72, v72, v76
	v_add_f32_e32 v72, v72, v73
	v_exp_f32_e32 v72, v72
	v_cvt_i32_f32_e32 v73, v76
	v_cmp_ngt_f32_e32 vcc, s42, v68
	v_cndmask_b32_e32 v69, 0, v69, vcc
	v_cmp_nlt_f32_e32 vcc, s43, v68
	v_cndmask_b32_e32 v68, v62, v69, vcc
	v_ldexp_f32 v69, v72, v73
	v_cmp_ngt_f32_e32 vcc, s42, v65
	v_cndmask_b32_e32 v69, 0, v69, vcc
	v_cmp_nlt_f32_e32 vcc, s43, v65
	v_cndmask_b32_e32 v65, v62, v69, vcc
	v_cvt_f16_f32_e32 v69, v65
	v_cvt_f16_f32_e32 v67, v67
	;; [unrolled: 1-line block ×3, first 2 shown]
	v_add_f32_e32 v43, v43, v68
	v_cvt_f16_f32_e32 v68, v68
	v_fmac_f32_e32 v43, v64, v65
	v_mul_u32_u24_e32 v64, 0x10001, v69
	v_pk_mul_f16 v29, v29, v64
	v_pk_mul_f16 v27, v27, v64
	v_add_u32_e32 v69, v54, v23
	v_pack_b32_f16 v65, v88, v66
	v_pack_b32_f16 v64, v71, v86
	;; [unrolled: 1-line block ×4, first 2 shown]
	ds_write2_b64 v69, v[64:65], v[66:67] offset1:32
	s_waitcnt vmcnt(1)
	ds_write_b128 v55, v[78:81]
	s_waitcnt vmcnt(0)
	ds_write_b128 v56, v[82:85]
	s_waitcnt lgkmcnt(0)
	s_barrier
	ds_read_b128 v[64:67], v54
	ds_read2_b64 v[71:74], v23 offset1:32
	ds_read_b128 v[75:78], v54 offset:16
	ds_read_b128 v[79:82], v54 offset:32
	;; [unrolled: 1-line block ×3, first 2 shown]
	s_waitcnt lgkmcnt(4)
	v_mul_u32_u24_sdwa v68, v64, s48 dst_sel:DWORD dst_unused:UNUSED_PAD src0_sel:WORD_0 src1_sel:DWORD
	v_mul_u32_u24_sdwa v64, v64, s48 dst_sel:DWORD dst_unused:UNUSED_PAD src0_sel:WORD_1 src1_sel:DWORD
	s_waitcnt lgkmcnt(3)
	v_pk_mul_f16 v88, v71, v68
	v_pk_mul_f16 v37, v37, v70
	v_mul_u32_u24_sdwa v69, v65, s48 dst_sel:DWORD dst_unused:UNUSED_PAD src0_sel:WORD_0 src1_sel:DWORD
	v_pk_fma_f16 v33, v33, v70, v88
	v_pk_mul_f16 v70, v71, v64
	v_pk_mul_f16 v35, v35, v87
	;; [unrolled: 1-line block ×3, first 2 shown]
	v_mul_u32_u24_sdwa v65, v65, s48 dst_sel:DWORD dst_unused:UNUSED_PAD src0_sel:WORD_1 src1_sel:DWORD
	v_pk_fma_f16 v31, v31, v87, v70
	v_pk_mul_f16 v70, v71, v69
	v_pk_fma_f16 v30, v30, v89, v70
	v_pk_fma_f16 v29, v71, v65, v29
	;; [unrolled: 1-line block ×6, first 2 shown]
	v_mul_u32_u24_sdwa v64, v66, s48 dst_sel:DWORD dst_unused:UNUSED_PAD src0_sel:WORD_0 src1_sel:DWORD
	v_mul_u32_u24_sdwa v65, v66, s48 dst_sel:DWORD dst_unused:UNUSED_PAD src0_sel:WORD_1 src1_sel:DWORD
	v_mul_u32_u24_sdwa v66, v67, s48 dst_sel:DWORD dst_unused:UNUSED_PAD src0_sel:WORD_0 src1_sel:DWORD
	v_mul_u32_u24_sdwa v67, v67, s48 dst_sel:DWORD dst_unused:UNUSED_PAD src0_sel:WORD_1 src1_sel:DWORD
	v_pk_fma_f16 v33, v73, v64, v33
	v_pk_fma_f16 v68, v73, v65, v31
	;; [unrolled: 1-line block ×6, first 2 shown]
	ds_read2_b64 v[29:32], v23 offset0:64 offset1:96
	v_pk_fma_f16 v35, v74, v65, v35
	v_pk_fma_f16 v27, v74, v67, v27
	s_waitcnt lgkmcnt(3)
	v_mul_u32_u24_sdwa v65, v75, s48 dst_sel:DWORD dst_unused:UNUSED_PAD src0_sel:WORD_0 src1_sel:DWORD
	v_mul_u32_u24_sdwa v66, v75, s48 dst_sel:DWORD dst_unused:UNUSED_PAD src0_sel:WORD_1 src1_sel:DWORD
	v_mul_u32_u24_sdwa v67, v76, s48 dst_sel:DWORD dst_unused:UNUSED_PAD src0_sel:WORD_0 src1_sel:DWORD
	v_mul_u32_u24_sdwa v71, v76, s48 dst_sel:DWORD dst_unused:UNUSED_PAD src0_sel:WORD_1 src1_sel:DWORD
	s_waitcnt lgkmcnt(0)
	v_pk_fma_f16 v33, v29, v65, v33
	v_pk_fma_f16 v68, v29, v66, v68
	;; [unrolled: 1-line block ×8, first 2 shown]
	v_mul_u32_u24_sdwa v30, v77, s48 dst_sel:DWORD dst_unused:UNUSED_PAD src0_sel:WORD_0 src1_sel:DWORD
	v_mul_u32_u24_sdwa v65, v77, s48 dst_sel:DWORD dst_unused:UNUSED_PAD src0_sel:WORD_1 src1_sel:DWORD
	v_mul_u32_u24_sdwa v66, v78, s48 dst_sel:DWORD dst_unused:UNUSED_PAD src0_sel:WORD_0 src1_sel:DWORD
	v_mul_u32_u24_sdwa v67, v78, s48 dst_sel:DWORD dst_unused:UNUSED_PAD src0_sel:WORD_1 src1_sel:DWORD
	v_pk_fma_f16 v33, v31, v30, v33
	v_pk_fma_f16 v68, v31, v65, v68
	;; [unrolled: 1-line block ×8, first 2 shown]
	ds_read2_b64 v[29:32], v23 offset0:128 offset1:160
	v_mul_u32_u24_sdwa v65, v79, s48 dst_sel:DWORD dst_unused:UNUSED_PAD src0_sel:WORD_0 src1_sel:DWORD
	v_mul_u32_u24_sdwa v66, v79, s48 dst_sel:DWORD dst_unused:UNUSED_PAD src0_sel:WORD_1 src1_sel:DWORD
	v_mul_u32_u24_sdwa v67, v80, s48 dst_sel:DWORD dst_unused:UNUSED_PAD src0_sel:WORD_0 src1_sel:DWORD
	v_mul_u32_u24_sdwa v71, v80, s48 dst_sel:DWORD dst_unused:UNUSED_PAD src0_sel:WORD_1 src1_sel:DWORD
	s_waitcnt lgkmcnt(0)
	v_pk_fma_f16 v33, v29, v65, v33
	v_pk_fma_f16 v68, v29, v66, v68
	;; [unrolled: 1-line block ×8, first 2 shown]
	v_mul_u32_u24_sdwa v30, v81, s48 dst_sel:DWORD dst_unused:UNUSED_PAD src0_sel:WORD_0 src1_sel:DWORD
	v_mul_u32_u24_sdwa v65, v81, s48 dst_sel:DWORD dst_unused:UNUSED_PAD src0_sel:WORD_1 src1_sel:DWORD
	v_mul_u32_u24_sdwa v66, v82, s48 dst_sel:DWORD dst_unused:UNUSED_PAD src0_sel:WORD_0 src1_sel:DWORD
	v_mul_u32_u24_sdwa v67, v82, s48 dst_sel:DWORD dst_unused:UNUSED_PAD src0_sel:WORD_1 src1_sel:DWORD
	v_pk_fma_f16 v33, v31, v30, v33
	v_pk_fma_f16 v68, v31, v65, v68
	;; [unrolled: 1-line block ×8, first 2 shown]
	ds_read2_b64 v[29:32], v23 offset0:192 offset1:224
	v_mul_u32_u24_sdwa v65, v83, s48 dst_sel:DWORD dst_unused:UNUSED_PAD src0_sel:WORD_0 src1_sel:DWORD
	v_mul_u32_u24_sdwa v66, v83, s48 dst_sel:DWORD dst_unused:UNUSED_PAD src0_sel:WORD_1 src1_sel:DWORD
	v_mul_u32_u24_sdwa v67, v84, s48 dst_sel:DWORD dst_unused:UNUSED_PAD src0_sel:WORD_0 src1_sel:DWORD
	v_mul_u32_u24_sdwa v71, v84, s48 dst_sel:DWORD dst_unused:UNUSED_PAD src0_sel:WORD_1 src1_sel:DWORD
	s_waitcnt lgkmcnt(0)
	v_pk_fma_f16 v33, v29, v65, v33
	v_pk_fma_f16 v68, v29, v66, v68
	;; [unrolled: 1-line block ×6, first 2 shown]
	v_mul_u32_u24_sdwa v65, v85, s48 dst_sel:DWORD dst_unused:UNUSED_PAD src0_sel:WORD_1 src1_sel:DWORD
	v_mul_u32_u24_sdwa v66, v86, s48 dst_sel:DWORD dst_unused:UNUSED_PAD src0_sel:WORD_0 src1_sel:DWORD
	v_pk_fma_f16 v29, v29, v71, v70
	v_pk_fma_f16 v27, v30, v71, v27
	v_mul_u32_u24_sdwa v70, v86, s48 dst_sel:DWORD dst_unused:UNUSED_PAD src0_sel:WORD_1 src1_sel:DWORD
	v_pk_fma_f16 v72, v31, v65, v68
	v_pk_fma_f16 v73, v31, v66, v69
	;; [unrolled: 1-line block ×4, first 2 shown]
	ds_read_b128 v[64:67], v54 offset:64
	v_mul_u32_u24_sdwa v30, v85, s48 dst_sel:DWORD dst_unused:UNUSED_PAD src0_sel:WORD_0 src1_sel:DWORD
	v_pk_fma_f16 v76, v32, v70, v27
	v_add_u32_e32 v27, 0x800, v23
	v_pk_fma_f16 v33, v31, v30, v33
	v_pk_fma_f16 v74, v31, v70, v29
	v_pk_fma_f16 v37, v32, v30, v37
	ds_read2_b64 v[29:32], v27 offset1:32
	ds_read_b128 v[68:71], v54 offset:80
	s_waitcnt lgkmcnt(2)
	v_mul_u32_u24_sdwa v77, v64, s48 dst_sel:DWORD dst_unused:UNUSED_PAD src0_sel:WORD_0 src1_sel:DWORD
	v_mul_u32_u24_sdwa v64, v64, s48 dst_sel:DWORD dst_unused:UNUSED_PAD src0_sel:WORD_1 src1_sel:DWORD
	v_mul_u32_u24_sdwa v78, v65, s48 dst_sel:DWORD dst_unused:UNUSED_PAD src0_sel:WORD_0 src1_sel:DWORD
	v_mul_u32_u24_sdwa v65, v65, s48 dst_sel:DWORD dst_unused:UNUSED_PAD src0_sel:WORD_1 src1_sel:DWORD
	s_waitcnt lgkmcnt(1)
	v_pk_fma_f16 v33, v29, v77, v33
	v_pk_fma_f16 v72, v29, v64, v72
	;; [unrolled: 1-line block ×8, first 2 shown]
	v_mul_u32_u24_sdwa v65, v66, s48 dst_sel:DWORD dst_unused:UNUSED_PAD src0_sel:WORD_0 src1_sel:DWORD
	v_mul_u32_u24_sdwa v66, v66, s48 dst_sel:DWORD dst_unused:UNUSED_PAD src0_sel:WORD_1 src1_sel:DWORD
	v_mul_u32_u24_sdwa v74, v67, s48 dst_sel:DWORD dst_unused:UNUSED_PAD src0_sel:WORD_0 src1_sel:DWORD
	v_mul_u32_u24_sdwa v67, v67, s48 dst_sel:DWORD dst_unused:UNUSED_PAD src0_sel:WORD_1 src1_sel:DWORD
	v_pk_fma_f16 v33, v31, v65, v33
	v_pk_fma_f16 v72, v31, v66, v72
	;; [unrolled: 1-line block ×8, first 2 shown]
	ds_read2_b64 v[29:32], v27 offset0:64 offset1:96
	s_waitcnt lgkmcnt(1)
	v_mul_u32_u24_sdwa v66, v68, s48 dst_sel:DWORD dst_unused:UNUSED_PAD src0_sel:WORD_0 src1_sel:DWORD
	v_mul_u32_u24_sdwa v67, v68, s48 dst_sel:DWORD dst_unused:UNUSED_PAD src0_sel:WORD_1 src1_sel:DWORD
	v_mul_u32_u24_sdwa v68, v69, s48 dst_sel:DWORD dst_unused:UNUSED_PAD src0_sel:WORD_0 src1_sel:DWORD
	v_mul_u32_u24_sdwa v69, v69, s48 dst_sel:DWORD dst_unused:UNUSED_PAD src0_sel:WORD_1 src1_sel:DWORD
	s_waitcnt lgkmcnt(0)
	v_pk_fma_f16 v33, v29, v66, v33
	v_pk_fma_f16 v72, v29, v67, v72
	;; [unrolled: 1-line block ×7, first 2 shown]
	v_mul_u32_u24_sdwa v64, v70, s48 dst_sel:DWORD dst_unused:UNUSED_PAD src0_sel:WORD_0 src1_sel:DWORD
	v_mul_u32_u24_sdwa v65, v70, s48 dst_sel:DWORD dst_unused:UNUSED_PAD src0_sel:WORD_1 src1_sel:DWORD
	v_pk_fma_f16 v33, v31, v64, v33
	v_pk_fma_f16 v72, v31, v65, v72
	;; [unrolled: 1-line block ×4, first 2 shown]
	ds_read_b128 v[64:67], v54 offset:96
	v_pk_fma_f16 v29, v29, v69, v75
	v_mul_u32_u24_sdwa v69, v71, s48 dst_sel:DWORD dst_unused:UNUSED_PAD src0_sel:WORD_0 src1_sel:DWORD
	v_mul_u32_u24_sdwa v70, v71, s48 dst_sel:DWORD dst_unused:UNUSED_PAD src0_sel:WORD_1 src1_sel:DWORD
	v_pk_fma_f16 v73, v31, v69, v73
	v_pk_fma_f16 v74, v31, v70, v29
	v_pk_fma_f16 v75, v32, v69, v68
	v_pk_fma_f16 v76, v32, v70, v30
	ds_read2_b64 v[29:32], v27 offset0:128 offset1:160
	ds_read_b128 v[68:71], v54 offset:112
	s_waitcnt lgkmcnt(2)
	v_mul_u32_u24_sdwa v77, v64, s48 dst_sel:DWORD dst_unused:UNUSED_PAD src0_sel:WORD_0 src1_sel:DWORD
	v_mul_u32_u24_sdwa v64, v64, s48 dst_sel:DWORD dst_unused:UNUSED_PAD src0_sel:WORD_1 src1_sel:DWORD
	v_mul_u32_u24_sdwa v78, v65, s48 dst_sel:DWORD dst_unused:UNUSED_PAD src0_sel:WORD_0 src1_sel:DWORD
	v_mul_u32_u24_sdwa v65, v65, s48 dst_sel:DWORD dst_unused:UNUSED_PAD src0_sel:WORD_1 src1_sel:DWORD
	s_waitcnt lgkmcnt(1)
	v_pk_fma_f16 v33, v29, v77, v33
	v_pk_fma_f16 v72, v29, v64, v72
	;; [unrolled: 1-line block ×8, first 2 shown]
	v_mul_u32_u24_sdwa v65, v66, s48 dst_sel:DWORD dst_unused:UNUSED_PAD src0_sel:WORD_0 src1_sel:DWORD
	v_mul_u32_u24_sdwa v66, v66, s48 dst_sel:DWORD dst_unused:UNUSED_PAD src0_sel:WORD_1 src1_sel:DWORD
	v_mul_u32_u24_sdwa v74, v67, s48 dst_sel:DWORD dst_unused:UNUSED_PAD src0_sel:WORD_0 src1_sel:DWORD
	v_mul_u32_u24_sdwa v67, v67, s48 dst_sel:DWORD dst_unused:UNUSED_PAD src0_sel:WORD_1 src1_sel:DWORD
	v_pk_fma_f16 v33, v31, v65, v33
	v_pk_fma_f16 v72, v31, v66, v72
	;; [unrolled: 1-line block ×8, first 2 shown]
	ds_read2_b64 v[29:32], v27 offset0:192 offset1:224
	s_waitcnt lgkmcnt(1)
	v_mul_u32_u24_sdwa v66, v68, s48 dst_sel:DWORD dst_unused:UNUSED_PAD src0_sel:WORD_0 src1_sel:DWORD
	v_mul_u32_u24_sdwa v67, v68, s48 dst_sel:DWORD dst_unused:UNUSED_PAD src0_sel:WORD_1 src1_sel:DWORD
	v_mul_u32_u24_sdwa v68, v69, s48 dst_sel:DWORD dst_unused:UNUSED_PAD src0_sel:WORD_0 src1_sel:DWORD
	v_mul_u32_u24_sdwa v69, v69, s48 dst_sel:DWORD dst_unused:UNUSED_PAD src0_sel:WORD_1 src1_sel:DWORD
	s_waitcnt lgkmcnt(0)
	v_pk_fma_f16 v33, v29, v66, v33
	v_pk_fma_f16 v72, v29, v67, v72
	;; [unrolled: 1-line block ×7, first 2 shown]
	v_mul_u32_u24_sdwa v65, v70, s48 dst_sel:DWORD dst_unused:UNUSED_PAD src0_sel:WORD_0 src1_sel:DWORD
	v_mul_u32_u24_sdwa v66, v70, s48 dst_sel:DWORD dst_unused:UNUSED_PAD src0_sel:WORD_1 src1_sel:DWORD
	v_mul_u32_u24_sdwa v67, v71, s48 dst_sel:DWORD dst_unused:UNUSED_PAD src0_sel:WORD_0 src1_sel:DWORD
	v_pk_fma_f16 v29, v29, v69, v75
	v_mul_u32_u24_sdwa v68, v71, s48 dst_sel:DWORD dst_unused:UNUSED_PAD src0_sel:WORD_1 src1_sel:DWORD
	v_pk_fma_f16 v74, v31, v65, v33
	v_pk_fma_f16 v72, v31, v66, v72
	;; [unrolled: 1-line block ×6, first 2 shown]
	ds_read_b128 v[64:67], v54 offset:128
	v_pk_fma_f16 v75, v31, v68, v29
	v_add_u32_e32 v29, 0x1000, v23
	v_pk_fma_f16 v77, v32, v68, v30
	ds_read2_b64 v[30:33], v29 offset1:32
	ds_read_b128 v[68:71], v54 offset:144
	s_waitcnt lgkmcnt(2)
	v_mul_u32_u24_sdwa v78, v64, s48 dst_sel:DWORD dst_unused:UNUSED_PAD src0_sel:WORD_0 src1_sel:DWORD
	v_mul_u32_u24_sdwa v64, v64, s48 dst_sel:DWORD dst_unused:UNUSED_PAD src0_sel:WORD_1 src1_sel:DWORD
	v_mul_u32_u24_sdwa v79, v65, s48 dst_sel:DWORD dst_unused:UNUSED_PAD src0_sel:WORD_0 src1_sel:DWORD
	v_mul_u32_u24_sdwa v65, v65, s48 dst_sel:DWORD dst_unused:UNUSED_PAD src0_sel:WORD_1 src1_sel:DWORD
	s_waitcnt lgkmcnt(1)
	v_pk_fma_f16 v74, v30, v78, v74
	v_pk_fma_f16 v72, v30, v64, v72
	;; [unrolled: 1-line block ×8, first 2 shown]
	v_mul_u32_u24_sdwa v65, v66, s48 dst_sel:DWORD dst_unused:UNUSED_PAD src0_sel:WORD_0 src1_sel:DWORD
	v_mul_u32_u24_sdwa v66, v66, s48 dst_sel:DWORD dst_unused:UNUSED_PAD src0_sel:WORD_1 src1_sel:DWORD
	v_mul_u32_u24_sdwa v75, v67, s48 dst_sel:DWORD dst_unused:UNUSED_PAD src0_sel:WORD_0 src1_sel:DWORD
	v_mul_u32_u24_sdwa v67, v67, s48 dst_sel:DWORD dst_unused:UNUSED_PAD src0_sel:WORD_1 src1_sel:DWORD
	v_pk_fma_f16 v74, v32, v65, v74
	v_pk_fma_f16 v72, v32, v66, v72
	;; [unrolled: 1-line block ×8, first 2 shown]
	ds_read2_b64 v[30:33], v29 offset0:64 offset1:96
	s_waitcnt lgkmcnt(1)
	v_mul_u32_u24_sdwa v66, v68, s48 dst_sel:DWORD dst_unused:UNUSED_PAD src0_sel:WORD_0 src1_sel:DWORD
	v_mul_u32_u24_sdwa v67, v68, s48 dst_sel:DWORD dst_unused:UNUSED_PAD src0_sel:WORD_1 src1_sel:DWORD
	v_mul_u32_u24_sdwa v68, v69, s48 dst_sel:DWORD dst_unused:UNUSED_PAD src0_sel:WORD_0 src1_sel:DWORD
	v_mul_u32_u24_sdwa v69, v69, s48 dst_sel:DWORD dst_unused:UNUSED_PAD src0_sel:WORD_1 src1_sel:DWORD
	s_waitcnt lgkmcnt(0)
	v_pk_fma_f16 v74, v30, v66, v74
	v_pk_fma_f16 v72, v30, v67, v72
	;; [unrolled: 1-line block ×7, first 2 shown]
	v_mul_u32_u24_sdwa v64, v70, s48 dst_sel:DWORD dst_unused:UNUSED_PAD src0_sel:WORD_0 src1_sel:DWORD
	v_mul_u32_u24_sdwa v65, v70, s48 dst_sel:DWORD dst_unused:UNUSED_PAD src0_sel:WORD_1 src1_sel:DWORD
	v_pk_fma_f16 v74, v32, v64, v74
	v_pk_fma_f16 v72, v32, v65, v72
	v_pk_fma_f16 v37, v33, v64, v37
	v_pk_fma_f16 v35, v33, v65, v35
	ds_read_b128 v[64:67], v54 offset:160
	v_pk_fma_f16 v30, v30, v69, v76
	v_mul_u32_u24_sdwa v69, v71, s48 dst_sel:DWORD dst_unused:UNUSED_PAD src0_sel:WORD_0 src1_sel:DWORD
	v_mul_u32_u24_sdwa v70, v71, s48 dst_sel:DWORD dst_unused:UNUSED_PAD src0_sel:WORD_1 src1_sel:DWORD
	v_pk_fma_f16 v73, v32, v69, v73
	v_pk_fma_f16 v75, v32, v70, v30
	;; [unrolled: 1-line block ×4, first 2 shown]
	ds_read2_b64 v[30:33], v29 offset0:128 offset1:160
	ds_read_b128 v[68:71], v54 offset:176
	s_waitcnt lgkmcnt(2)
	v_mul_u32_u24_sdwa v78, v64, s48 dst_sel:DWORD dst_unused:UNUSED_PAD src0_sel:WORD_0 src1_sel:DWORD
	v_mul_u32_u24_sdwa v64, v64, s48 dst_sel:DWORD dst_unused:UNUSED_PAD src0_sel:WORD_1 src1_sel:DWORD
	v_mul_u32_u24_sdwa v79, v65, s48 dst_sel:DWORD dst_unused:UNUSED_PAD src0_sel:WORD_0 src1_sel:DWORD
	v_mul_u32_u24_sdwa v65, v65, s48 dst_sel:DWORD dst_unused:UNUSED_PAD src0_sel:WORD_1 src1_sel:DWORD
	s_waitcnt lgkmcnt(1)
	v_pk_fma_f16 v74, v30, v78, v74
	v_pk_fma_f16 v72, v30, v64, v72
	;; [unrolled: 1-line block ×8, first 2 shown]
	v_mul_u32_u24_sdwa v65, v66, s48 dst_sel:DWORD dst_unused:UNUSED_PAD src0_sel:WORD_0 src1_sel:DWORD
	v_mul_u32_u24_sdwa v66, v66, s48 dst_sel:DWORD dst_unused:UNUSED_PAD src0_sel:WORD_1 src1_sel:DWORD
	v_mul_u32_u24_sdwa v75, v67, s48 dst_sel:DWORD dst_unused:UNUSED_PAD src0_sel:WORD_0 src1_sel:DWORD
	v_mul_u32_u24_sdwa v67, v67, s48 dst_sel:DWORD dst_unused:UNUSED_PAD src0_sel:WORD_1 src1_sel:DWORD
	v_pk_fma_f16 v74, v32, v65, v74
	v_pk_fma_f16 v72, v32, v66, v72
	;; [unrolled: 1-line block ×8, first 2 shown]
	ds_read2_b64 v[30:33], v29 offset0:192 offset1:224
	s_waitcnt lgkmcnt(1)
	v_mul_u32_u24_sdwa v66, v68, s48 dst_sel:DWORD dst_unused:UNUSED_PAD src0_sel:WORD_0 src1_sel:DWORD
	v_mul_u32_u24_sdwa v67, v68, s48 dst_sel:DWORD dst_unused:UNUSED_PAD src0_sel:WORD_1 src1_sel:DWORD
	v_mul_u32_u24_sdwa v68, v69, s48 dst_sel:DWORD dst_unused:UNUSED_PAD src0_sel:WORD_0 src1_sel:DWORD
	v_mul_u32_u24_sdwa v69, v69, s48 dst_sel:DWORD dst_unused:UNUSED_PAD src0_sel:WORD_1 src1_sel:DWORD
	s_waitcnt lgkmcnt(0)
	v_pk_fma_f16 v74, v30, v66, v74
	v_pk_fma_f16 v72, v30, v67, v72
	;; [unrolled: 1-line block ×7, first 2 shown]
	v_mul_u32_u24_sdwa v65, v70, s48 dst_sel:DWORD dst_unused:UNUSED_PAD src0_sel:WORD_0 src1_sel:DWORD
	v_mul_u32_u24_sdwa v66, v70, s48 dst_sel:DWORD dst_unused:UNUSED_PAD src0_sel:WORD_1 src1_sel:DWORD
	v_mul_u32_u24_sdwa v67, v71, s48 dst_sel:DWORD dst_unused:UNUSED_PAD src0_sel:WORD_0 src1_sel:DWORD
	v_pk_fma_f16 v30, v30, v69, v76
	v_mul_u32_u24_sdwa v68, v71, s48 dst_sel:DWORD dst_unused:UNUSED_PAD src0_sel:WORD_1 src1_sel:DWORD
	v_pk_fma_f16 v76, v32, v65, v74
	v_pk_fma_f16 v77, v32, v66, v72
	;; [unrolled: 1-line block ×6, first 2 shown]
	ds_read_b128 v[64:67], v54 offset:192
	v_pk_fma_f16 v32, v32, v68, v30
	v_add_u32_e32 v30, 0x1800, v23
	s_or_b32 s6, s22, 32
	v_pk_fma_f16 v31, v33, v68, v31
	ds_read2_b64 v[68:71], v30 offset1:32
	ds_read_b128 v[72:75], v54 offset:208
	s_mul_hi_i32 s7, s6, s8
	s_mul_i32 s6, s6, s8
	s_lshl_b64 s[6:7], s[6:7], 2
	s_add_u32 s6, s16, s6
	s_waitcnt lgkmcnt(2)
	v_mul_u32_u24_sdwa v80, v65, s48 dst_sel:DWORD dst_unused:UNUSED_PAD src0_sel:WORD_0 src1_sel:DWORD
	v_mul_u32_u24_sdwa v65, v65, s48 dst_sel:DWORD dst_unused:UNUSED_PAD src0_sel:WORD_1 src1_sel:DWORD
	s_addc_u32 s7, s17, s7
	v_mul_u32_u24_sdwa v33, v64, s48 dst_sel:DWORD dst_unused:UNUSED_PAD src0_sel:WORD_0 src1_sel:DWORD
	v_mul_u32_u24_sdwa v64, v64, s48 dst_sel:DWORD dst_unused:UNUSED_PAD src0_sel:WORD_1 src1_sel:DWORD
	s_waitcnt lgkmcnt(1)
	v_pk_fma_f16 v101, v68, v65, v32
	v_pk_fma_f16 v102, v69, v65, v31
	v_mov_b32_e32 v31, s7
	v_add_co_u32_e32 v32, vcc, s6, v10
	v_pk_fma_f16 v76, v68, v33, v76
	v_pk_fma_f16 v77, v68, v64, v77
	;; [unrolled: 1-line block ×3, first 2 shown]
	v_addc_co_u32_e32 v68, vcc, v31, v11, vcc
	v_add_co_u32_e32 v31, vcc, v32, v61
	v_addc_co_u32_e32 v32, vcc, 0, v68, vcc
	v_pk_fma_f16 v33, v69, v33, v37
	v_pk_fma_f16 v35, v69, v64, v35
	;; [unrolled: 1-line block ×3, first 2 shown]
	v_mov_b32_e32 v68, s7
	v_add_co_u32_e32 v69, vcc, s6, v12
	v_addc_co_u32_e32 v92, vcc, v68, v13, vcc
	v_mul_u32_u24_sdwa v103, v66, s48 dst_sel:DWORD dst_unused:UNUSED_PAD src0_sel:WORD_0 src1_sel:DWORD
	v_mul_u32_u24_sdwa v104, v66, s48 dst_sel:DWORD dst_unused:UNUSED_PAD src0_sel:WORD_1 src1_sel:DWORD
	v_add_co_u32_e32 v68, vcc, v69, v61
	v_mul_u32_u24_sdwa v105, v67, s48 dst_sel:DWORD dst_unused:UNUSED_PAD src0_sel:WORD_0 src1_sel:DWORD
	v_mul_u32_u24_sdwa v106, v67, s48 dst_sel:DWORD dst_unused:UNUSED_PAD src0_sel:WORD_1 src1_sel:DWORD
	v_pk_fma_f16 v107, v70, v103, v76
	v_pk_fma_f16 v108, v70, v104, v77
	ds_read2_b64 v[64:67], v30 offset0:64 offset1:96
	ds_read2_b64 v[76:79], v30 offset0:128 offset1:160
	;; [unrolled: 1-line block ×3, first 2 shown]
	ds_read_b128 v[84:87], v54 offset:224
	ds_read_b128 v[88:91], v54 offset:240
	s_waitcnt lgkmcnt(0)
	s_barrier
	v_addc_co_u32_e32 v69, vcc, 0, v92, vcc
	global_load_dwordx4 v[92:95], v[31:32], off
	global_load_dwordx4 v[96:99], v[68:69], off
	v_pk_fma_f16 v31, v70, v105, v100
	v_pk_fma_f16 v32, v70, v106, v101
	v_pk_fma_f16 v33, v71, v103, v33
	v_pk_fma_f16 v35, v71, v104, v35
	v_pk_fma_f16 v37, v71, v105, v37
	v_pk_fma_f16 v68, v71, v106, v102
	v_mul_u32_u24_sdwa v69, v72, s48 dst_sel:DWORD dst_unused:UNUSED_PAD src0_sel:WORD_0 src1_sel:DWORD
	v_mul_u32_u24_sdwa v70, v72, s48 dst_sel:DWORD dst_unused:UNUSED_PAD src0_sel:WORD_1 src1_sel:DWORD
	v_mul_u32_u24_sdwa v71, v73, s48 dst_sel:DWORD dst_unused:UNUSED_PAD src0_sel:WORD_0 src1_sel:DWORD
	v_mul_u32_u24_sdwa v72, v73, s48 dst_sel:DWORD dst_unused:UNUSED_PAD src0_sel:WORD_1 src1_sel:DWORD
	v_pk_fma_f16 v73, v64, v69, v107
	v_pk_fma_f16 v100, v64, v70, v108
	v_pk_fma_f16 v31, v64, v71, v31
	v_pk_fma_f16 v32, v64, v72, v32
	v_pk_fma_f16 v33, v65, v69, v33
	v_pk_fma_f16 v35, v65, v70, v35
	v_pk_fma_f16 v37, v65, v71, v37
	v_pk_fma_f16 v64, v65, v72, v68
	v_mul_u32_u24_sdwa v65, v74, s48 dst_sel:DWORD dst_unused:UNUSED_PAD src0_sel:WORD_0 src1_sel:DWORD
	v_mul_u32_u24_sdwa v68, v74, s48 dst_sel:DWORD dst_unused:UNUSED_PAD src0_sel:WORD_1 src1_sel:DWORD
	v_mul_u32_u24_sdwa v69, v75, s48 dst_sel:DWORD dst_unused:UNUSED_PAD src0_sel:WORD_0 src1_sel:DWORD
	v_mul_u32_u24_sdwa v70, v75, s48 dst_sel:DWORD dst_unused:UNUSED_PAD src0_sel:WORD_1 src1_sel:DWORD
	v_pk_fma_f16 v71, v66, v65, v73
	v_pk_fma_f16 v72, v66, v68, v100
	;; [unrolled: 12-line block ×6, first 2 shown]
	v_pk_fma_f16 v31, v82, v67, v31
	v_pk_fma_f16 v32, v82, v68, v32
	;; [unrolled: 1-line block ×6, first 2 shown]
	s_waitcnt vmcnt(1)
	ds_write_b128 v55, v[92:95]
	s_waitcnt vmcnt(0)
	ds_write_b128 v56, v[96:99]
	s_waitcnt lgkmcnt(0)
	s_barrier
	ds_read_b128 v[64:67], v54 offset:256
	ds_read2_b64 v[68:71], v23 offset1:32
	ds_read_b128 v[72:75], v54 offset:272
	ds_read_b128 v[76:79], v54 offset:288
	;; [unrolled: 1-line block ×3, first 2 shown]
	s_waitcnt lgkmcnt(4)
	v_mul_u32_u24_sdwa v87, v64, s48 dst_sel:DWORD dst_unused:UNUSED_PAD src0_sel:WORD_0 src1_sel:DWORD
	v_mul_u32_u24_sdwa v64, v64, s48 dst_sel:DWORD dst_unused:UNUSED_PAD src0_sel:WORD_1 src1_sel:DWORD
	v_mul_u32_u24_sdwa v88, v65, s48 dst_sel:DWORD dst_unused:UNUSED_PAD src0_sel:WORD_0 src1_sel:DWORD
	v_mul_u32_u24_sdwa v65, v65, s48 dst_sel:DWORD dst_unused:UNUSED_PAD src0_sel:WORD_1 src1_sel:DWORD
	s_waitcnt lgkmcnt(3)
	v_pk_fma_f16 v84, v68, v87, v84
	v_pk_fma_f16 v85, v68, v64, v85
	;; [unrolled: 1-line block ×8, first 2 shown]
	v_mul_u32_u24_sdwa v65, v66, s48 dst_sel:DWORD dst_unused:UNUSED_PAD src0_sel:WORD_0 src1_sel:DWORD
	v_mul_u32_u24_sdwa v66, v66, s48 dst_sel:DWORD dst_unused:UNUSED_PAD src0_sel:WORD_1 src1_sel:DWORD
	v_mul_u32_u24_sdwa v68, v67, s48 dst_sel:DWORD dst_unused:UNUSED_PAD src0_sel:WORD_0 src1_sel:DWORD
	v_mul_u32_u24_sdwa v67, v67, s48 dst_sel:DWORD dst_unused:UNUSED_PAD src0_sel:WORD_1 src1_sel:DWORD
	v_pk_fma_f16 v69, v70, v65, v84
	v_pk_fma_f16 v84, v70, v66, v85
	;; [unrolled: 1-line block ×8, first 2 shown]
	ds_read2_b64 v[64:67], v23 offset0:64 offset1:96
	s_waitcnt lgkmcnt(3)
	v_mul_u32_u24_sdwa v70, v72, s48 dst_sel:DWORD dst_unused:UNUSED_PAD src0_sel:WORD_0 src1_sel:DWORD
	v_mul_u32_u24_sdwa v71, v72, s48 dst_sel:DWORD dst_unused:UNUSED_PAD src0_sel:WORD_1 src1_sel:DWORD
	v_mul_u32_u24_sdwa v72, v73, s48 dst_sel:DWORD dst_unused:UNUSED_PAD src0_sel:WORD_0 src1_sel:DWORD
	v_mul_u32_u24_sdwa v73, v73, s48 dst_sel:DWORD dst_unused:UNUSED_PAD src0_sel:WORD_1 src1_sel:DWORD
	s_waitcnt lgkmcnt(0)
	v_pk_fma_f16 v69, v64, v70, v69
	v_pk_fma_f16 v84, v64, v71, v84
	v_pk_fma_f16 v31, v64, v72, v31
	v_pk_fma_f16 v32, v64, v73, v32
	v_pk_fma_f16 v33, v65, v70, v33
	v_pk_fma_f16 v35, v65, v71, v35
	v_pk_fma_f16 v37, v65, v72, v37
	v_pk_fma_f16 v64, v65, v73, v68
	v_mul_u32_u24_sdwa v65, v74, s48 dst_sel:DWORD dst_unused:UNUSED_PAD src0_sel:WORD_0 src1_sel:DWORD
	v_mul_u32_u24_sdwa v68, v74, s48 dst_sel:DWORD dst_unused:UNUSED_PAD src0_sel:WORD_1 src1_sel:DWORD
	v_mul_u32_u24_sdwa v70, v75, s48 dst_sel:DWORD dst_unused:UNUSED_PAD src0_sel:WORD_0 src1_sel:DWORD
	v_mul_u32_u24_sdwa v71, v75, s48 dst_sel:DWORD dst_unused:UNUSED_PAD src0_sel:WORD_1 src1_sel:DWORD
	v_pk_fma_f16 v69, v66, v65, v69
	v_pk_fma_f16 v72, v66, v68, v84
	;; [unrolled: 1-line block ×8, first 2 shown]
	ds_read2_b64 v[64:67], v23 offset0:128 offset1:160
	v_mul_u32_u24_sdwa v70, v76, s48 dst_sel:DWORD dst_unused:UNUSED_PAD src0_sel:WORD_0 src1_sel:DWORD
	v_mul_u32_u24_sdwa v71, v76, s48 dst_sel:DWORD dst_unused:UNUSED_PAD src0_sel:WORD_1 src1_sel:DWORD
	v_mul_u32_u24_sdwa v73, v77, s48 dst_sel:DWORD dst_unused:UNUSED_PAD src0_sel:WORD_0 src1_sel:DWORD
	v_mul_u32_u24_sdwa v74, v77, s48 dst_sel:DWORD dst_unused:UNUSED_PAD src0_sel:WORD_1 src1_sel:DWORD
	s_waitcnt lgkmcnt(0)
	v_pk_fma_f16 v69, v64, v70, v69
	v_pk_fma_f16 v72, v64, v71, v72
	;; [unrolled: 1-line block ×8, first 2 shown]
	v_mul_u32_u24_sdwa v65, v78, s48 dst_sel:DWORD dst_unused:UNUSED_PAD src0_sel:WORD_0 src1_sel:DWORD
	v_mul_u32_u24_sdwa v68, v78, s48 dst_sel:DWORD dst_unused:UNUSED_PAD src0_sel:WORD_1 src1_sel:DWORD
	v_mul_u32_u24_sdwa v70, v79, s48 dst_sel:DWORD dst_unused:UNUSED_PAD src0_sel:WORD_0 src1_sel:DWORD
	v_mul_u32_u24_sdwa v71, v79, s48 dst_sel:DWORD dst_unused:UNUSED_PAD src0_sel:WORD_1 src1_sel:DWORD
	v_pk_fma_f16 v69, v66, v65, v69
	v_pk_fma_f16 v72, v66, v68, v72
	;; [unrolled: 1-line block ×8, first 2 shown]
	ds_read2_b64 v[64:67], v23 offset0:192 offset1:224
	v_mul_u32_u24_sdwa v70, v80, s48 dst_sel:DWORD dst_unused:UNUSED_PAD src0_sel:WORD_0 src1_sel:DWORD
	v_mul_u32_u24_sdwa v71, v80, s48 dst_sel:DWORD dst_unused:UNUSED_PAD src0_sel:WORD_1 src1_sel:DWORD
	v_mul_u32_u24_sdwa v73, v81, s48 dst_sel:DWORD dst_unused:UNUSED_PAD src0_sel:WORD_0 src1_sel:DWORD
	v_mul_u32_u24_sdwa v74, v81, s48 dst_sel:DWORD dst_unused:UNUSED_PAD src0_sel:WORD_1 src1_sel:DWORD
	s_waitcnt lgkmcnt(0)
	v_pk_fma_f16 v69, v64, v70, v69
	v_pk_fma_f16 v72, v64, v71, v72
	;; [unrolled: 1-line block ×8, first 2 shown]
	v_mul_u32_u24_sdwa v65, v82, s48 dst_sel:DWORD dst_unused:UNUSED_PAD src0_sel:WORD_0 src1_sel:DWORD
	v_mul_u32_u24_sdwa v68, v82, s48 dst_sel:DWORD dst_unused:UNUSED_PAD src0_sel:WORD_1 src1_sel:DWORD
	v_pk_fma_f16 v76, v66, v65, v69
	v_pk_fma_f16 v77, v66, v68, v72
	v_pk_fma_f16 v35, v67, v68, v35
	ds_read_b128 v[68:71], v54 offset:320
	v_mul_u32_u24_sdwa v73, v83, s48 dst_sel:DWORD dst_unused:UNUSED_PAD src0_sel:WORD_0 src1_sel:DWORD
	v_mul_u32_u24_sdwa v74, v83, s48 dst_sel:DWORD dst_unused:UNUSED_PAD src0_sel:WORD_1 src1_sel:DWORD
	v_pk_fma_f16 v31, v66, v73, v31
	v_pk_fma_f16 v32, v66, v74, v32
	;; [unrolled: 1-line block ×5, first 2 shown]
	ds_read2_b64 v[64:67], v27 offset1:32
	ds_read_b128 v[72:75], v54 offset:336
	s_waitcnt lgkmcnt(2)
	v_mul_u32_u24_sdwa v79, v68, s48 dst_sel:DWORD dst_unused:UNUSED_PAD src0_sel:WORD_0 src1_sel:DWORD
	v_mul_u32_u24_sdwa v68, v68, s48 dst_sel:DWORD dst_unused:UNUSED_PAD src0_sel:WORD_1 src1_sel:DWORD
	v_mul_u32_u24_sdwa v80, v69, s48 dst_sel:DWORD dst_unused:UNUSED_PAD src0_sel:WORD_0 src1_sel:DWORD
	v_mul_u32_u24_sdwa v69, v69, s48 dst_sel:DWORD dst_unused:UNUSED_PAD src0_sel:WORD_1 src1_sel:DWORD
	s_waitcnt lgkmcnt(1)
	v_pk_fma_f16 v76, v64, v79, v76
	v_pk_fma_f16 v77, v64, v68, v77
	;; [unrolled: 1-line block ×8, first 2 shown]
	v_mul_u32_u24_sdwa v65, v70, s48 dst_sel:DWORD dst_unused:UNUSED_PAD src0_sel:WORD_0 src1_sel:DWORD
	v_mul_u32_u24_sdwa v68, v70, s48 dst_sel:DWORD dst_unused:UNUSED_PAD src0_sel:WORD_1 src1_sel:DWORD
	v_mul_u32_u24_sdwa v69, v71, s48 dst_sel:DWORD dst_unused:UNUSED_PAD src0_sel:WORD_0 src1_sel:DWORD
	v_mul_u32_u24_sdwa v70, v71, s48 dst_sel:DWORD dst_unused:UNUSED_PAD src0_sel:WORD_1 src1_sel:DWORD
	v_pk_fma_f16 v71, v66, v65, v76
	v_pk_fma_f16 v76, v66, v68, v77
	;; [unrolled: 1-line block ×8, first 2 shown]
	ds_read2_b64 v[64:67], v27 offset0:64 offset1:96
	s_waitcnt lgkmcnt(1)
	v_mul_u32_u24_sdwa v69, v72, s48 dst_sel:DWORD dst_unused:UNUSED_PAD src0_sel:WORD_0 src1_sel:DWORD
	v_mul_u32_u24_sdwa v70, v72, s48 dst_sel:DWORD dst_unused:UNUSED_PAD src0_sel:WORD_1 src1_sel:DWORD
	v_mul_u32_u24_sdwa v72, v73, s48 dst_sel:DWORD dst_unused:UNUSED_PAD src0_sel:WORD_0 src1_sel:DWORD
	v_mul_u32_u24_sdwa v73, v73, s48 dst_sel:DWORD dst_unused:UNUSED_PAD src0_sel:WORD_1 src1_sel:DWORD
	s_waitcnt lgkmcnt(0)
	v_pk_fma_f16 v71, v64, v69, v71
	v_pk_fma_f16 v76, v64, v70, v76
	;; [unrolled: 1-line block ×8, first 2 shown]
	v_mul_u32_u24_sdwa v65, v74, s48 dst_sel:DWORD dst_unused:UNUSED_PAD src0_sel:WORD_0 src1_sel:DWORD
	v_mul_u32_u24_sdwa v68, v74, s48 dst_sel:DWORD dst_unused:UNUSED_PAD src0_sel:WORD_1 src1_sel:DWORD
	v_pk_fma_f16 v77, v66, v65, v71
	v_pk_fma_f16 v76, v66, v68, v76
	v_pk_fma_f16 v35, v67, v68, v35
	ds_read_b128 v[68:71], v54 offset:352
	v_mul_u32_u24_sdwa v72, v75, s48 dst_sel:DWORD dst_unused:UNUSED_PAD src0_sel:WORD_0 src1_sel:DWORD
	v_mul_u32_u24_sdwa v73, v75, s48 dst_sel:DWORD dst_unused:UNUSED_PAD src0_sel:WORD_1 src1_sel:DWORD
	v_pk_fma_f16 v31, v66, v72, v31
	v_pk_fma_f16 v32, v66, v73, v32
	;; [unrolled: 1-line block ×5, first 2 shown]
	ds_read2_b64 v[64:67], v27 offset0:128 offset1:160
	ds_read_b128 v[72:75], v54 offset:368
	s_waitcnt lgkmcnt(2)
	v_mul_u32_u24_sdwa v79, v68, s48 dst_sel:DWORD dst_unused:UNUSED_PAD src0_sel:WORD_0 src1_sel:DWORD
	v_mul_u32_u24_sdwa v68, v68, s48 dst_sel:DWORD dst_unused:UNUSED_PAD src0_sel:WORD_1 src1_sel:DWORD
	v_mul_u32_u24_sdwa v80, v69, s48 dst_sel:DWORD dst_unused:UNUSED_PAD src0_sel:WORD_0 src1_sel:DWORD
	v_mul_u32_u24_sdwa v69, v69, s48 dst_sel:DWORD dst_unused:UNUSED_PAD src0_sel:WORD_1 src1_sel:DWORD
	s_waitcnt lgkmcnt(1)
	v_pk_fma_f16 v77, v64, v79, v77
	v_pk_fma_f16 v76, v64, v68, v76
	;; [unrolled: 1-line block ×8, first 2 shown]
	v_mul_u32_u24_sdwa v65, v70, s48 dst_sel:DWORD dst_unused:UNUSED_PAD src0_sel:WORD_0 src1_sel:DWORD
	v_mul_u32_u24_sdwa v68, v70, s48 dst_sel:DWORD dst_unused:UNUSED_PAD src0_sel:WORD_1 src1_sel:DWORD
	v_mul_u32_u24_sdwa v69, v71, s48 dst_sel:DWORD dst_unused:UNUSED_PAD src0_sel:WORD_0 src1_sel:DWORD
	v_mul_u32_u24_sdwa v70, v71, s48 dst_sel:DWORD dst_unused:UNUSED_PAD src0_sel:WORD_1 src1_sel:DWORD
	v_pk_fma_f16 v71, v66, v65, v77
	v_pk_fma_f16 v76, v66, v68, v76
	;; [unrolled: 1-line block ×8, first 2 shown]
	ds_read2_b64 v[64:67], v27 offset0:192 offset1:224
	s_waitcnt lgkmcnt(1)
	v_mul_u32_u24_sdwa v27, v72, s48 dst_sel:DWORD dst_unused:UNUSED_PAD src0_sel:WORD_0 src1_sel:DWORD
	v_mul_u32_u24_sdwa v69, v72, s48 dst_sel:DWORD dst_unused:UNUSED_PAD src0_sel:WORD_1 src1_sel:DWORD
	v_mul_u32_u24_sdwa v70, v73, s48 dst_sel:DWORD dst_unused:UNUSED_PAD src0_sel:WORD_0 src1_sel:DWORD
	v_mul_u32_u24_sdwa v72, v73, s48 dst_sel:DWORD dst_unused:UNUSED_PAD src0_sel:WORD_1 src1_sel:DWORD
	s_waitcnt lgkmcnt(0)
	v_pk_fma_f16 v71, v64, v27, v71
	v_pk_fma_f16 v73, v64, v69, v76
	;; [unrolled: 1-line block ×4, first 2 shown]
	v_mul_u32_u24_sdwa v64, v74, s48 dst_sel:DWORD dst_unused:UNUSED_PAD src0_sel:WORD_0 src1_sel:DWORD
	v_pk_fma_f16 v27, v65, v27, v33
	v_pk_fma_f16 v33, v65, v69, v35
	;; [unrolled: 1-line block ×5, first 2 shown]
	ds_read_b128 v[68:71], v54 offset:384
	v_mul_u32_u24_sdwa v65, v74, s48 dst_sel:DWORD dst_unused:UNUSED_PAD src0_sel:WORD_1 src1_sel:DWORD
	v_mul_u32_u24_sdwa v72, v75, s48 dst_sel:DWORD dst_unused:UNUSED_PAD src0_sel:WORD_0 src1_sel:DWORD
	v_mul_u32_u24_sdwa v74, v75, s48 dst_sel:DWORD dst_unused:UNUSED_PAD src0_sel:WORD_1 src1_sel:DWORD
	v_pk_fma_f16 v77, v66, v65, v73
	v_pk_fma_f16 v31, v66, v72, v31
	;; [unrolled: 1-line block ×7, first 2 shown]
	ds_read2_b64 v[64:67], v29 offset1:32
	ds_read_b128 v[72:75], v54 offset:400
	s_waitcnt lgkmcnt(2)
	v_mul_u32_u24_sdwa v78, v68, s48 dst_sel:DWORD dst_unused:UNUSED_PAD src0_sel:WORD_0 src1_sel:DWORD
	v_mul_u32_u24_sdwa v68, v68, s48 dst_sel:DWORD dst_unused:UNUSED_PAD src0_sel:WORD_1 src1_sel:DWORD
	v_mul_u32_u24_sdwa v79, v69, s48 dst_sel:DWORD dst_unused:UNUSED_PAD src0_sel:WORD_0 src1_sel:DWORD
	v_mul_u32_u24_sdwa v69, v69, s48 dst_sel:DWORD dst_unused:UNUSED_PAD src0_sel:WORD_1 src1_sel:DWORD
	s_waitcnt lgkmcnt(1)
	v_pk_fma_f16 v76, v64, v78, v76
	v_pk_fma_f16 v77, v64, v68, v77
	;; [unrolled: 1-line block ×8, first 2 shown]
	v_mul_u32_u24_sdwa v64, v70, s48 dst_sel:DWORD dst_unused:UNUSED_PAD src0_sel:WORD_0 src1_sel:DWORD
	v_mul_u32_u24_sdwa v65, v70, s48 dst_sel:DWORD dst_unused:UNUSED_PAD src0_sel:WORD_1 src1_sel:DWORD
	v_mul_u32_u24_sdwa v68, v71, s48 dst_sel:DWORD dst_unused:UNUSED_PAD src0_sel:WORD_0 src1_sel:DWORD
	v_mul_u32_u24_sdwa v69, v71, s48 dst_sel:DWORD dst_unused:UNUSED_PAD src0_sel:WORD_1 src1_sel:DWORD
	v_pk_fma_f16 v70, v66, v64, v76
	v_pk_fma_f16 v71, v66, v65, v77
	;; [unrolled: 1-line block ×8, first 2 shown]
	ds_read2_b64 v[64:67], v29 offset0:64 offset1:96
	s_waitcnt lgkmcnt(1)
	v_mul_u32_u24_sdwa v68, v72, s48 dst_sel:DWORD dst_unused:UNUSED_PAD src0_sel:WORD_0 src1_sel:DWORD
	v_mul_u32_u24_sdwa v69, v72, s48 dst_sel:DWORD dst_unused:UNUSED_PAD src0_sel:WORD_1 src1_sel:DWORD
	v_mul_u32_u24_sdwa v72, v73, s48 dst_sel:DWORD dst_unused:UNUSED_PAD src0_sel:WORD_0 src1_sel:DWORD
	v_mul_u32_u24_sdwa v73, v73, s48 dst_sel:DWORD dst_unused:UNUSED_PAD src0_sel:WORD_1 src1_sel:DWORD
	s_waitcnt lgkmcnt(0)
	v_pk_fma_f16 v70, v64, v68, v70
	v_pk_fma_f16 v71, v64, v69, v71
	;; [unrolled: 1-line block ×8, first 2 shown]
	v_mul_u32_u24_sdwa v64, v74, s48 dst_sel:DWORD dst_unused:UNUSED_PAD src0_sel:WORD_0 src1_sel:DWORD
	v_mul_u32_u24_sdwa v65, v74, s48 dst_sel:DWORD dst_unused:UNUSED_PAD src0_sel:WORD_1 src1_sel:DWORD
	v_pk_fma_f16 v76, v66, v64, v70
	v_pk_fma_f16 v77, v66, v65, v71
	ds_read_b128 v[68:71], v54 offset:416
	v_mul_u32_u24_sdwa v72, v75, s48 dst_sel:DWORD dst_unused:UNUSED_PAD src0_sel:WORD_0 src1_sel:DWORD
	v_mul_u32_u24_sdwa v73, v75, s48 dst_sel:DWORD dst_unused:UNUSED_PAD src0_sel:WORD_1 src1_sel:DWORD
	v_pk_fma_f16 v31, v66, v72, v31
	v_pk_fma_f16 v32, v66, v73, v32
	;; [unrolled: 1-line block ×6, first 2 shown]
	ds_read2_b64 v[64:67], v29 offset0:128 offset1:160
	ds_read_b128 v[72:75], v54 offset:432
	s_waitcnt lgkmcnt(2)
	v_mul_u32_u24_sdwa v78, v68, s48 dst_sel:DWORD dst_unused:UNUSED_PAD src0_sel:WORD_0 src1_sel:DWORD
	v_mul_u32_u24_sdwa v68, v68, s48 dst_sel:DWORD dst_unused:UNUSED_PAD src0_sel:WORD_1 src1_sel:DWORD
	v_mul_u32_u24_sdwa v79, v69, s48 dst_sel:DWORD dst_unused:UNUSED_PAD src0_sel:WORD_0 src1_sel:DWORD
	v_mul_u32_u24_sdwa v69, v69, s48 dst_sel:DWORD dst_unused:UNUSED_PAD src0_sel:WORD_1 src1_sel:DWORD
	s_waitcnt lgkmcnt(1)
	v_pk_fma_f16 v76, v64, v78, v76
	v_pk_fma_f16 v77, v64, v68, v77
	;; [unrolled: 1-line block ×8, first 2 shown]
	v_mul_u32_u24_sdwa v64, v70, s48 dst_sel:DWORD dst_unused:UNUSED_PAD src0_sel:WORD_0 src1_sel:DWORD
	v_mul_u32_u24_sdwa v65, v70, s48 dst_sel:DWORD dst_unused:UNUSED_PAD src0_sel:WORD_1 src1_sel:DWORD
	v_mul_u32_u24_sdwa v68, v71, s48 dst_sel:DWORD dst_unused:UNUSED_PAD src0_sel:WORD_0 src1_sel:DWORD
	v_mul_u32_u24_sdwa v69, v71, s48 dst_sel:DWORD dst_unused:UNUSED_PAD src0_sel:WORD_1 src1_sel:DWORD
	v_pk_fma_f16 v70, v66, v64, v76
	v_pk_fma_f16 v71, v66, v65, v77
	;; [unrolled: 1-line block ×8, first 2 shown]
	ds_read2_b64 v[64:67], v29 offset0:192 offset1:224
	s_waitcnt lgkmcnt(1)
	v_mul_u32_u24_sdwa v29, v72, s48 dst_sel:DWORD dst_unused:UNUSED_PAD src0_sel:WORD_0 src1_sel:DWORD
	v_mul_u32_u24_sdwa v68, v72, s48 dst_sel:DWORD dst_unused:UNUSED_PAD src0_sel:WORD_1 src1_sel:DWORD
	v_mul_u32_u24_sdwa v69, v73, s48 dst_sel:DWORD dst_unused:UNUSED_PAD src0_sel:WORD_0 src1_sel:DWORD
	v_mul_u32_u24_sdwa v72, v73, s48 dst_sel:DWORD dst_unused:UNUSED_PAD src0_sel:WORD_1 src1_sel:DWORD
	s_waitcnt lgkmcnt(0)
	v_pk_fma_f16 v70, v64, v29, v70
	v_pk_fma_f16 v71, v64, v68, v71
	v_pk_fma_f16 v31, v64, v69, v31
	v_pk_fma_f16 v32, v64, v72, v32
	v_pk_fma_f16 v27, v65, v29, v27
	v_pk_fma_f16 v29, v65, v68, v33
	v_pk_fma_f16 v33, v65, v69, v35
	v_pk_fma_f16 v35, v65, v72, v37
	v_mul_u32_u24_sdwa v37, v74, s48 dst_sel:DWORD dst_unused:UNUSED_PAD src0_sel:WORD_0 src1_sel:DWORD
	v_mul_u32_u24_sdwa v64, v74, s48 dst_sel:DWORD dst_unused:UNUSED_PAD src0_sel:WORD_1 src1_sel:DWORD
	v_pk_fma_f16 v76, v66, v37, v70
	v_pk_fma_f16 v77, v66, v64, v71
	ds_read_b128 v[68:71], v54 offset:448
	v_mul_u32_u24_sdwa v65, v75, s48 dst_sel:DWORD dst_unused:UNUSED_PAD src0_sel:WORD_0 src1_sel:DWORD
	v_mul_u32_u24_sdwa v72, v75, s48 dst_sel:DWORD dst_unused:UNUSED_PAD src0_sel:WORD_1 src1_sel:DWORD
	v_pk_fma_f16 v31, v66, v65, v31
	v_pk_fma_f16 v32, v66, v72, v32
	v_pk_fma_f16 v27, v67, v37, v27
	v_pk_fma_f16 v29, v67, v64, v29
	v_pk_fma_f16 v33, v67, v65, v33
	v_pk_fma_f16 v35, v67, v72, v35
	ds_read2_b64 v[64:67], v30 offset1:32
	ds_read_b128 v[72:75], v54 offset:464
	s_waitcnt lgkmcnt(2)
	v_mul_u32_u24_sdwa v37, v68, s48 dst_sel:DWORD dst_unused:UNUSED_PAD src0_sel:WORD_0 src1_sel:DWORD
	v_mul_u32_u24_sdwa v68, v68, s48 dst_sel:DWORD dst_unused:UNUSED_PAD src0_sel:WORD_1 src1_sel:DWORD
	v_mul_u32_u24_sdwa v78, v69, s48 dst_sel:DWORD dst_unused:UNUSED_PAD src0_sel:WORD_0 src1_sel:DWORD
	v_mul_u32_u24_sdwa v69, v69, s48 dst_sel:DWORD dst_unused:UNUSED_PAD src0_sel:WORD_1 src1_sel:DWORD
	s_waitcnt lgkmcnt(1)
	v_pk_fma_f16 v76, v64, v37, v76
	v_pk_fma_f16 v77, v64, v68, v77
	;; [unrolled: 1-line block ×8, first 2 shown]
	v_mul_u32_u24_sdwa v37, v70, s48 dst_sel:DWORD dst_unused:UNUSED_PAD src0_sel:WORD_0 src1_sel:DWORD
	v_mul_u32_u24_sdwa v64, v70, s48 dst_sel:DWORD dst_unused:UNUSED_PAD src0_sel:WORD_1 src1_sel:DWORD
	v_mul_u32_u24_sdwa v65, v71, s48 dst_sel:DWORD dst_unused:UNUSED_PAD src0_sel:WORD_0 src1_sel:DWORD
	v_mul_u32_u24_sdwa v68, v71, s48 dst_sel:DWORD dst_unused:UNUSED_PAD src0_sel:WORD_1 src1_sel:DWORD
	v_pk_fma_f16 v69, v66, v37, v76
	v_pk_fma_f16 v70, v66, v64, v77
	;; [unrolled: 1-line block ×8, first 2 shown]
	ds_read2_b64 v[64:67], v30 offset0:64 offset1:96
	s_waitcnt lgkmcnt(1)
	v_mul_u32_u24_sdwa v37, v72, s48 dst_sel:DWORD dst_unused:UNUSED_PAD src0_sel:WORD_0 src1_sel:DWORD
	v_mul_u32_u24_sdwa v68, v72, s48 dst_sel:DWORD dst_unused:UNUSED_PAD src0_sel:WORD_1 src1_sel:DWORD
	v_mul_u32_u24_sdwa v71, v73, s48 dst_sel:DWORD dst_unused:UNUSED_PAD src0_sel:WORD_0 src1_sel:DWORD
	v_mul_u32_u24_sdwa v72, v73, s48 dst_sel:DWORD dst_unused:UNUSED_PAD src0_sel:WORD_1 src1_sel:DWORD
	s_waitcnt lgkmcnt(0)
	v_pk_fma_f16 v69, v64, v37, v69
	v_pk_fma_f16 v70, v64, v68, v70
	;; [unrolled: 1-line block ×5, first 2 shown]
	v_mul_u32_u24_sdwa v37, v74, s48 dst_sel:DWORD dst_unused:UNUSED_PAD src0_sel:WORD_0 src1_sel:DWORD
	v_mul_u32_u24_sdwa v64, v74, s48 dst_sel:DWORD dst_unused:UNUSED_PAD src0_sel:WORD_1 src1_sel:DWORD
	v_pk_fma_f16 v29, v65, v68, v29
	v_pk_fma_f16 v33, v65, v71, v33
	;; [unrolled: 1-line block ×4, first 2 shown]
	ds_read_b128 v[68:71], v54 offset:480
	v_pk_fma_f16 v35, v65, v72, v35
	v_mul_u32_u24_sdwa v65, v75, s48 dst_sel:DWORD dst_unused:UNUSED_PAD src0_sel:WORD_0 src1_sel:DWORD
	v_mul_u32_u24_sdwa v72, v75, s48 dst_sel:DWORD dst_unused:UNUSED_PAD src0_sel:WORD_1 src1_sel:DWORD
	v_pk_fma_f16 v31, v66, v65, v31
	v_pk_fma_f16 v32, v66, v72, v32
	;; [unrolled: 1-line block ×6, first 2 shown]
	ds_read2_b64 v[64:67], v30 offset0:128 offset1:160
	ds_read_b128 v[72:75], v54 offset:496
	s_waitcnt lgkmcnt(2)
	v_mul_u32_u24_sdwa v37, v68, s48 dst_sel:DWORD dst_unused:UNUSED_PAD src0_sel:WORD_0 src1_sel:DWORD
	v_mul_u32_u24_sdwa v68, v68, s48 dst_sel:DWORD dst_unused:UNUSED_PAD src0_sel:WORD_1 src1_sel:DWORD
	v_mul_u32_u24_sdwa v78, v69, s48 dst_sel:DWORD dst_unused:UNUSED_PAD src0_sel:WORD_0 src1_sel:DWORD
	v_mul_u32_u24_sdwa v69, v69, s48 dst_sel:DWORD dst_unused:UNUSED_PAD src0_sel:WORD_1 src1_sel:DWORD
	s_waitcnt lgkmcnt(1)
	v_pk_fma_f16 v76, v64, v37, v76
	v_pk_fma_f16 v77, v64, v68, v77
	;; [unrolled: 1-line block ×8, first 2 shown]
	v_mul_u32_u24_sdwa v37, v70, s48 dst_sel:DWORD dst_unused:UNUSED_PAD src0_sel:WORD_0 src1_sel:DWORD
	v_mul_u32_u24_sdwa v64, v70, s48 dst_sel:DWORD dst_unused:UNUSED_PAD src0_sel:WORD_1 src1_sel:DWORD
	v_mul_u32_u24_sdwa v65, v71, s48 dst_sel:DWORD dst_unused:UNUSED_PAD src0_sel:WORD_0 src1_sel:DWORD
	v_mul_u32_u24_sdwa v68, v71, s48 dst_sel:DWORD dst_unused:UNUSED_PAD src0_sel:WORD_1 src1_sel:DWORD
	v_pk_fma_f16 v69, v66, v37, v76
	v_pk_fma_f16 v70, v66, v64, v77
	;; [unrolled: 1-line block ×8, first 2 shown]
	ds_read2_b64 v[64:67], v30 offset0:192 offset1:224
	s_waitcnt lgkmcnt(0)
	s_barrier
	s_load_dword s6, s[12:13], 0x4
	v_mul_u32_u24_sdwa v30, v72, s48 dst_sel:DWORD dst_unused:UNUSED_PAD src0_sel:WORD_0 src1_sel:DWORD
	v_mul_u32_u24_sdwa v37, v72, s48 dst_sel:DWORD dst_unused:UNUSED_PAD src0_sel:WORD_1 src1_sel:DWORD
	v_mul_u32_u24_sdwa v68, v73, s48 dst_sel:DWORD dst_unused:UNUSED_PAD src0_sel:WORD_0 src1_sel:DWORD
	v_mul_u32_u24_sdwa v71, v73, s48 dst_sel:DWORD dst_unused:UNUSED_PAD src0_sel:WORD_1 src1_sel:DWORD
	s_waitcnt lgkmcnt(0)
	s_lshl_b32 s6, s6, 6
	v_pk_fma_f16 v69, v64, v30, v69
	v_pk_fma_f16 v70, v64, v37, v70
	;; [unrolled: 1-line block ×8, first 2 shown]
	v_mul_u32_u24_sdwa v35, v74, s48 dst_sel:DWORD dst_unused:UNUSED_PAD src0_sel:WORD_0 src1_sel:DWORD
	v_mul_u32_u24_sdwa v71, v74, s48 dst_sel:DWORD dst_unused:UNUSED_PAD src0_sel:WORD_1 src1_sel:DWORD
	v_mul_u32_u24_sdwa v73, v75, s48 dst_sel:DWORD dst_unused:UNUSED_PAD src0_sel:WORD_0 src1_sel:DWORD
	v_mul_u32_u24_sdwa v74, v75, s48 dst_sel:DWORD dst_unused:UNUSED_PAD src0_sel:WORD_1 src1_sel:DWORD
	s_add_i32 s22, s6, s22
	v_pk_fma_f16 v33, v66, v35, v69
	v_pk_fma_f16 v31, v66, v71, v70
	;; [unrolled: 1-line block ×7, first 2 shown]
	s_cmp_lt_i32 s22, s39
	v_pk_fma_f16 v27, v67, v74, v65
	s_cbranch_scc0 .LBB87_63
; %bb.57:                               ;   in Loop: Header=BB87_8 Depth=1
	v_mov_b32_e32 v71, v2
	v_mov_b32_e32 v69, v3
	;; [unrolled: 1-line block ×8, first 2 shown]
	s_branch .LBB87_8
.LBB87_58:                              ;   in Loop: Header=BB87_8 Depth=1
	v_mov_b32_e32 v5, 0
	v_cmp_nlt_f32_e64 s[14:15], |v75|, s40
                                        ; implicit-def: $vgpr78
	s_and_saveexec_b64 s[50:51], s[14:15]
	s_xor_b64 s[14:15], exec, s[50:51]
	s_cbranch_execz .LBB87_15
	s_branch .LBB87_14
.LBB87_59:                              ;   in Loop: Header=BB87_8 Depth=1
	v_mov_b32_e32 v78, 0
	v_cmp_nlt_f32_e64 s[14:15], |v73|, s40
                                        ; implicit-def: $vgpr85
	s_and_saveexec_b64 s[50:51], s[14:15]
	s_xor_b64 s[14:15], exec, s[50:51]
	s_cbranch_execz .LBB87_27
	s_branch .LBB87_26
.LBB87_60:                              ;   in Loop: Header=BB87_8 Depth=1
	v_mov_b32_e32 v72, 0
	v_cmp_nlt_f32_e64 s[14:15], |v44|, s40
                                        ; implicit-def: $vgpr87
	s_and_saveexec_b64 s[50:51], s[14:15]
	s_xor_b64 s[14:15], exec, s[50:51]
	s_cbranch_execz .LBB87_39
	s_branch .LBB87_38
.LBB87_61:                              ;   in Loop: Header=BB87_8 Depth=1
	v_mov_b32_e32 v43, 0
	v_cmp_nlt_f32_e64 s[14:15], |v42|, s40
                                        ; implicit-def: $vgpr88
	s_and_saveexec_b64 s[50:51], s[14:15]
	s_xor_b64 s[14:15], exec, s[50:51]
	s_cbranch_execz .LBB87_51
	s_branch .LBB87_50
.LBB87_62:
	v_mov_b32_e32 v2, 0xfeffffff
	v_mov_b32_e32 v3, v2
	;; [unrolled: 1-line block ×15, first 2 shown]
.LBB87_63:
	s_cmp_gt_i32 s46, s22
	s_cbranch_scc1 .LBB87_65
; %bb.64:
	v_mbcnt_hi_u32_b32 v49, -1, v38
	v_and_b32_e32 v6, 0x60, v49
	v_add_u32_e32 v50, 32, v6
	v_xor_b32_e32 v51, 16, v49
	v_xor_b32_e32 v52, 8, v49
	;; [unrolled: 1-line block ×5, first 2 shown]
	s_cbranch_execz .LBB87_66
	s_branch .LBB87_139
.LBB87_65:
                                        ; implicit-def: $vgpr49
                                        ; implicit-def: $vgpr50
                                        ; implicit-def: $vgpr51
                                        ; implicit-def: $vgpr52
                                        ; implicit-def: $vgpr53
                                        ; implicit-def: $vgpr54
                                        ; implicit-def: $vgpr55
.LBB87_66:
	v_add_u32_e32 v46, v46, v20
	v_mul_lo_u32 v12, s36, v46
	s_mul_hi_i32 s11, s22, s36
	s_mul_i32 s10, s22, s36
	s_sub_i32 s39, s46, s22
	s_lshl_b64 s[10:11], s[10:11], 2
	v_ashrrev_i32_e32 v13, 31, v12
	s_add_u32 s10, s37, s10
	v_lshlrev_b64 v[6:7], 2, v[12:13]
	s_addc_u32 s11, s38, s11
	v_mov_b32_e32 v8, s11
	v_add_co_u32_e32 v6, vcc, s10, v6
	v_lshlrev_b32_e32 v45, 2, v45
	v_addc_co_u32_e32 v7, vcc, v8, v7, vcc
	s_mov_b64 s[6:7], src_private_base
	v_add_co_u32_e32 v10, vcc, v6, v45
	v_mov_b32_e32 v53, 0
	v_addc_co_u32_e32 v11, vcc, 0, v7, vcc
	v_mov_b32_e32 v54, s7
	v_cmp_gt_i32_e64 s[6:7], s39, v46
	v_mov_b32_e32 v55, 0
	buffer_store_dword v53, off, s[0:3], 0
	buffer_store_dword v53, off, s[0:3], 0 offset:4
	buffer_store_dword v53, off, s[0:3], 0 offset:8
	;; [unrolled: 1-line block ×3, first 2 shown]
	v_cndmask_b32_e64 v7, v54, v11, s[6:7]
	v_cndmask_b32_e64 v6, v55, v10, s[6:7]
	flat_load_dwordx4 v[6:9], v[6:7]
	v_lshl_add_u32 v12, s36, 5, v12
	v_ashrrev_i32_e32 v13, 31, v12
	v_lshlrev_b64 v[12:13], 2, v[12:13]
	v_mov_b32_e32 v47, s11
	v_add_co_u32_e32 v12, vcc, s10, v12
	v_addc_co_u32_e32 v13, vcc, v47, v13, vcc
	s_movk_i32 s12, 0x90
	v_add_co_u32_e32 v56, vcc, v12, v45
	v_mad_u32_u24 v52, v46, s12, v45
	v_add_u32_e32 v46, 32, v46
	v_addc_co_u32_e32 v57, vcc, 0, v13, vcc
	v_cmp_gt_i32_e32 vcc, s39, v46
	buffer_store_dword v53, off, s[0:3], 0
	buffer_store_dword v53, off, s[0:3], 0 offset:4
	buffer_store_dword v53, off, s[0:3], 0 offset:8
	;; [unrolled: 1-line block ×3, first 2 shown]
	v_cndmask_b32_e32 v13, v54, v57, vcc
	v_cndmask_b32_e32 v12, v55, v56, vcc
	v_mul_u32_u24_e32 v51, 0x90, v0
	v_mov_b32_e32 v50, 0
	v_mov_b32_e32 v48, 0
	;; [unrolled: 1-line block ×6, first 2 shown]
	s_movk_i32 s12, 0x80
	v_add_co_u32_e64 v10, s[10:11], s12, v10
	v_addc_co_u32_e64 v11, s[10:11], 0, v11, s[10:11]
	v_cndmask_b32_e64 v11, v54, v11, s[6:7]
	v_cndmask_b32_e64 v10, v55, v10, s[6:7]
	s_waitcnt vmcnt(0) lgkmcnt(0)
	ds_write_b128 v52, v[6:9]
	flat_load_dwordx4 v[6:9], v[12:13]
	v_mov_b32_e32 v13, 0
	v_mov_b32_e32 v12, 0
	s_waitcnt vmcnt(0) lgkmcnt(0)
	ds_write_b128 v52, v[6:9] offset:4608
	s_waitcnt lgkmcnt(0)
	s_barrier
	ds_read_b128 v[6:9], v39 offset:9216
	ds_read_b128 v[58:61], v51
	ds_read_b128 v[62:65], v51 offset:4608
	ds_read_b128 v[66:69], v39 offset:9472
	;; [unrolled: 1-line block ×4, first 2 shown]
	s_waitcnt lgkmcnt(4)
	;;#ASMSTART
	v_dot2_f32_f16 v50, v58, v6, v50
	;;#ASMEND
	;;#ASMSTART
	v_dot2_f32_f16 v50, v59, v7, v50
	;;#ASMEND
	;;#ASMSTART
	v_dot2_f32_f16 v50, v60, v8, v50
	;;#ASMEND
	;;#ASMSTART
	v_dot2_f32_f16 v50, v61, v9, v50
	;;#ASMEND
	s_waitcnt lgkmcnt(2)
	;;#ASMSTART
	v_dot2_f32_f16 v48, v58, v66, v48
	;;#ASMEND
	;;#ASMSTART
	v_dot2_f32_f16 v48, v59, v67, v48
	;;#ASMEND
	;;#ASMSTART
	v_dot2_f32_f16 v48, v60, v68, v48
	;;#ASMEND
	;;#ASMSTART
	v_dot2_f32_f16 v48, v61, v69, v48
	;;#ASMEND
	;; [unrolled: 13-line block ×4, first 2 shown]
	;;#ASMSTART
	v_dot2_f32_f16 v49, v62, v6, v49
	;;#ASMEND
	;;#ASMSTART
	v_dot2_f32_f16 v49, v63, v7, v49
	;;#ASMEND
	;; [unrolled: 3-line block ×16, first 2 shown]
	ds_read_b128 v[6:9], v39 offset:9232
	ds_read_b128 v[58:61], v51 offset:16
	;; [unrolled: 1-line block ×6, first 2 shown]
	s_waitcnt lgkmcnt(4)
	;;#ASMSTART
	v_dot2_f32_f16 v50, v58, v6, v50
	;;#ASMEND
	;;#ASMSTART
	v_dot2_f32_f16 v50, v59, v7, v50
	;;#ASMEND
	;;#ASMSTART
	v_dot2_f32_f16 v50, v60, v8, v50
	;;#ASMEND
	;;#ASMSTART
	v_dot2_f32_f16 v50, v61, v9, v50
	;;#ASMEND
	s_waitcnt lgkmcnt(2)
	;;#ASMSTART
	v_dot2_f32_f16 v48, v58, v66, v48
	;;#ASMEND
	;;#ASMSTART
	v_dot2_f32_f16 v48, v59, v67, v48
	;;#ASMEND
	;;#ASMSTART
	v_dot2_f32_f16 v48, v60, v68, v48
	;;#ASMEND
	;;#ASMSTART
	v_dot2_f32_f16 v48, v61, v69, v48
	;;#ASMEND
	;; [unrolled: 13-line block ×4, first 2 shown]
	;;#ASMSTART
	v_dot2_f32_f16 v49, v62, v6, v49
	;;#ASMEND
	;;#ASMSTART
	v_dot2_f32_f16 v49, v63, v7, v49
	;;#ASMEND
	;;#ASMSTART
	v_dot2_f32_f16 v49, v64, v8, v49
	;;#ASMEND
	;;#ASMSTART
	v_dot2_f32_f16 v49, v65, v9, v49
	;;#ASMEND
	;;#ASMSTART
	v_dot2_f32_f16 v47, v62, v66, v47
	;;#ASMEND
	;;#ASMSTART
	v_dot2_f32_f16 v47, v63, v67, v47
	;;#ASMEND
	;;#ASMSTART
	v_dot2_f32_f16 v47, v64, v68, v47
	;;#ASMEND
	;;#ASMSTART
	v_dot2_f32_f16 v47, v65, v69, v47
	;;#ASMEND
	;;#ASMSTART
	v_dot2_f32_f16 v45, v62, v70, v45
	;;#ASMEND
	;;#ASMSTART
	v_dot2_f32_f16 v45, v63, v71, v45
	;;#ASMEND
	;;#ASMSTART
	v_dot2_f32_f16 v45, v64, v72, v45
	;;#ASMEND
	;;#ASMSTART
	v_dot2_f32_f16 v45, v65, v73, v45
	;;#ASMEND
	;;#ASMSTART
	v_dot2_f32_f16 v12, v62, v74, v12
	;;#ASMEND
	;;#ASMSTART
	v_dot2_f32_f16 v12, v63, v75, v12
	;;#ASMEND
	;;#ASMSTART
	v_dot2_f32_f16 v12, v64, v76, v12
	;;#ASMEND
	;;#ASMSTART
	v_dot2_f32_f16 v12, v65, v77, v12
	;;#ASMEND
	ds_read_b128 v[6:9], v39 offset:9248
	ds_read_b128 v[58:61], v51 offset:32
	;; [unrolled: 1-line block ×6, first 2 shown]
	s_waitcnt lgkmcnt(4)
	;;#ASMSTART
	v_dot2_f32_f16 v50, v58, v6, v50
	;;#ASMEND
	;;#ASMSTART
	v_dot2_f32_f16 v50, v59, v7, v50
	;;#ASMEND
	;;#ASMSTART
	v_dot2_f32_f16 v50, v60, v8, v50
	;;#ASMEND
	;;#ASMSTART
	v_dot2_f32_f16 v50, v61, v9, v50
	;;#ASMEND
	s_waitcnt lgkmcnt(2)
	;;#ASMSTART
	v_dot2_f32_f16 v48, v58, v66, v48
	;;#ASMEND
	;;#ASMSTART
	v_dot2_f32_f16 v48, v59, v67, v48
	;;#ASMEND
	;;#ASMSTART
	v_dot2_f32_f16 v48, v60, v68, v48
	;;#ASMEND
	;;#ASMSTART
	v_dot2_f32_f16 v48, v61, v69, v48
	;;#ASMEND
	s_waitcnt lgkmcnt(1)
	;;#ASMSTART
	v_dot2_f32_f16 v46, v58, v70, v46
	;;#ASMEND
	;;#ASMSTART
	v_dot2_f32_f16 v46, v59, v71, v46
	;;#ASMEND
	;;#ASMSTART
	v_dot2_f32_f16 v46, v60, v72, v46
	;;#ASMEND
	;;#ASMSTART
	v_dot2_f32_f16 v46, v61, v73, v46
	;;#ASMEND
	s_waitcnt lgkmcnt(0)
	;;#ASMSTART
	v_dot2_f32_f16 v13, v58, v74, v13
	;;#ASMEND
	;;#ASMSTART
	v_dot2_f32_f16 v13, v59, v75, v13
	;;#ASMEND
	;;#ASMSTART
	v_dot2_f32_f16 v13, v60, v76, v13
	;;#ASMEND
	;;#ASMSTART
	v_dot2_f32_f16 v13, v61, v77, v13
	;;#ASMEND
	;;#ASMSTART
	v_dot2_f32_f16 v49, v62, v6, v49
	;;#ASMEND
	;;#ASMSTART
	v_dot2_f32_f16 v49, v63, v7, v49
	;;#ASMEND
	;; [unrolled: 3-line block ×16, first 2 shown]
	ds_read_b128 v[6:9], v39 offset:9264
	ds_read_b128 v[58:61], v51 offset:48
	;; [unrolled: 1-line block ×6, first 2 shown]
	s_waitcnt lgkmcnt(4)
	;;#ASMSTART
	v_dot2_f32_f16 v50, v58, v6, v50
	;;#ASMEND
	;;#ASMSTART
	v_dot2_f32_f16 v50, v59, v7, v50
	;;#ASMEND
	;;#ASMSTART
	v_dot2_f32_f16 v50, v60, v8, v50
	;;#ASMEND
	;;#ASMSTART
	v_dot2_f32_f16 v50, v61, v9, v50
	;;#ASMEND
	s_waitcnt lgkmcnt(2)
	;;#ASMSTART
	v_dot2_f32_f16 v48, v58, v66, v48
	;;#ASMEND
	;;#ASMSTART
	v_dot2_f32_f16 v48, v59, v67, v48
	;;#ASMEND
	;;#ASMSTART
	v_dot2_f32_f16 v48, v60, v68, v48
	;;#ASMEND
	;;#ASMSTART
	v_dot2_f32_f16 v48, v61, v69, v48
	;;#ASMEND
	;; [unrolled: 13-line block ×4, first 2 shown]
	;;#ASMSTART
	v_dot2_f32_f16 v49, v62, v6, v49
	;;#ASMEND
	;;#ASMSTART
	v_dot2_f32_f16 v49, v63, v7, v49
	;;#ASMEND
	;;#ASMSTART
	v_dot2_f32_f16 v49, v64, v8, v49
	;;#ASMEND
	;;#ASMSTART
	v_dot2_f32_f16 v49, v65, v9, v49
	;;#ASMEND
	;;#ASMSTART
	v_dot2_f32_f16 v47, v62, v66, v47
	;;#ASMEND
	;;#ASMSTART
	v_dot2_f32_f16 v47, v63, v67, v47
	;;#ASMEND
	;;#ASMSTART
	v_dot2_f32_f16 v47, v64, v68, v47
	;;#ASMEND
	;;#ASMSTART
	v_dot2_f32_f16 v47, v65, v69, v47
	;;#ASMEND
	;;#ASMSTART
	v_dot2_f32_f16 v45, v62, v70, v45
	;;#ASMEND
	;;#ASMSTART
	v_dot2_f32_f16 v45, v63, v71, v45
	;;#ASMEND
	;;#ASMSTART
	v_dot2_f32_f16 v45, v64, v72, v45
	;;#ASMEND
	;;#ASMSTART
	v_dot2_f32_f16 v45, v65, v73, v45
	;;#ASMEND
	;;#ASMSTART
	v_dot2_f32_f16 v12, v62, v74, v12
	;;#ASMEND
	;;#ASMSTART
	v_dot2_f32_f16 v12, v63, v75, v12
	;;#ASMEND
	;;#ASMSTART
	v_dot2_f32_f16 v12, v64, v76, v12
	;;#ASMEND
	;;#ASMSTART
	v_dot2_f32_f16 v12, v65, v77, v12
	;;#ASMEND
	ds_read_b128 v[6:9], v39 offset:9280
	ds_read_b128 v[58:61], v51 offset:64
	;; [unrolled: 1-line block ×6, first 2 shown]
	s_waitcnt lgkmcnt(4)
	;;#ASMSTART
	v_dot2_f32_f16 v50, v58, v6, v50
	;;#ASMEND
	;;#ASMSTART
	v_dot2_f32_f16 v50, v59, v7, v50
	;;#ASMEND
	;;#ASMSTART
	v_dot2_f32_f16 v50, v60, v8, v50
	;;#ASMEND
	;;#ASMSTART
	v_dot2_f32_f16 v50, v61, v9, v50
	;;#ASMEND
	s_waitcnt lgkmcnt(2)
	;;#ASMSTART
	v_dot2_f32_f16 v48, v58, v66, v48
	;;#ASMEND
	;;#ASMSTART
	v_dot2_f32_f16 v48, v59, v67, v48
	;;#ASMEND
	;;#ASMSTART
	v_dot2_f32_f16 v48, v60, v68, v48
	;;#ASMEND
	;;#ASMSTART
	v_dot2_f32_f16 v48, v61, v69, v48
	;;#ASMEND
	;; [unrolled: 13-line block ×4, first 2 shown]
	;;#ASMSTART
	v_dot2_f32_f16 v49, v62, v6, v49
	;;#ASMEND
	;;#ASMSTART
	v_dot2_f32_f16 v49, v63, v7, v49
	;;#ASMEND
	;; [unrolled: 3-line block ×16, first 2 shown]
	ds_read_b128 v[6:9], v39 offset:9296
	ds_read_b128 v[58:61], v51 offset:80
	;; [unrolled: 1-line block ×6, first 2 shown]
	s_waitcnt lgkmcnt(4)
	;;#ASMSTART
	v_dot2_f32_f16 v50, v58, v6, v50
	;;#ASMEND
	;;#ASMSTART
	v_dot2_f32_f16 v50, v59, v7, v50
	;;#ASMEND
	;;#ASMSTART
	v_dot2_f32_f16 v50, v60, v8, v50
	;;#ASMEND
	;;#ASMSTART
	v_dot2_f32_f16 v50, v61, v9, v50
	;;#ASMEND
	s_waitcnt lgkmcnt(2)
	;;#ASMSTART
	v_dot2_f32_f16 v48, v58, v66, v48
	;;#ASMEND
	;;#ASMSTART
	v_dot2_f32_f16 v48, v59, v67, v48
	;;#ASMEND
	;;#ASMSTART
	v_dot2_f32_f16 v48, v60, v68, v48
	;;#ASMEND
	;;#ASMSTART
	v_dot2_f32_f16 v48, v61, v69, v48
	;;#ASMEND
	;; [unrolled: 13-line block ×4, first 2 shown]
	;;#ASMSTART
	v_dot2_f32_f16 v49, v62, v6, v49
	;;#ASMEND
	;;#ASMSTART
	v_dot2_f32_f16 v49, v63, v7, v49
	;;#ASMEND
	;;#ASMSTART
	v_dot2_f32_f16 v49, v64, v8, v49
	;;#ASMEND
	;;#ASMSTART
	v_dot2_f32_f16 v49, v65, v9, v49
	;;#ASMEND
	;;#ASMSTART
	v_dot2_f32_f16 v47, v62, v66, v47
	;;#ASMEND
	;;#ASMSTART
	v_dot2_f32_f16 v47, v63, v67, v47
	;;#ASMEND
	;;#ASMSTART
	v_dot2_f32_f16 v47, v64, v68, v47
	;;#ASMEND
	;;#ASMSTART
	v_dot2_f32_f16 v47, v65, v69, v47
	;;#ASMEND
	;;#ASMSTART
	v_dot2_f32_f16 v45, v62, v70, v45
	;;#ASMEND
	;;#ASMSTART
	v_dot2_f32_f16 v45, v63, v71, v45
	;;#ASMEND
	;;#ASMSTART
	v_dot2_f32_f16 v45, v64, v72, v45
	;;#ASMEND
	;;#ASMSTART
	v_dot2_f32_f16 v45, v65, v73, v45
	;;#ASMEND
	;;#ASMSTART
	v_dot2_f32_f16 v12, v62, v74, v12
	;;#ASMEND
	;;#ASMSTART
	v_dot2_f32_f16 v12, v63, v75, v12
	;;#ASMEND
	;;#ASMSTART
	v_dot2_f32_f16 v12, v64, v76, v12
	;;#ASMEND
	;;#ASMSTART
	v_dot2_f32_f16 v12, v65, v77, v12
	;;#ASMEND
	ds_read_b128 v[6:9], v39 offset:9312
	ds_read_b128 v[58:61], v51 offset:96
	;; [unrolled: 1-line block ×6, first 2 shown]
	s_waitcnt lgkmcnt(4)
	;;#ASMSTART
	v_dot2_f32_f16 v50, v58, v6, v50
	;;#ASMEND
	;;#ASMSTART
	v_dot2_f32_f16 v50, v59, v7, v50
	;;#ASMEND
	;;#ASMSTART
	v_dot2_f32_f16 v50, v60, v8, v50
	;;#ASMEND
	;;#ASMSTART
	v_dot2_f32_f16 v50, v61, v9, v50
	;;#ASMEND
	s_waitcnt lgkmcnt(2)
	;;#ASMSTART
	v_dot2_f32_f16 v48, v58, v66, v48
	;;#ASMEND
	;;#ASMSTART
	v_dot2_f32_f16 v48, v59, v67, v48
	;;#ASMEND
	;;#ASMSTART
	v_dot2_f32_f16 v48, v60, v68, v48
	;;#ASMEND
	;;#ASMSTART
	v_dot2_f32_f16 v48, v61, v69, v48
	;;#ASMEND
	;; [unrolled: 13-line block ×4, first 2 shown]
	;;#ASMSTART
	v_dot2_f32_f16 v49, v62, v6, v49
	;;#ASMEND
	;;#ASMSTART
	v_dot2_f32_f16 v49, v63, v7, v49
	;;#ASMEND
	;; [unrolled: 3-line block ×16, first 2 shown]
	ds_read_b128 v[6:9], v39 offset:9328
	ds_read_b128 v[58:61], v51 offset:112
	;; [unrolled: 1-line block ×6, first 2 shown]
	s_waitcnt lgkmcnt(4)
	;;#ASMSTART
	v_dot2_f32_f16 v50, v58, v6, v50
	;;#ASMEND
	;;#ASMSTART
	v_dot2_f32_f16 v50, v59, v7, v50
	;;#ASMEND
	;;#ASMSTART
	v_dot2_f32_f16 v50, v60, v8, v50
	;;#ASMEND
	;;#ASMSTART
	v_dot2_f32_f16 v50, v61, v9, v50
	;;#ASMEND
	s_waitcnt lgkmcnt(2)
	;;#ASMSTART
	v_dot2_f32_f16 v48, v58, v66, v48
	;;#ASMEND
	;;#ASMSTART
	v_dot2_f32_f16 v48, v59, v67, v48
	;;#ASMEND
	;;#ASMSTART
	v_dot2_f32_f16 v48, v60, v68, v48
	;;#ASMEND
	;;#ASMSTART
	v_dot2_f32_f16 v48, v61, v69, v48
	;;#ASMEND
	;; [unrolled: 13-line block ×4, first 2 shown]
	;;#ASMSTART
	v_dot2_f32_f16 v49, v62, v6, v49
	;;#ASMEND
	;;#ASMSTART
	v_dot2_f32_f16 v49, v63, v7, v49
	;;#ASMEND
	;; [unrolled: 3-line block ×16, first 2 shown]
	s_barrier
	buffer_store_dword v53, off, s[0:3], 0
	buffer_store_dword v53, off, s[0:3], 0 offset:4
	buffer_store_dword v53, off, s[0:3], 0 offset:8
	;; [unrolled: 1-line block ×3, first 2 shown]
	flat_load_dwordx4 v[6:9], v[10:11]
	v_add_co_u32_e64 v10, s[6:7], s12, v56
	v_addc_co_u32_e64 v11, s[6:7], 0, v57, s[6:7]
	v_cndmask_b32_e32 v11, v54, v11, vcc
	v_cndmask_b32_e32 v10, v55, v10, vcc
	buffer_store_dword v53, off, s[0:3], 0
	buffer_store_dword v53, off, s[0:3], 0 offset:4
	buffer_store_dword v53, off, s[0:3], 0 offset:8
	;; [unrolled: 1-line block ×3, first 2 shown]
	s_mov_b32 s6, 0x3f200000
	s_waitcnt vmcnt(0) lgkmcnt(0)
	ds_write_b128 v52, v[6:9]
	flat_load_dwordx4 v[6:9], v[10:11]
	s_waitcnt vmcnt(0) lgkmcnt(0)
	ds_write_b128 v52, v[6:9] offset:4608
	s_waitcnt lgkmcnt(0)
	s_barrier
	ds_read_b128 v[6:9], v39 offset:9344
	ds_read_b128 v[52:55], v51
	ds_read_b128 v[56:59], v51 offset:4608
	ds_read_b128 v[60:63], v39 offset:9600
	;; [unrolled: 1-line block ×4, first 2 shown]
	s_waitcnt lgkmcnt(4)
	;;#ASMSTART
	v_dot2_f32_f16 v50, v52, v6, v50
	;;#ASMEND
	;;#ASMSTART
	v_dot2_f32_f16 v50, v53, v7, v50
	;;#ASMEND
	;;#ASMSTART
	v_dot2_f32_f16 v50, v54, v8, v50
	;;#ASMEND
	;;#ASMSTART
	v_dot2_f32_f16 v50, v55, v9, v50
	;;#ASMEND
	s_waitcnt lgkmcnt(2)
	;;#ASMSTART
	v_dot2_f32_f16 v48, v52, v60, v48
	;;#ASMEND
	;;#ASMSTART
	v_dot2_f32_f16 v48, v53, v61, v48
	;;#ASMEND
	;;#ASMSTART
	v_dot2_f32_f16 v48, v54, v62, v48
	;;#ASMEND
	;;#ASMSTART
	v_dot2_f32_f16 v48, v55, v63, v48
	;;#ASMEND
	;; [unrolled: 13-line block ×4, first 2 shown]
	;;#ASMSTART
	v_dot2_f32_f16 v49, v56, v6, v49
	;;#ASMEND
	;;#ASMSTART
	v_dot2_f32_f16 v49, v57, v7, v49
	;;#ASMEND
	;; [unrolled: 3-line block ×16, first 2 shown]
	ds_read_b128 v[6:9], v39 offset:9360
	ds_read_b128 v[52:55], v51 offset:16
	;; [unrolled: 1-line block ×6, first 2 shown]
	s_waitcnt lgkmcnt(4)
	;;#ASMSTART
	v_dot2_f32_f16 v50, v52, v6, v50
	;;#ASMEND
	;;#ASMSTART
	v_dot2_f32_f16 v50, v53, v7, v50
	;;#ASMEND
	;;#ASMSTART
	v_dot2_f32_f16 v50, v54, v8, v50
	;;#ASMEND
	;;#ASMSTART
	v_dot2_f32_f16 v50, v55, v9, v50
	;;#ASMEND
	s_waitcnt lgkmcnt(2)
	;;#ASMSTART
	v_dot2_f32_f16 v48, v52, v60, v48
	;;#ASMEND
	;;#ASMSTART
	v_dot2_f32_f16 v48, v53, v61, v48
	;;#ASMEND
	;;#ASMSTART
	v_dot2_f32_f16 v48, v54, v62, v48
	;;#ASMEND
	;;#ASMSTART
	v_dot2_f32_f16 v48, v55, v63, v48
	;;#ASMEND
	;; [unrolled: 13-line block ×4, first 2 shown]
	;;#ASMSTART
	v_dot2_f32_f16 v49, v56, v6, v49
	;;#ASMEND
	;;#ASMSTART
	v_dot2_f32_f16 v49, v57, v7, v49
	;;#ASMEND
	;; [unrolled: 3-line block ×16, first 2 shown]
	ds_read_b128 v[6:9], v39 offset:9376
	ds_read_b128 v[52:55], v51 offset:32
	ds_read_b128 v[56:59], v51 offset:4640
	ds_read_b128 v[60:63], v39 offset:9632
	ds_read_b128 v[64:67], v39 offset:9888
	ds_read_b128 v[68:71], v39 offset:10144
	s_waitcnt lgkmcnt(4)
	;;#ASMSTART
	v_dot2_f32_f16 v50, v52, v6, v50
	;;#ASMEND
	;;#ASMSTART
	v_dot2_f32_f16 v50, v53, v7, v50
	;;#ASMEND
	;;#ASMSTART
	v_dot2_f32_f16 v50, v54, v8, v50
	;;#ASMEND
	;;#ASMSTART
	v_dot2_f32_f16 v50, v55, v9, v50
	;;#ASMEND
	s_waitcnt lgkmcnt(2)
	;;#ASMSTART
	v_dot2_f32_f16 v48, v52, v60, v48
	;;#ASMEND
	;;#ASMSTART
	v_dot2_f32_f16 v48, v53, v61, v48
	;;#ASMEND
	;;#ASMSTART
	v_dot2_f32_f16 v48, v54, v62, v48
	;;#ASMEND
	;;#ASMSTART
	v_dot2_f32_f16 v48, v55, v63, v48
	;;#ASMEND
	;; [unrolled: 13-line block ×4, first 2 shown]
	;;#ASMSTART
	v_dot2_f32_f16 v49, v56, v6, v49
	;;#ASMEND
	;;#ASMSTART
	v_dot2_f32_f16 v49, v57, v7, v49
	;;#ASMEND
	;; [unrolled: 3-line block ×16, first 2 shown]
	ds_read_b128 v[6:9], v39 offset:9392
	ds_read_b128 v[52:55], v51 offset:48
	;; [unrolled: 1-line block ×6, first 2 shown]
	s_waitcnt lgkmcnt(4)
	;;#ASMSTART
	v_dot2_f32_f16 v50, v52, v6, v50
	;;#ASMEND
	;;#ASMSTART
	v_dot2_f32_f16 v50, v53, v7, v50
	;;#ASMEND
	;;#ASMSTART
	v_dot2_f32_f16 v50, v54, v8, v50
	;;#ASMEND
	;;#ASMSTART
	v_dot2_f32_f16 v50, v55, v9, v50
	;;#ASMEND
	s_waitcnt lgkmcnt(2)
	;;#ASMSTART
	v_dot2_f32_f16 v48, v52, v60, v48
	;;#ASMEND
	;;#ASMSTART
	v_dot2_f32_f16 v48, v53, v61, v48
	;;#ASMEND
	;;#ASMSTART
	v_dot2_f32_f16 v48, v54, v62, v48
	;;#ASMEND
	;;#ASMSTART
	v_dot2_f32_f16 v48, v55, v63, v48
	;;#ASMEND
	;; [unrolled: 13-line block ×4, first 2 shown]
	;;#ASMSTART
	v_dot2_f32_f16 v49, v56, v6, v49
	;;#ASMEND
	;;#ASMSTART
	v_dot2_f32_f16 v49, v57, v7, v49
	;;#ASMEND
	;; [unrolled: 3-line block ×16, first 2 shown]
	ds_read_b128 v[6:9], v39 offset:9408
	ds_read_b128 v[52:55], v51 offset:64
	;; [unrolled: 1-line block ×6, first 2 shown]
	s_waitcnt lgkmcnt(4)
	;;#ASMSTART
	v_dot2_f32_f16 v50, v52, v6, v50
	;;#ASMEND
	;;#ASMSTART
	v_dot2_f32_f16 v50, v53, v7, v50
	;;#ASMEND
	;;#ASMSTART
	v_dot2_f32_f16 v50, v54, v8, v50
	;;#ASMEND
	;;#ASMSTART
	v_dot2_f32_f16 v50, v55, v9, v50
	;;#ASMEND
	s_waitcnt lgkmcnt(2)
	;;#ASMSTART
	v_dot2_f32_f16 v48, v52, v60, v48
	;;#ASMEND
	;;#ASMSTART
	v_dot2_f32_f16 v48, v53, v61, v48
	;;#ASMEND
	;;#ASMSTART
	v_dot2_f32_f16 v48, v54, v62, v48
	;;#ASMEND
	;;#ASMSTART
	v_dot2_f32_f16 v48, v55, v63, v48
	;;#ASMEND
	;; [unrolled: 13-line block ×4, first 2 shown]
	;;#ASMSTART
	v_dot2_f32_f16 v49, v56, v6, v49
	;;#ASMEND
	;;#ASMSTART
	v_dot2_f32_f16 v49, v57, v7, v49
	;;#ASMEND
	;;#ASMSTART
	v_dot2_f32_f16 v49, v58, v8, v49
	;;#ASMEND
	;;#ASMSTART
	v_dot2_f32_f16 v49, v59, v9, v49
	;;#ASMEND
	;;#ASMSTART
	v_dot2_f32_f16 v47, v56, v60, v47
	;;#ASMEND
	;;#ASMSTART
	v_dot2_f32_f16 v47, v57, v61, v47
	;;#ASMEND
	;;#ASMSTART
	v_dot2_f32_f16 v47, v58, v62, v47
	;;#ASMEND
	;;#ASMSTART
	v_dot2_f32_f16 v47, v59, v63, v47
	;;#ASMEND
	;;#ASMSTART
	v_dot2_f32_f16 v45, v56, v64, v45
	;;#ASMEND
	;;#ASMSTART
	v_dot2_f32_f16 v45, v57, v65, v45
	;;#ASMEND
	;;#ASMSTART
	v_dot2_f32_f16 v45, v58, v66, v45
	;;#ASMEND
	;;#ASMSTART
	v_dot2_f32_f16 v45, v59, v67, v45
	;;#ASMEND
	;;#ASMSTART
	v_dot2_f32_f16 v12, v56, v68, v12
	;;#ASMEND
	;;#ASMSTART
	v_dot2_f32_f16 v12, v57, v69, v12
	;;#ASMEND
	;;#ASMSTART
	v_dot2_f32_f16 v12, v58, v70, v12
	;;#ASMEND
	;;#ASMSTART
	v_dot2_f32_f16 v12, v59, v71, v12
	;;#ASMEND
	ds_read_b128 v[6:9], v39 offset:9424
	ds_read_b128 v[52:55], v51 offset:80
	;; [unrolled: 1-line block ×6, first 2 shown]
	s_waitcnt lgkmcnt(4)
	;;#ASMSTART
	v_dot2_f32_f16 v50, v52, v6, v50
	;;#ASMEND
	;;#ASMSTART
	v_dot2_f32_f16 v50, v53, v7, v50
	;;#ASMEND
	;;#ASMSTART
	v_dot2_f32_f16 v50, v54, v8, v50
	;;#ASMEND
	;;#ASMSTART
	v_dot2_f32_f16 v50, v55, v9, v50
	;;#ASMEND
	s_waitcnt lgkmcnt(2)
	;;#ASMSTART
	v_dot2_f32_f16 v48, v52, v60, v48
	;;#ASMEND
	;;#ASMSTART
	v_dot2_f32_f16 v48, v53, v61, v48
	;;#ASMEND
	;;#ASMSTART
	v_dot2_f32_f16 v48, v54, v62, v48
	;;#ASMEND
	;;#ASMSTART
	v_dot2_f32_f16 v48, v55, v63, v48
	;;#ASMEND
	;; [unrolled: 13-line block ×4, first 2 shown]
	;;#ASMSTART
	v_dot2_f32_f16 v49, v56, v6, v49
	;;#ASMEND
	;;#ASMSTART
	v_dot2_f32_f16 v49, v57, v7, v49
	;;#ASMEND
	;; [unrolled: 3-line block ×16, first 2 shown]
	ds_read_b128 v[6:9], v39 offset:9440
	ds_read_b128 v[52:55], v51 offset:96
	;; [unrolled: 1-line block ×6, first 2 shown]
	s_waitcnt lgkmcnt(4)
	;;#ASMSTART
	v_dot2_f32_f16 v50, v52, v6, v50
	;;#ASMEND
	;;#ASMSTART
	v_dot2_f32_f16 v50, v53, v7, v50
	;;#ASMEND
	;;#ASMSTART
	v_dot2_f32_f16 v50, v54, v8, v50
	;;#ASMEND
	;;#ASMSTART
	v_dot2_f32_f16 v50, v55, v9, v50
	;;#ASMEND
	s_waitcnt lgkmcnt(2)
	;;#ASMSTART
	v_dot2_f32_f16 v48, v52, v60, v48
	;;#ASMEND
	;;#ASMSTART
	v_dot2_f32_f16 v48, v53, v61, v48
	;;#ASMEND
	;;#ASMSTART
	v_dot2_f32_f16 v48, v54, v62, v48
	;;#ASMEND
	;;#ASMSTART
	v_dot2_f32_f16 v48, v55, v63, v48
	;;#ASMEND
	;; [unrolled: 13-line block ×4, first 2 shown]
	;;#ASMSTART
	v_dot2_f32_f16 v49, v56, v6, v49
	;;#ASMEND
	;;#ASMSTART
	v_dot2_f32_f16 v49, v57, v7, v49
	;;#ASMEND
	;; [unrolled: 3-line block ×16, first 2 shown]
	ds_read_b128 v[6:9], v39 offset:9456
	ds_read_b128 v[52:55], v51 offset:112
	;; [unrolled: 1-line block ×6, first 2 shown]
	s_waitcnt lgkmcnt(4)
	;;#ASMSTART
	v_dot2_f32_f16 v50, v52, v6, v50
	;;#ASMEND
	;;#ASMSTART
	v_dot2_f32_f16 v50, v53, v7, v50
	;;#ASMEND
	;;#ASMSTART
	v_dot2_f32_f16 v50, v54, v8, v50
	;;#ASMEND
	;;#ASMSTART
	v_dot2_f32_f16 v50, v55, v9, v50
	;;#ASMEND
	s_waitcnt lgkmcnt(2)
	;;#ASMSTART
	v_dot2_f32_f16 v48, v52, v60, v48
	;;#ASMEND
	;;#ASMSTART
	v_dot2_f32_f16 v48, v53, v61, v48
	;;#ASMEND
	;;#ASMSTART
	v_dot2_f32_f16 v48, v54, v62, v48
	;;#ASMEND
	;;#ASMSTART
	v_dot2_f32_f16 v48, v55, v63, v48
	;;#ASMEND
	;; [unrolled: 13-line block ×4, first 2 shown]
	;;#ASMSTART
	v_dot2_f32_f16 v49, v56, v6, v49
	;;#ASMEND
	;;#ASMSTART
	v_dot2_f32_f16 v49, v57, v7, v49
	;;#ASMEND
	;; [unrolled: 3-line block ×15, first 2 shown]
	v_cmp_nlt_f32_e64 s[6:7], |v50|, s6
	;;#ASMSTART
	v_dot2_f32_f16 v12, v59, v71, v12
	;;#ASMEND
                                        ; implicit-def: $vgpr6
	s_and_saveexec_b64 s[10:11], s[6:7]
	s_xor_b64 s[6:7], exec, s[10:11]
	s_cbranch_execz .LBB87_68
; %bb.67:
	v_add_f32_e64 v6, |v50|, |v50|
	v_mul_f32_e32 v7, 0x3fb8aa3b, v6
	s_mov_b32 s10, 0x3fb8aa3b
	v_rndne_f32_e32 v8, v7
	v_sub_f32_e32 v9, v7, v8
	v_fma_f32 v7, v6, s10, -v7
	v_fmac_f32_e32 v7, 0x32a5705f, v6
	v_add_f32_e32 v7, v9, v7
	v_exp_f32_e32 v7, v7
	v_cvt_i32_f32_e32 v8, v8
	s_mov_b32 s10, 0xc2ce8ed0
	v_cmp_ngt_f32_e32 vcc, s10, v6
	s_mov_b32 s10, 0x42b17218
	v_ldexp_f32 v7, v7, v8
	v_cndmask_b32_e32 v7, 0, v7, vcc
	v_mov_b32_e32 v8, 0x7f800000
	v_cmp_nlt_f32_e32 vcc, s10, v6
	v_cndmask_b32_e32 v6, v8, v7, vcc
	v_add_f32_e32 v6, 1.0, v6
	v_rcp_f32_e32 v6, v6
	v_fma_f32 v6, v6, -2.0, 1.0
.LBB87_68:
	s_andn2_saveexec_b64 s[6:7], s[6:7]
	s_cbranch_execz .LBB87_70
; %bb.69:
	v_mul_f32_e32 v6, v50, v50
	v_mov_b32_e32 v7, 0x3ca908c9
	v_fmac_f32_e32 v7, 0xbbbac73d, v6
	v_mov_b32_e32 v8, 0xbd5c1c4e
	v_fmac_f32_e32 v8, v6, v7
	;; [unrolled: 2-line block ×4, first 2 shown]
	v_mul_f32_e64 v7, |v50|, v8
	v_fma_f32 v6, v6, v7, |v50|
.LBB87_70:
	s_or_b64 exec, exec, s[6:7]
	s_cmp_lg_u64 s[44:45], 0
	s_brev_b32 s6, -2
	v_bfi_b32 v6, s6, v6, v50
	s_cselect_b64 s[6:7], -1, 0
	v_mul_f32_e32 v11, s19, v6
	v_cndmask_b32_e64 v6, 0, 1, s[6:7]
	v_cmp_ne_u32_e64 s[6:7], 1, v6
	v_mov_b32_e32 v9, v5
	v_add_u32_e32 v40, s22, v40
	v_cmp_gt_i32_e64 s[12:13], s39, v0
	v_mov_b32_e32 v8, v4
	v_mov_b32_e32 v7, v3
	;; [unrolled: 1-line block ×3, first 2 shown]
	s_and_saveexec_b64 s[10:11], s[12:13]
	s_cbranch_execz .LBB87_75
; %bb.71:
	s_and_b64 vcc, exec, s[6:7]
	s_cbranch_vccnz .LBB87_73
; %bb.72:
	v_add_u32_e32 v6, v40, v0
	v_ashrrev_i32_e32 v7, 31, v6
	v_lshlrev_b64 v[6:7], 1, v[6:7]
	v_mov_b32_e32 v8, s45
	v_add_co_u32_e32 v6, vcc, s44, v6
	v_addc_co_u32_e32 v7, vcc, v8, v7, vcc
	global_load_ushort v6, v[6:7], off
	s_waitcnt vmcnt(0)
	v_cvt_f32_f16_e32 v6, v6
	v_mul_f32_e32 v6, v26, v6
	s_branch .LBB87_74
.LBB87_73:
	v_mov_b32_e32 v6, 0
.LBB87_74:
	v_add_f32_e32 v11, v11, v6
	v_add_f32_e32 v6, 0x40051340, v11
	v_max_f32_e32 v7, v2, v2
	v_max_f32_e32 v10, v7, v6
	v_mov_b32_e32 v9, v5
	v_mov_b32_e32 v6, v2
	;; [unrolled: 1-line block ×5, first 2 shown]
.LBB87_75:
	s_or_b64 exec, exec, s[10:11]
	s_mov_b32 s10, 0x3f200000
	v_cmp_nlt_f32_e64 s[10:11], |v49|, s10
                                        ; implicit-def: $vgpr39
	s_and_saveexec_b64 s[14:15], s[10:11]
	s_xor_b64 s[10:11], exec, s[14:15]
	s_cbranch_execz .LBB87_77
; %bb.76:
	v_add_f32_e64 v10, |v49|, |v49|
	v_mul_f32_e32 v39, 0x3fb8aa3b, v10
	s_mov_b32 s14, 0x3fb8aa3b
	v_rndne_f32_e32 v50, v39
	v_sub_f32_e32 v51, v39, v50
	v_fma_f32 v39, v10, s14, -v39
	v_fmac_f32_e32 v39, 0x32a5705f, v10
	v_add_f32_e32 v39, v51, v39
	v_exp_f32_e32 v39, v39
	v_cvt_i32_f32_e32 v50, v50
	s_mov_b32 s14, 0xc2ce8ed0
	v_cmp_ngt_f32_e32 vcc, s14, v10
	s_mov_b32 s14, 0x42b17218
	v_ldexp_f32 v39, v39, v50
	v_cndmask_b32_e32 v39, 0, v39, vcc
	v_mov_b32_e32 v50, 0x7f800000
	v_cmp_nlt_f32_e32 vcc, s14, v10
	v_cndmask_b32_e32 v10, v50, v39, vcc
	v_add_f32_e32 v10, 1.0, v10
	v_rcp_f32_e32 v10, v10
	v_fma_f32 v39, v10, -2.0, 1.0
.LBB87_77:
	s_andn2_saveexec_b64 s[10:11], s[10:11]
	s_cbranch_execz .LBB87_79
; %bb.78:
	v_mul_f32_e32 v10, v49, v49
	v_mov_b32_e32 v39, 0x3ca908c9
	v_fmac_f32_e32 v39, 0xbbbac73d, v10
	v_mov_b32_e32 v50, 0xbd5c1c4e
	v_fmac_f32_e32 v50, v10, v39
	;; [unrolled: 2-line block ×4, first 2 shown]
	v_mul_f32_e64 v39, |v49|, v50
	v_fma_f32 v39, v10, v39, |v49|
.LBB87_79:
	s_or_b64 exec, exec, s[10:11]
	s_brev_b32 s10, -2
	v_add_u32_e32 v10, 32, v0
	v_bfi_b32 v39, s10, v39, v49
	v_mul_f32_e32 v39, s19, v39
	v_cmp_gt_i32_e64 s[10:11], s39, v10
	s_and_saveexec_b64 s[14:15], s[10:11]
	s_cbranch_execz .LBB87_84
; %bb.80:
	s_and_b64 vcc, exec, s[6:7]
	s_cbranch_vccnz .LBB87_82
; %bb.81:
	v_ashrrev_i32_e32 v50, 31, v40
	v_add_co_u32_e32 v49, vcc, v40, v0
	v_addc_co_u32_e32 v50, vcc, 0, v50, vcc
	v_lshlrev_b64 v[49:50], 1, v[49:50]
	v_mov_b32_e32 v40, s45
	v_add_co_u32_e32 v49, vcc, s44, v49
	v_addc_co_u32_e32 v50, vcc, v40, v50, vcc
	global_load_ushort v40, v[49:50], off offset:64
	s_waitcnt vmcnt(0)
	v_cvt_f32_f16_e32 v40, v40
	v_mul_f32_e32 v40, v26, v40
	s_branch .LBB87_83
.LBB87_82:
	v_mov_b32_e32 v40, 0
.LBB87_83:
	v_add_f32_e32 v39, v39, v40
	v_add_f32_e32 v40, 0x40051340, v39
	v_max_f32_e32 v6, v6, v6
	v_max_f32_e32 v6, v6, v40
.LBB87_84:
	s_or_b64 exec, exec, s[14:15]
	v_mbcnt_hi_u32_b32 v49, -1, v38
	v_and_b32_e32 v38, 0x60, v49
	v_add_u32_e32 v50, 32, v38
	v_xor_b32_e32 v51, 16, v49
	v_cmp_lt_i32_e32 vcc, v51, v50
	v_cndmask_b32_e32 v38, v49, v51, vcc
	v_lshlrev_b32_e32 v56, 2, v38
	ds_bpermute_b32 v38, v56, v6
	v_xor_b32_e32 v52, 8, v49
	v_cmp_lt_i32_e32 vcc, v52, v50
	v_cndmask_b32_e32 v40, v49, v52, vcc
	v_max_f32_e32 v6, v6, v6
	s_waitcnt lgkmcnt(0)
	v_max_f32_e32 v38, v38, v38
	v_lshlrev_b32_e32 v58, 2, v40
	v_max_f32_e32 v6, v6, v38
	ds_bpermute_b32 v38, v58, v6
	v_xor_b32_e32 v53, 4, v49
	v_cmp_lt_i32_e32 vcc, v53, v50
	v_cndmask_b32_e32 v40, v49, v53, vcc
	v_lshlrev_b32_e32 v57, 2, v40
	s_waitcnt lgkmcnt(0)
	v_max_f32_e32 v38, v38, v38
	v_max_f32_e32 v6, v6, v38
	ds_bpermute_b32 v38, v57, v6
	v_xor_b32_e32 v54, 2, v49
	v_cmp_lt_i32_e32 vcc, v54, v50
	v_cndmask_b32_e32 v40, v49, v54, vcc
	v_lshlrev_b32_e32 v40, 2, v40
	s_waitcnt lgkmcnt(0)
	v_max_f32_e32 v38, v38, v38
	;; [unrolled: 8-line block ×3, first 2 shown]
	v_max_f32_e32 v6, v6, v59
	ds_bpermute_b32 v59, v38, v6
	s_mov_b32 s14, 0x3f200000
	v_cmp_nlt_f32_e64 s[14:15], |v48|, s14
                                        ; implicit-def: $vgpr60
	s_and_saveexec_b64 s[36:37], s[14:15]
	s_xor_b64 s[14:15], exec, s[36:37]
	s_cbranch_execz .LBB87_86
; %bb.85:
	v_add_f32_e64 v60, |v48|, |v48|
	v_mul_f32_e32 v61, 0x3fb8aa3b, v60
	s_mov_b32 s36, 0x3fb8aa3b
	v_rndne_f32_e32 v62, v61
	v_sub_f32_e32 v63, v61, v62
	v_fma_f32 v61, v60, s36, -v61
	v_fmac_f32_e32 v61, 0x32a5705f, v60
	v_add_f32_e32 v61, v63, v61
	v_exp_f32_e32 v61, v61
	v_cvt_i32_f32_e32 v62, v62
	s_mov_b32 s36, 0xc2ce8ed0
	v_cmp_ngt_f32_e32 vcc, s36, v60
	s_mov_b32 s36, 0x42b17218
	v_ldexp_f32 v61, v61, v62
	v_cndmask_b32_e32 v61, 0, v61, vcc
	v_mov_b32_e32 v62, 0x7f800000
	v_cmp_nlt_f32_e32 vcc, s36, v60
	v_cndmask_b32_e32 v60, v62, v61, vcc
	v_add_f32_e32 v60, 1.0, v60
	v_rcp_f32_e32 v60, v60
	v_fma_f32 v60, v60, -2.0, 1.0
.LBB87_86:
	s_andn2_saveexec_b64 s[14:15], s[14:15]
	s_cbranch_execz .LBB87_88
; %bb.87:
	v_mul_f32_e32 v60, v48, v48
	v_mov_b32_e32 v61, 0x3ca908c9
	v_fmac_f32_e32 v61, 0xbbbac73d, v60
	v_mov_b32_e32 v62, 0xbd5c1c4e
	v_fmac_f32_e32 v62, v60, v61
	;; [unrolled: 2-line block ×4, first 2 shown]
	v_mul_f32_e64 v61, |v48|, v62
	v_fma_f32 v60, v60, v61, |v48|
.LBB87_88:
	s_or_b64 exec, exec, s[14:15]
	v_mul_hi_u32 v61, s28, v36
	s_waitcnt lgkmcnt(0)
	v_max_f32_e32 v59, v59, v59
	v_max_f32_e32 v6, v6, v6
	s_brev_b32 s14, -2
	v_add_u32_e32 v61, v36, v61
	v_lshrrev_b32_e32 v61, s29, v61
	v_mul_lo_u32 v61, v61, s30
	v_max_f32_e32 v6, v6, v59
	v_bfi_b32 v59, s14, v60, v48
	v_sub_u32_e32 v36, v36, v61
	v_mul_lo_u32 v36, v36, s23
	v_add_u32_e32 v48, s22, v36
	v_mul_f32_e32 v36, s19, v59
	s_and_saveexec_b64 s[14:15], s[12:13]
	s_cbranch_execz .LBB87_93
; %bb.89:
	s_and_b64 vcc, exec, s[6:7]
	s_cbranch_vccnz .LBB87_91
; %bb.90:
	v_add_u32_e32 v59, v48, v0
	v_ashrrev_i32_e32 v60, 31, v59
	v_lshlrev_b64 v[59:60], 1, v[59:60]
	v_mov_b32_e32 v61, s45
	v_add_co_u32_e32 v59, vcc, s44, v59
	v_addc_co_u32_e32 v60, vcc, v61, v60, vcc
	global_load_ushort v59, v[59:60], off
	s_waitcnt vmcnt(0)
	v_cvt_f32_f16_e32 v59, v59
	v_mul_f32_e32 v59, v26, v59
	s_branch .LBB87_92
.LBB87_91:
	v_mov_b32_e32 v59, 0
.LBB87_92:
	v_add_f32_e32 v36, v36, v59
	v_add_f32_e32 v59, 0x40051340, v36
	v_max_f32_e32 v7, v7, v7
	v_max_f32_e32 v7, v7, v59
.LBB87_93:
	s_or_b64 exec, exec, s[14:15]
	s_mov_b32 s14, 0x3f200000
	v_cmp_nlt_f32_e64 s[14:15], |v47|, s14
                                        ; implicit-def: $vgpr59
	s_and_saveexec_b64 s[36:37], s[14:15]
	s_xor_b64 s[14:15], exec, s[36:37]
	s_cbranch_execz .LBB87_95
; %bb.94:
	v_add_f32_e64 v59, |v47|, |v47|
	v_mul_f32_e32 v60, 0x3fb8aa3b, v59
	s_mov_b32 s36, 0x3fb8aa3b
	v_rndne_f32_e32 v61, v60
	v_sub_f32_e32 v62, v60, v61
	v_fma_f32 v60, v59, s36, -v60
	v_fmac_f32_e32 v60, 0x32a5705f, v59
	v_add_f32_e32 v60, v62, v60
	v_exp_f32_e32 v60, v60
	v_cvt_i32_f32_e32 v61, v61
	s_mov_b32 s36, 0xc2ce8ed0
	v_cmp_ngt_f32_e32 vcc, s36, v59
	s_mov_b32 s36, 0x42b17218
	v_ldexp_f32 v60, v60, v61
	v_cndmask_b32_e32 v60, 0, v60, vcc
	v_mov_b32_e32 v61, 0x7f800000
	v_cmp_nlt_f32_e32 vcc, s36, v59
	v_cndmask_b32_e32 v59, v61, v60, vcc
	v_add_f32_e32 v59, 1.0, v59
	v_rcp_f32_e32 v59, v59
	v_fma_f32 v59, v59, -2.0, 1.0
.LBB87_95:
	s_andn2_saveexec_b64 s[14:15], s[14:15]
	s_cbranch_execz .LBB87_97
; %bb.96:
	v_mul_f32_e32 v59, v47, v47
	v_mov_b32_e32 v60, 0x3ca908c9
	v_fmac_f32_e32 v60, 0xbbbac73d, v59
	v_mov_b32_e32 v61, 0xbd5c1c4e
	v_fmac_f32_e32 v61, v59, v60
	;; [unrolled: 2-line block ×4, first 2 shown]
	v_mul_f32_e64 v60, |v47|, v61
	v_fma_f32 v59, v59, v60, |v47|
.LBB87_97:
	s_or_b64 exec, exec, s[14:15]
	s_brev_b32 s14, -2
	v_bfi_b32 v47, s14, v59, v47
	v_mul_f32_e32 v47, s19, v47
	s_and_saveexec_b64 s[14:15], s[10:11]
	s_cbranch_execz .LBB87_102
; %bb.98:
	s_and_b64 vcc, exec, s[6:7]
	s_cbranch_vccnz .LBB87_100
; %bb.99:
	v_ashrrev_i32_e32 v60, 31, v48
	v_add_co_u32_e32 v59, vcc, v48, v0
	v_addc_co_u32_e32 v60, vcc, 0, v60, vcc
	v_lshlrev_b64 v[59:60], 1, v[59:60]
	v_mov_b32_e32 v48, s45
	v_add_co_u32_e32 v59, vcc, s44, v59
	v_addc_co_u32_e32 v60, vcc, v48, v60, vcc
	global_load_ushort v48, v[59:60], off offset:64
	s_waitcnt vmcnt(0)
	v_cvt_f32_f16_e32 v48, v48
	v_mul_f32_e32 v48, v26, v48
	s_branch .LBB87_101
.LBB87_100:
	v_mov_b32_e32 v48, 0
.LBB87_101:
	v_add_f32_e32 v47, v47, v48
	v_add_f32_e32 v48, 0x40051340, v47
	v_max_f32_e32 v7, v7, v7
	v_max_f32_e32 v7, v7, v48
.LBB87_102:
	s_or_b64 exec, exec, s[14:15]
	ds_bpermute_b32 v48, v56, v7
	v_max_f32_e32 v7, v7, v7
	s_mov_b32 s14, 0x3f200000
	v_cmp_nlt_f32_e64 s[14:15], |v46|, s14
                                        ; implicit-def: $vgpr59
	s_waitcnt lgkmcnt(0)
	v_max_f32_e32 v48, v48, v48
	v_max_f32_e32 v7, v7, v48
	ds_bpermute_b32 v48, v58, v7
	s_waitcnt lgkmcnt(0)
	v_max_f32_e32 v48, v48, v48
	v_max_f32_e32 v7, v7, v48
	ds_bpermute_b32 v48, v57, v7
	;; [unrolled: 4-line block ×4, first 2 shown]
	s_and_saveexec_b64 s[36:37], s[14:15]
	s_xor_b64 s[14:15], exec, s[36:37]
	s_cbranch_execz .LBB87_104
; %bb.103:
	v_add_f32_e64 v59, |v46|, |v46|
	v_mul_f32_e32 v60, 0x3fb8aa3b, v59
	s_mov_b32 s36, 0x3fb8aa3b
	v_rndne_f32_e32 v61, v60
	v_sub_f32_e32 v62, v60, v61
	v_fma_f32 v60, v59, s36, -v60
	v_fmac_f32_e32 v60, 0x32a5705f, v59
	v_add_f32_e32 v60, v62, v60
	v_exp_f32_e32 v60, v60
	v_cvt_i32_f32_e32 v61, v61
	s_mov_b32 s36, 0xc2ce8ed0
	v_cmp_ngt_f32_e32 vcc, s36, v59
	s_mov_b32 s36, 0x42b17218
	v_ldexp_f32 v60, v60, v61
	v_cndmask_b32_e32 v60, 0, v60, vcc
	v_mov_b32_e32 v61, 0x7f800000
	v_cmp_nlt_f32_e32 vcc, s36, v59
	v_cndmask_b32_e32 v59, v61, v60, vcc
	v_add_f32_e32 v59, 1.0, v59
	v_rcp_f32_e32 v59, v59
	v_fma_f32 v59, v59, -2.0, 1.0
.LBB87_104:
	s_andn2_saveexec_b64 s[14:15], s[14:15]
	s_cbranch_execz .LBB87_106
; %bb.105:
	v_mul_f32_e32 v59, v46, v46
	v_mov_b32_e32 v60, 0x3ca908c9
	v_fmac_f32_e32 v60, 0xbbbac73d, v59
	v_mov_b32_e32 v61, 0xbd5c1c4e
	v_fmac_f32_e32 v61, v59, v60
	;; [unrolled: 2-line block ×4, first 2 shown]
	v_mul_f32_e64 v60, |v46|, v61
	v_fma_f32 v59, v59, v60, |v46|
.LBB87_106:
	s_or_b64 exec, exec, s[14:15]
	v_mul_hi_u32 v60, s28, v34
	s_waitcnt lgkmcnt(0)
	v_max_f32_e32 v48, v48, v48
	v_max_f32_e32 v7, v7, v7
	s_brev_b32 s14, -2
	v_add_u32_e32 v60, v34, v60
	v_lshrrev_b32_e32 v60, s29, v60
	v_mul_lo_u32 v60, v60, s30
	v_max_f32_e32 v7, v7, v48
	v_bfi_b32 v48, s14, v59, v46
	v_sub_u32_e32 v34, v34, v60
	v_mul_lo_u32 v34, v34, s23
	v_add_u32_e32 v46, s22, v34
	v_mul_f32_e32 v34, s19, v48
	s_and_saveexec_b64 s[14:15], s[12:13]
	s_cbranch_execz .LBB87_111
; %bb.107:
	s_and_b64 vcc, exec, s[6:7]
	s_cbranch_vccnz .LBB87_109
; %bb.108:
	v_add_u32_e32 v59, v46, v0
	v_ashrrev_i32_e32 v60, 31, v59
	v_lshlrev_b64 v[59:60], 1, v[59:60]
	v_mov_b32_e32 v48, s45
	v_add_co_u32_e32 v59, vcc, s44, v59
	v_addc_co_u32_e32 v60, vcc, v48, v60, vcc
	global_load_ushort v48, v[59:60], off
	s_waitcnt vmcnt(0)
	v_cvt_f32_f16_e32 v48, v48
	v_mul_f32_e32 v48, v26, v48
	s_branch .LBB87_110
.LBB87_109:
	v_mov_b32_e32 v48, 0
.LBB87_110:
	v_add_f32_e32 v34, v34, v48
	v_add_f32_e32 v48, 0x40051340, v34
	v_max_f32_e32 v8, v8, v8
	v_max_f32_e32 v8, v8, v48
.LBB87_111:
	s_or_b64 exec, exec, s[14:15]
	s_mov_b32 s14, 0x3f200000
	v_cmp_nlt_f32_e64 s[14:15], |v45|, s14
                                        ; implicit-def: $vgpr48
	s_and_saveexec_b64 s[36:37], s[14:15]
	s_xor_b64 s[14:15], exec, s[36:37]
	s_cbranch_execz .LBB87_113
; %bb.112:
	v_add_f32_e64 v48, |v45|, |v45|
	v_mul_f32_e32 v59, 0x3fb8aa3b, v48
	s_mov_b32 s36, 0x3fb8aa3b
	v_rndne_f32_e32 v60, v59
	v_sub_f32_e32 v61, v59, v60
	v_fma_f32 v59, v48, s36, -v59
	v_fmac_f32_e32 v59, 0x32a5705f, v48
	v_add_f32_e32 v59, v61, v59
	v_exp_f32_e32 v59, v59
	v_cvt_i32_f32_e32 v60, v60
	s_mov_b32 s36, 0xc2ce8ed0
	v_cmp_ngt_f32_e32 vcc, s36, v48
	s_mov_b32 s36, 0x42b17218
	v_ldexp_f32 v59, v59, v60
	v_cndmask_b32_e32 v59, 0, v59, vcc
	v_mov_b32_e32 v60, 0x7f800000
	v_cmp_nlt_f32_e32 vcc, s36, v48
	v_cndmask_b32_e32 v48, v60, v59, vcc
	v_add_f32_e32 v48, 1.0, v48
	v_rcp_f32_e32 v48, v48
	v_fma_f32 v48, v48, -2.0, 1.0
.LBB87_113:
	s_andn2_saveexec_b64 s[14:15], s[14:15]
	s_cbranch_execz .LBB87_115
; %bb.114:
	v_mul_f32_e32 v48, v45, v45
	v_mov_b32_e32 v59, 0x3ca908c9
	v_fmac_f32_e32 v59, 0xbbbac73d, v48
	v_mov_b32_e32 v60, 0xbd5c1c4e
	v_fmac_f32_e32 v60, v48, v59
	;; [unrolled: 2-line block ×4, first 2 shown]
	v_mul_f32_e64 v59, |v45|, v60
	v_fma_f32 v48, v48, v59, |v45|
.LBB87_115:
	s_or_b64 exec, exec, s[14:15]
	s_brev_b32 s14, -2
	v_bfi_b32 v45, s14, v48, v45
	v_mul_f32_e32 v45, s19, v45
	s_and_saveexec_b64 s[14:15], s[10:11]
	s_cbranch_execz .LBB87_120
; %bb.116:
	s_and_b64 vcc, exec, s[6:7]
	s_cbranch_vccnz .LBB87_118
; %bb.117:
	v_ashrrev_i32_e32 v48, 31, v46
	v_add_co_u32_e32 v59, vcc, v46, v0
	v_addc_co_u32_e32 v60, vcc, 0, v48, vcc
	v_lshlrev_b64 v[59:60], 1, v[59:60]
	v_mov_b32_e32 v46, s45
	v_add_co_u32_e32 v59, vcc, s44, v59
	v_addc_co_u32_e32 v60, vcc, v46, v60, vcc
	global_load_ushort v46, v[59:60], off offset:64
	s_waitcnt vmcnt(0)
	v_cvt_f32_f16_e32 v46, v46
	v_mul_f32_e32 v46, v26, v46
	s_branch .LBB87_119
.LBB87_118:
	v_mov_b32_e32 v46, 0
.LBB87_119:
	v_add_f32_e32 v45, v45, v46
	v_add_f32_e32 v46, 0x40051340, v45
	v_max_f32_e32 v8, v8, v8
	v_max_f32_e32 v8, v8, v46
.LBB87_120:
	s_or_b64 exec, exec, s[14:15]
	ds_bpermute_b32 v46, v56, v8
	v_max_f32_e32 v8, v8, v8
	s_mov_b32 s14, 0x3f200000
	v_cmp_nlt_f32_e64 s[14:15], |v13|, s14
                                        ; implicit-def: $vgpr48
	s_waitcnt lgkmcnt(0)
	v_max_f32_e32 v46, v46, v46
	v_max_f32_e32 v8, v8, v46
	ds_bpermute_b32 v46, v58, v8
	s_waitcnt lgkmcnt(0)
	v_max_f32_e32 v46, v46, v46
	v_max_f32_e32 v8, v8, v46
	ds_bpermute_b32 v46, v57, v8
	;; [unrolled: 4-line block ×4, first 2 shown]
	s_and_saveexec_b64 s[36:37], s[14:15]
	s_xor_b64 s[14:15], exec, s[36:37]
	s_cbranch_execz .LBB87_122
; %bb.121:
	v_add_f32_e64 v48, |v13|, |v13|
	v_mul_f32_e32 v59, 0x3fb8aa3b, v48
	s_mov_b32 s36, 0x3fb8aa3b
	v_rndne_f32_e32 v60, v59
	v_sub_f32_e32 v61, v59, v60
	v_fma_f32 v59, v48, s36, -v59
	v_fmac_f32_e32 v59, 0x32a5705f, v48
	v_add_f32_e32 v59, v61, v59
	v_exp_f32_e32 v59, v59
	v_cvt_i32_f32_e32 v60, v60
	s_mov_b32 s36, 0xc2ce8ed0
	v_cmp_ngt_f32_e32 vcc, s36, v48
	s_mov_b32 s36, 0x42b17218
	v_ldexp_f32 v59, v59, v60
	v_cndmask_b32_e32 v59, 0, v59, vcc
	v_mov_b32_e32 v60, 0x7f800000
	v_cmp_nlt_f32_e32 vcc, s36, v48
	v_cndmask_b32_e32 v48, v60, v59, vcc
	v_add_f32_e32 v48, 1.0, v48
	v_rcp_f32_e32 v48, v48
	v_fma_f32 v48, v48, -2.0, 1.0
.LBB87_122:
	s_andn2_saveexec_b64 s[14:15], s[14:15]
	s_cbranch_execz .LBB87_124
; %bb.123:
	v_mul_f32_e32 v48, v13, v13
	v_mov_b32_e32 v59, 0x3ca908c9
	v_fmac_f32_e32 v59, 0xbbbac73d, v48
	v_mov_b32_e32 v60, 0xbd5c1c4e
	v_fmac_f32_e32 v60, v48, v59
	;; [unrolled: 2-line block ×4, first 2 shown]
	v_mul_f32_e64 v59, |v13|, v60
	v_fma_f32 v48, v48, v59, |v13|
.LBB87_124:
	s_or_b64 exec, exec, s[14:15]
	v_mul_hi_u32 v59, s28, v28
	s_brev_b32 s14, -2
	s_waitcnt lgkmcnt(0)
	v_max_f32_e32 v46, v46, v46
	v_max_f32_e32 v8, v8, v8
	v_add_u32_e32 v59, v28, v59
	v_lshrrev_b32_e32 v59, s29, v59
	v_mul_lo_u32 v59, v59, s30
	v_bfi_b32 v13, s14, v48, v13
	v_max_f32_e32 v8, v8, v46
	v_mul_f32_e32 v13, s19, v13
	v_sub_u32_e32 v28, v28, v59
	v_mul_lo_u32 v28, v28, s23
	v_add_u32_e32 v28, s22, v28
	s_and_saveexec_b64 s[14:15], s[12:13]
	s_cbranch_execz .LBB87_129
; %bb.125:
	s_and_b64 vcc, exec, s[6:7]
	s_cbranch_vccnz .LBB87_127
; %bb.126:
	v_add_u32_e32 v59, v28, v0
	v_ashrrev_i32_e32 v60, 31, v59
	v_lshlrev_b64 v[59:60], 1, v[59:60]
	v_mov_b32_e32 v46, s45
	v_add_co_u32_e32 v59, vcc, s44, v59
	v_addc_co_u32_e32 v60, vcc, v46, v60, vcc
	global_load_ushort v46, v[59:60], off
	s_waitcnt vmcnt(0)
	v_cvt_f32_f16_e32 v46, v46
	v_mul_f32_e32 v46, v26, v46
	s_branch .LBB87_128
.LBB87_127:
	v_mov_b32_e32 v46, 0
.LBB87_128:
	v_add_f32_e32 v13, v13, v46
	v_add_f32_e32 v46, 0x40051340, v13
	v_max_f32_e32 v9, v9, v9
	v_max_f32_e32 v9, v9, v46
.LBB87_129:
	s_or_b64 exec, exec, s[14:15]
	s_mov_b32 s12, 0x3f200000
	v_cmp_nlt_f32_e64 s[12:13], |v12|, s12
                                        ; implicit-def: $vgpr46
	s_and_saveexec_b64 s[14:15], s[12:13]
	s_xor_b64 s[12:13], exec, s[14:15]
	s_cbranch_execz .LBB87_131
; %bb.130:
	v_add_f32_e64 v46, |v12|, |v12|
	v_mul_f32_e32 v48, 0x3fb8aa3b, v46
	s_mov_b32 s14, 0x3fb8aa3b
	v_rndne_f32_e32 v59, v48
	v_sub_f32_e32 v60, v48, v59
	v_fma_f32 v48, v46, s14, -v48
	v_fmac_f32_e32 v48, 0x32a5705f, v46
	v_add_f32_e32 v48, v60, v48
	v_exp_f32_e32 v48, v48
	v_cvt_i32_f32_e32 v59, v59
	s_mov_b32 s14, 0xc2ce8ed0
	v_cmp_ngt_f32_e32 vcc, s14, v46
	s_mov_b32 s14, 0x42b17218
	v_ldexp_f32 v48, v48, v59
	v_cndmask_b32_e32 v48, 0, v48, vcc
	v_mov_b32_e32 v59, 0x7f800000
	v_cmp_nlt_f32_e32 vcc, s14, v46
	v_cndmask_b32_e32 v46, v59, v48, vcc
	v_add_f32_e32 v46, 1.0, v46
	v_rcp_f32_e32 v46, v46
	v_fma_f32 v46, v46, -2.0, 1.0
.LBB87_131:
	s_andn2_saveexec_b64 s[12:13], s[12:13]
	s_cbranch_execz .LBB87_133
; %bb.132:
	v_mul_f32_e32 v46, v12, v12
	v_mov_b32_e32 v48, 0x3ca908c9
	v_fmac_f32_e32 v48, 0xbbbac73d, v46
	v_mov_b32_e32 v59, 0xbd5c1c4e
	v_fmac_f32_e32 v59, v46, v48
	;; [unrolled: 2-line block ×4, first 2 shown]
	v_mul_f32_e64 v48, |v12|, v59
	v_fma_f32 v46, v46, v48, |v12|
.LBB87_133:
	s_or_b64 exec, exec, s[12:13]
	s_brev_b32 s12, -2
	v_bfi_b32 v12, s12, v46, v12
	v_mul_f32_e32 v12, s19, v12
	s_and_saveexec_b64 s[12:13], s[10:11]
	s_cbranch_execz .LBB87_138
; %bb.134:
	s_and_b64 vcc, exec, s[6:7]
	s_cbranch_vccnz .LBB87_136
; %bb.135:
	v_ashrrev_i32_e32 v46, 31, v28
	v_add_co_u32_e32 v59, vcc, v28, v0
	v_addc_co_u32_e32 v60, vcc, 0, v46, vcc
	v_lshlrev_b64 v[59:60], 1, v[59:60]
	v_mov_b32_e32 v28, s45
	v_add_co_u32_e32 v59, vcc, s44, v59
	v_addc_co_u32_e32 v60, vcc, v28, v60, vcc
	global_load_ushort v28, v[59:60], off offset:64
	s_waitcnt vmcnt(0)
	v_cvt_f32_f16_e32 v28, v28
	v_mul_f32_e32 v26, v26, v28
	s_branch .LBB87_137
.LBB87_136:
	v_mov_b32_e32 v26, 0
.LBB87_137:
	v_add_f32_e32 v12, v12, v26
	v_add_f32_e32 v26, 0x40051340, v12
	v_max_f32_e32 v9, v9, v9
	v_max_f32_e32 v9, v9, v26
.LBB87_138:
	s_or_b64 exec, exec, s[12:13]
	ds_bpermute_b32 v26, v56, v9
	v_max_f32_e32 v9, v9, v9
	s_mov_b64 s[12:13], src_private_base
	v_sub_f32_e32 v11, v11, v6
	s_mov_b32 s12, 0x3fb8aa3b
	s_waitcnt lgkmcnt(0)
	v_max_f32_e32 v26, v26, v26
	v_max_f32_e32 v9, v9, v26
	ds_bpermute_b32 v28, v58, v9
	v_mul_f32_e32 v46, 0x3fb8aa3b, v11
	v_fma_f32 v48, v11, s12, -v46
	v_rndne_f32_e32 v56, v46
	v_fmac_f32_e32 v48, 0x32a5705f, v11
	s_waitcnt lgkmcnt(0)
	v_max_f32_e32 v28, v28, v28
	v_max_f32_e32 v9, v9, v28
	ds_bpermute_b32 v28, v57, v9
	s_mov_b32 s14, 0xc2ce8ed0
	v_cmp_ngt_f32_e32 vcc, s14, v11
	s_mov_b32 s15, 0x42b17218
	v_sub_f32_e32 v36, v36, v7
	s_waitcnt lgkmcnt(0)
	v_max_f32_e32 v28, v28, v28
	v_max_f32_e32 v9, v9, v28
	ds_bpermute_b32 v28, v40, v9
	v_sub_f32_e32 v40, v46, v56
	v_add_f32_e32 v40, v40, v48
	v_cvt_i32_f32_e32 v46, v56
	v_exp_f32_e32 v40, v40
	s_waitcnt lgkmcnt(0)
	v_max_f32_e32 v28, v28, v28
	v_max_f32_e32 v9, v9, v28
	ds_bpermute_b32 v28, v38, v9
	v_ldexp_f32 v38, v40, v46
	v_cndmask_b32_e32 v38, 0, v38, vcc
	v_cmp_nlt_f32_e32 vcc, s15, v11
	v_cmp_ngt_f32_e64 s[10:11], s14, v36
	s_waitcnt lgkmcnt(0)
	v_max_f32_e32 v28, v28, v28
	v_max_f32_e32 v9, v9, v28
	v_mov_b32_e32 v28, 0x7f800000
	v_cndmask_b32_e32 v11, v28, v38, vcc
	v_sub_f32_e32 v38, v39, v6
	v_mul_f32_e32 v39, 0x3fb8aa3b, v38
	v_fma_f32 v40, v38, s12, -v39
	v_rndne_f32_e32 v46, v39
	v_fmac_f32_e32 v40, 0x32a5705f, v38
	v_sub_f32_e32 v39, v39, v46
	v_add_f32_e32 v39, v39, v40
	v_exp_f32_e32 v39, v39
	v_cvt_i32_f32_e32 v40, v46
	v_cmp_ngt_f32_e64 s[6:7], s14, v38
	v_sub_f32_e32 v34, v34, v8
	v_sub_f32_e32 v45, v45, v8
	v_ldexp_f32 v39, v39, v40
	v_cndmask_b32_e64 v39, 0, v39, s[6:7]
	v_cmp_nlt_f32_e64 s[6:7], s15, v38
	v_cndmask_b32_e64 v38, v28, v39, s[6:7]
	v_mul_f32_e32 v39, 0x3fb8aa3b, v36
	v_fma_f32 v40, v36, s12, -v39
	v_rndne_f32_e32 v46, v39
	v_fmac_f32_e32 v40, 0x32a5705f, v36
	v_sub_f32_e32 v39, v39, v46
	v_add_f32_e32 v39, v39, v40
	v_exp_f32_e32 v39, v39
	v_cvt_i32_f32_e32 v40, v46
	v_sub_f32_e32 v13, v13, v9
	v_sub_f32_e32 v12, v12, v9
	v_cmp_gt_u32_e32 vcc, s39, v0
	v_ldexp_f32 v39, v39, v40
	v_sub_f32_e32 v40, v47, v7
	v_mul_f32_e32 v46, 0x3fb8aa3b, v40
	v_fma_f32 v47, v40, s12, -v46
	v_rndne_f32_e32 v57, v46
	v_fmac_f32_e32 v47, 0x32a5705f, v40
	v_sub_f32_e32 v46, v46, v57
	v_add_f32_e32 v46, v46, v47
	v_exp_f32_e32 v46, v46
	v_cvt_i32_f32_e32 v57, v57
	v_cndmask_b32_e64 v39, 0, v39, s[10:11]
	v_cmp_nlt_f32_e64 s[10:11], s15, v36
	v_cndmask_b32_e64 v36, v28, v39, s[10:11]
	v_ldexp_f32 v39, v46, v57
	v_mul_f32_e32 v46, 0x3fb8aa3b, v34
	v_fma_f32 v57, v34, s12, -v46
	v_rndne_f32_e32 v58, v46
	v_fmac_f32_e32 v57, 0x32a5705f, v34
	v_sub_f32_e32 v46, v46, v58
	v_add_f32_e32 v46, v46, v57
	v_exp_f32_e32 v46, v46
	v_cvt_i32_f32_e32 v57, v58
	v_cmp_ngt_f32_e64 s[10:11], s14, v40
	v_cndmask_b32_e64 v39, 0, v39, s[10:11]
	v_cmp_nlt_f32_e64 s[10:11], s15, v40
	v_ldexp_f32 v40, v46, v57
	v_mul_f32_e32 v46, 0x3fb8aa3b, v45
	v_fma_f32 v57, v45, s12, -v46
	v_rndne_f32_e32 v58, v46
	v_fmac_f32_e32 v57, 0x32a5705f, v45
	v_sub_f32_e32 v46, v46, v58
	v_add_f32_e32 v46, v46, v57
	v_exp_f32_e32 v46, v46
	v_cvt_i32_f32_e32 v57, v58
	v_cndmask_b32_e64 v39, v28, v39, s[10:11]
	v_cmp_ngt_f32_e64 s[10:11], s14, v34
	v_cndmask_b32_e64 v40, 0, v40, s[10:11]
	v_cmp_nlt_f32_e64 s[10:11], s15, v34
	v_cndmask_b32_e64 v34, v28, v40, s[10:11]
	v_ldexp_f32 v40, v46, v57
	v_mul_f32_e32 v46, 0x3fb8aa3b, v13
	v_fma_f32 v57, v13, s12, -v46
	v_rndne_f32_e32 v58, v46
	v_fmac_f32_e32 v57, 0x32a5705f, v13
	v_sub_f32_e32 v46, v46, v58
	v_add_f32_e32 v46, v46, v57
	v_exp_f32_e32 v46, v46
	v_cvt_i32_f32_e32 v57, v58
	v_cmp_ngt_f32_e64 s[10:11], s14, v45
	v_cndmask_b32_e64 v40, 0, v40, s[10:11]
	v_cmp_nlt_f32_e64 s[10:11], s15, v45
	v_ldexp_f32 v45, v46, v57
	v_mul_f32_e32 v46, 0x3fb8aa3b, v12
	v_fma_f32 v57, v12, s12, -v46
	v_rndne_f32_e32 v58, v46
	v_fmac_f32_e32 v57, 0x32a5705f, v12
	v_sub_f32_e32 v46, v46, v58
	v_cndmask_b32_e64 v40, v28, v40, s[10:11]
	v_cmp_ngt_f32_e64 s[10:11], s14, v13
	v_add_f32_e32 v46, v46, v57
	v_cndmask_b32_e64 v45, 0, v45, s[10:11]
	v_exp_f32_e32 v46, v46
	v_cvt_i32_f32_e32 v57, v58
	v_cmp_nlt_f32_e64 s[10:11], s15, v13
	v_cndmask_b32_e64 v13, v28, v45, s[10:11]
	v_cndmask_b32_e32 v48, 0, v11, vcc
	v_cndmask_b32_e32 v47, 0, v36, vcc
	;; [unrolled: 1-line block ×4, first 2 shown]
	v_cvt_f16_f32_e32 v11, v48
	v_cvt_f16_f32_e32 v36, v47
	;; [unrolled: 1-line block ×4, first 2 shown]
	v_ldexp_f32 v45, v46, v57
	v_cmp_ngt_f32_e32 vcc, s14, v12
	v_lshlrev_b32_e32 v26, 9, v1
	v_cndmask_b32_e32 v45, 0, v45, vcc
	v_cmp_nlt_f32_e32 vcc, s15, v12
	v_cmp_gt_u32_e64 s[6:7], s39, v10
	v_cndmask_b32_e32 v12, v28, v45, vcc
	v_add_u32_e32 v46, 0x4400, v26
	v_cndmask_b32_e64 v67, 0, v12, s[6:7]
	v_add_u32_e32 v57, v46, v23
	v_pack_b32_f16 v12, v34, v13
	v_pack_b32_f16 v11, v11, v36
	s_barrier
	v_cndmask_b32_e64 v56, 0, v38, s[6:7]
	v_cndmask_b32_e64 v63, 0, v39, s[6:7]
	;; [unrolled: 1-line block ×3, first 2 shown]
	ds_write_b64 v57, v[11:12]
	v_lshl_add_u32 v12, v10, 3, v46
	v_lshl_add_u32 v46, v1, 1, v25
	v_cvt_f16_f32_e32 v38, v56
	v_cvt_f16_f32_e32 v39, v63
	;; [unrolled: 1-line block ×4, first 2 shown]
	v_mul_lo_u32 v61, s8, v46
	s_mul_hi_i32 s7, s22, s8
	s_mul_i32 s6, s22, s8
	v_pack_b32_f16 v11, v40, v45
	v_pack_b32_f16 v10, v38, v39
	v_ashrrev_i32_e32 v62, 31, v61
	s_lshl_b64 s[6:7], s[6:7], 2
	ds_write_b64 v12, v[10:11]
	s_add_u32 s6, s16, s6
	v_lshlrev_b64 v[12:13], 2, v[61:62]
	s_addc_u32 s7, s17, s7
	v_mov_b32_e32 v1, s7
	v_add_co_u32_e32 v10, vcc, s6, v12
	v_lshlrev_b32_e32 v34, 2, v24
	v_addc_co_u32_e32 v1, vcc, v1, v13, vcc
	v_add_co_u32_e32 v10, vcc, v10, v34
	v_addc_co_u32_e32 v1, vcc, 0, v1, vcc
	v_mov_b32_e32 v36, 0
	v_mov_b32_e32 v38, s13
	v_cmp_gt_i32_e32 vcc, s39, v46
	v_mov_b32_e32 v39, 0
	buffer_store_dword v36, off, s[0:3], 0
	buffer_store_dword v36, off, s[0:3], 0 offset:4
	buffer_store_dword v36, off, s[0:3], 0 offset:8
	;; [unrolled: 1-line block ×3, first 2 shown]
	v_cndmask_b32_e32 v11, v38, v1, vcc
	v_cndmask_b32_e32 v10, v39, v10, vcc
	flat_load_dwordx4 v[57:60], v[10:11]
	v_lshl_add_u32 v1, s8, 4, v61
	v_sub_f32_e32 v25, v2, v6
	v_ashrrev_i32_e32 v2, 31, v1
	v_lshlrev_b64 v[10:11], 2, v[1:2]
	v_mov_b32_e32 v1, s7
	v_add_co_u32_e32 v2, vcc, s6, v10
	v_lshl_or_b32 v45, v46, 8, v34
	v_addc_co_u32_e32 v1, vcc, v1, v11, vcc
	v_add_u32_e32 v40, 16, v46
	v_mul_f32_e32 v24, 0x3fb8aa3b, v25
	s_mov_b32 s6, 0x10001
	s_or_b32 s7, s22, 32
	s_mul_hi_i32 s11, s7, s8
	s_mul_i32 s10, s7, s8
	s_lshl_b64 s[10:11], s[10:11], 2
	s_add_u32 s7, s16, s10
	s_addc_u32 s8, s17, s11
	s_sub_i32 s10, s39, 32
	s_waitcnt vmcnt(0) lgkmcnt(0)
	ds_write_b128 v45, v[57:60]
	v_add_co_u32_e32 v57, vcc, v2, v34
	v_addc_co_u32_e32 v1, vcc, 0, v1, vcc
	v_cmp_gt_i32_e32 vcc, s39, v40
	buffer_store_dword v36, off, s[0:3], 0
	buffer_store_dword v36, off, s[0:3], 0 offset:4
	buffer_store_dword v36, off, s[0:3], 0 offset:8
	;; [unrolled: 1-line block ×3, first 2 shown]
	v_cndmask_b32_e32 v2, v38, v1, vcc
	v_cndmask_b32_e32 v1, v39, v57, vcc
	flat_load_dwordx4 v[57:60], v[1:2]
	v_fma_f32 v1, v25, s12, -v24
	v_rndne_f32_e32 v2, v24
	v_fmac_f32_e32 v1, 0x32a5705f, v25
	v_sub_f32_e32 v24, v24, v2
	v_add_f32_e32 v1, v24, v1
	v_exp_f32_e32 v1, v1
	v_cvt_i32_f32_e32 v2, v2
	v_cmp_ngt_f32_e32 vcc, s14, v25
	v_add_f32_e32 v24, v48, v56
	v_ldexp_f32 v1, v1, v2
	v_cndmask_b32_e32 v1, 0, v1, vcc
	v_cmp_nlt_f32_e32 vcc, s15, v25
	v_sub_f32_e32 v2, v3, v7
	v_cndmask_b32_e32 v1, v28, v1, vcc
	v_mul_f32_e32 v3, 0x3fb8aa3b, v2
	v_fmac_f32_e32 v24, v42, v1
	v_fma_f32 v25, v2, s12, -v3
	v_rndne_f32_e32 v42, v3
	v_fmac_f32_e32 v25, 0x32a5705f, v2
	v_sub_f32_e32 v3, v3, v42
	v_add_f32_e32 v3, v3, v25
	v_cvt_f16_f32_e32 v1, v1
	v_exp_f32_e32 v3, v3
	v_cvt_i32_f32_e32 v42, v42
	v_add_f32_e32 v25, v47, v63
	v_mul_u32_u24_e32 v48, 0x10001, v1
	v_cmp_ngt_f32_e32 vcc, s14, v2
	v_ldexp_f32 v1, v3, v42
	v_sub_f32_e32 v3, v4, v8
	v_mul_f32_e32 v4, 0x3fb8aa3b, v3
	v_fma_f32 v42, v3, s12, -v4
	v_rndne_f32_e32 v47, v4
	v_fmac_f32_e32 v42, 0x32a5705f, v3
	v_sub_f32_e32 v4, v4, v47
	v_add_f32_e32 v4, v4, v42
	v_exp_f32_e32 v4, v4
	v_cvt_i32_f32_e32 v42, v47
	v_cndmask_b32_e32 v1, 0, v1, vcc
	v_cmp_nlt_f32_e32 vcc, s15, v2
	v_cndmask_b32_e32 v1, v28, v1, vcc
	v_cvt_f16_f32_e32 v2, v1
	v_fmac_f32_e32 v25, v41, v1
	v_ldexp_f32 v1, v4, v42
	v_cmp_ngt_f32_e32 vcc, s14, v3
	v_cndmask_b32_e32 v1, 0, v1, vcc
	v_cmp_nlt_f32_e32 vcc, s15, v3
	v_sub_f32_e32 v3, v5, v9
	v_mul_f32_e32 v4, 0x3fb8aa3b, v3
	v_fma_f32 v5, v3, s12, -v4
	v_rndne_f32_e32 v41, v4
	v_fmac_f32_e32 v5, 0x32a5705f, v3
	v_sub_f32_e32 v4, v4, v41
	v_add_f32_e32 v4, v4, v5
	v_exp_f32_e32 v4, v4
	v_cvt_i32_f32_e32 v41, v41
	v_cndmask_b32_e32 v1, v28, v1, vcc
	v_mul_u32_u24_e32 v47, 0x10001, v2
	v_cvt_f16_f32_e32 v2, v1
	v_add_f32_e32 v5, v64, v65
	v_fmac_f32_e32 v5, v44, v1
	v_ldexp_f32 v1, v4, v41
	v_cmp_ngt_f32_e32 vcc, s14, v3
	v_cndmask_b32_e32 v1, 0, v1, vcc
	v_cmp_nlt_f32_e32 vcc, s15, v3
	v_cndmask_b32_e32 v1, v28, v1, vcc
	v_mul_u32_u24_e32 v68, 0x10001, v2
	v_cvt_f16_f32_e32 v2, v1
	v_add_f32_e32 v28, v66, v67
	v_pk_mul_f16 v69, v32, v68
	v_fmac_f32_e32 v28, v43, v1
	v_mul_u32_u24_e32 v1, 0x10001, v2
	v_lshl_or_b32 v32, v40, 8, v34
	v_pk_mul_f16 v29, v29, v1
	v_pk_mul_f16 v27, v27, v1
	;; [unrolled: 1-line block ×4, first 2 shown]
	v_add_co_u32_e32 v12, vcc, s7, v12
	s_waitcnt vmcnt(0) lgkmcnt(0)
	ds_write_b128 v32, v[57:60]
	s_waitcnt lgkmcnt(0)
	s_barrier
	ds_read_b128 v[1:4], v26 offset:17408
	ds_read2_b64 v[41:44], v23 offset1:32
	ds_read_b128 v[56:59], v26 offset:17424
	ds_read_b128 v[60:63], v26 offset:17440
	;; [unrolled: 1-line block ×3, first 2 shown]
	s_waitcnt lgkmcnt(4)
	v_mul_u32_u24_sdwa v70, v1, s6 dst_sel:DWORD dst_unused:UNUSED_PAD src0_sel:WORD_0 src1_sel:DWORD
	v_mul_u32_u24_sdwa v1, v1, s6 dst_sel:DWORD dst_unused:UNUSED_PAD src0_sel:WORD_1 src1_sel:DWORD
	s_waitcnt lgkmcnt(3)
	v_pk_mul_f16 v72, v41, v70
	v_mul_u32_u24_sdwa v71, v2, s6 dst_sel:DWORD dst_unused:UNUSED_PAD src0_sel:WORD_0 src1_sel:DWORD
	v_pk_fma_f16 v33, v33, v48, v72
	v_pk_mul_f16 v48, v41, v1
	v_mul_u32_u24_sdwa v2, v2, s6 dst_sel:DWORD dst_unused:UNUSED_PAD src0_sel:WORD_1 src1_sel:DWORD
	v_pk_fma_f16 v31, v31, v47, v48
	v_pk_mul_f16 v47, v41, v71
	v_pk_fma_f16 v30, v30, v68, v47
	v_pk_fma_f16 v29, v41, v2, v29
	;; [unrolled: 1-line block ×6, first 2 shown]
	v_mul_u32_u24_sdwa v27, v3, s6 dst_sel:DWORD dst_unused:UNUSED_PAD src0_sel:WORD_0 src1_sel:DWORD
	v_mul_u32_u24_sdwa v3, v3, s6 dst_sel:DWORD dst_unused:UNUSED_PAD src0_sel:WORD_1 src1_sel:DWORD
	v_mul_u32_u24_sdwa v41, v4, s6 dst_sel:DWORD dst_unused:UNUSED_PAD src0_sel:WORD_0 src1_sel:DWORD
	v_mul_u32_u24_sdwa v4, v4, s6 dst_sel:DWORD dst_unused:UNUSED_PAD src0_sel:WORD_1 src1_sel:DWORD
	v_pk_fma_f16 v33, v43, v27, v33
	v_pk_fma_f16 v31, v43, v3, v31
	;; [unrolled: 1-line block ×8, first 2 shown]
	ds_read2_b64 v[1:4], v23 offset0:64 offset1:96
	s_waitcnt lgkmcnt(3)
	v_mul_u32_u24_sdwa v42, v56, s6 dst_sel:DWORD dst_unused:UNUSED_PAD src0_sel:WORD_0 src1_sel:DWORD
	v_mul_u32_u24_sdwa v43, v56, s6 dst_sel:DWORD dst_unused:UNUSED_PAD src0_sel:WORD_1 src1_sel:DWORD
	v_mul_u32_u24_sdwa v44, v57, s6 dst_sel:DWORD dst_unused:UNUSED_PAD src0_sel:WORD_0 src1_sel:DWORD
	v_mul_u32_u24_sdwa v47, v57, s6 dst_sel:DWORD dst_unused:UNUSED_PAD src0_sel:WORD_1 src1_sel:DWORD
	s_waitcnt lgkmcnt(0)
	v_pk_fma_f16 v33, v1, v42, v33
	v_pk_fma_f16 v31, v1, v43, v31
	;; [unrolled: 1-line block ×8, first 2 shown]
	v_mul_u32_u24_sdwa v37, v58, s6 dst_sel:DWORD dst_unused:UNUSED_PAD src0_sel:WORD_0 src1_sel:DWORD
	v_mul_u32_u24_sdwa v41, v58, s6 dst_sel:DWORD dst_unused:UNUSED_PAD src0_sel:WORD_1 src1_sel:DWORD
	v_mul_u32_u24_sdwa v42, v59, s6 dst_sel:DWORD dst_unused:UNUSED_PAD src0_sel:WORD_0 src1_sel:DWORD
	v_mul_u32_u24_sdwa v43, v59, s6 dst_sel:DWORD dst_unused:UNUSED_PAD src0_sel:WORD_1 src1_sel:DWORD
	v_pk_fma_f16 v33, v3, v37, v33
	v_pk_fma_f16 v31, v3, v41, v31
	;; [unrolled: 1-line block ×8, first 2 shown]
	ds_read2_b64 v[1:4], v23 offset0:128 offset1:160
	v_mul_u32_u24_sdwa v41, v60, s6 dst_sel:DWORD dst_unused:UNUSED_PAD src0_sel:WORD_0 src1_sel:DWORD
	v_mul_u32_u24_sdwa v42, v60, s6 dst_sel:DWORD dst_unused:UNUSED_PAD src0_sel:WORD_1 src1_sel:DWORD
	v_mul_u32_u24_sdwa v43, v61, s6 dst_sel:DWORD dst_unused:UNUSED_PAD src0_sel:WORD_0 src1_sel:DWORD
	v_mul_u32_u24_sdwa v47, v61, s6 dst_sel:DWORD dst_unused:UNUSED_PAD src0_sel:WORD_1 src1_sel:DWORD
	s_waitcnt lgkmcnt(0)
	v_pk_fma_f16 v33, v1, v41, v33
	v_pk_fma_f16 v31, v1, v42, v31
	;; [unrolled: 1-line block ×8, first 2 shown]
	v_mul_u32_u24_sdwa v37, v62, s6 dst_sel:DWORD dst_unused:UNUSED_PAD src0_sel:WORD_0 src1_sel:DWORD
	v_mul_u32_u24_sdwa v41, v62, s6 dst_sel:DWORD dst_unused:UNUSED_PAD src0_sel:WORD_1 src1_sel:DWORD
	v_mul_u32_u24_sdwa v42, v63, s6 dst_sel:DWORD dst_unused:UNUSED_PAD src0_sel:WORD_0 src1_sel:DWORD
	v_mul_u32_u24_sdwa v43, v63, s6 dst_sel:DWORD dst_unused:UNUSED_PAD src0_sel:WORD_1 src1_sel:DWORD
	v_pk_fma_f16 v33, v3, v37, v33
	v_pk_fma_f16 v31, v3, v41, v31
	;; [unrolled: 1-line block ×8, first 2 shown]
	ds_read2_b64 v[1:4], v23 offset0:192 offset1:224
	v_mul_u32_u24_sdwa v41, v64, s6 dst_sel:DWORD dst_unused:UNUSED_PAD src0_sel:WORD_0 src1_sel:DWORD
	v_mul_u32_u24_sdwa v42, v64, s6 dst_sel:DWORD dst_unused:UNUSED_PAD src0_sel:WORD_1 src1_sel:DWORD
	v_mul_u32_u24_sdwa v43, v65, s6 dst_sel:DWORD dst_unused:UNUSED_PAD src0_sel:WORD_0 src1_sel:DWORD
	v_mul_u32_u24_sdwa v47, v65, s6 dst_sel:DWORD dst_unused:UNUSED_PAD src0_sel:WORD_1 src1_sel:DWORD
	s_waitcnt lgkmcnt(0)
	v_pk_fma_f16 v33, v1, v41, v33
	v_pk_fma_f16 v31, v1, v42, v31
	;; [unrolled: 1-line block ×6, first 2 shown]
	v_mul_u32_u24_sdwa v41, v66, s6 dst_sel:DWORD dst_unused:UNUSED_PAD src0_sel:WORD_1 src1_sel:DWORD
	v_mul_u32_u24_sdwa v42, v67, s6 dst_sel:DWORD dst_unused:UNUSED_PAD src0_sel:WORD_0 src1_sel:DWORD
	v_pk_fma_f16 v1, v1, v47, v44
	v_pk_fma_f16 v2, v2, v47, v37
	v_mul_u32_u24_sdwa v37, v66, s6 dst_sel:DWORD dst_unused:UNUSED_PAD src0_sel:WORD_0 src1_sel:DWORD
	v_pk_fma_f16 v31, v3, v41, v31
	v_pk_fma_f16 v30, v3, v42, v30
	;; [unrolled: 1-line block ×4, first 2 shown]
	ds_read_b128 v[41:44], v26 offset:17472
	v_mul_u32_u24_sdwa v47, v67, s6 dst_sel:DWORD dst_unused:UNUSED_PAD src0_sel:WORD_1 src1_sel:DWORD
	v_pk_fma_f16 v33, v3, v37, v33
	v_pk_fma_f16 v37, v4, v37, v27
	v_add_u32_e32 v27, 0x800, v23
	v_pk_fma_f16 v48, v3, v47, v1
	v_pk_fma_f16 v47, v4, v47, v2
	ds_read2_b64 v[1:4], v27 offset1:32
	ds_read_b128 v[56:59], v26 offset:17488
	s_waitcnt lgkmcnt(2)
	v_mul_u32_u24_sdwa v60, v41, s6 dst_sel:DWORD dst_unused:UNUSED_PAD src0_sel:WORD_0 src1_sel:DWORD
	v_mul_u32_u24_sdwa v41, v41, s6 dst_sel:DWORD dst_unused:UNUSED_PAD src0_sel:WORD_1 src1_sel:DWORD
	v_mul_u32_u24_sdwa v61, v42, s6 dst_sel:DWORD dst_unused:UNUSED_PAD src0_sel:WORD_0 src1_sel:DWORD
	v_mul_u32_u24_sdwa v42, v42, s6 dst_sel:DWORD dst_unused:UNUSED_PAD src0_sel:WORD_1 src1_sel:DWORD
	s_waitcnt lgkmcnt(1)
	v_pk_fma_f16 v33, v1, v60, v33
	v_pk_fma_f16 v31, v1, v41, v31
	;; [unrolled: 1-line block ×8, first 2 shown]
	v_mul_u32_u24_sdwa v41, v43, s6 dst_sel:DWORD dst_unused:UNUSED_PAD src0_sel:WORD_0 src1_sel:DWORD
	v_mul_u32_u24_sdwa v42, v43, s6 dst_sel:DWORD dst_unused:UNUSED_PAD src0_sel:WORD_1 src1_sel:DWORD
	v_mul_u32_u24_sdwa v43, v44, s6 dst_sel:DWORD dst_unused:UNUSED_PAD src0_sel:WORD_0 src1_sel:DWORD
	v_mul_u32_u24_sdwa v44, v44, s6 dst_sel:DWORD dst_unused:UNUSED_PAD src0_sel:WORD_1 src1_sel:DWORD
	v_pk_fma_f16 v33, v3, v41, v33
	v_pk_fma_f16 v31, v3, v42, v31
	;; [unrolled: 1-line block ×8, first 2 shown]
	ds_read2_b64 v[1:4], v27 offset0:64 offset1:96
	s_waitcnt lgkmcnt(1)
	v_mul_u32_u24_sdwa v42, v56, s6 dst_sel:DWORD dst_unused:UNUSED_PAD src0_sel:WORD_0 src1_sel:DWORD
	v_mul_u32_u24_sdwa v43, v56, s6 dst_sel:DWORD dst_unused:UNUSED_PAD src0_sel:WORD_1 src1_sel:DWORD
	v_mul_u32_u24_sdwa v44, v57, s6 dst_sel:DWORD dst_unused:UNUSED_PAD src0_sel:WORD_0 src1_sel:DWORD
	v_mul_u32_u24_sdwa v48, v57, s6 dst_sel:DWORD dst_unused:UNUSED_PAD src0_sel:WORD_1 src1_sel:DWORD
	s_waitcnt lgkmcnt(0)
	v_pk_fma_f16 v33, v1, v42, v33
	v_pk_fma_f16 v31, v1, v43, v31
	;; [unrolled: 1-line block ×6, first 2 shown]
	v_mul_u32_u24_sdwa v41, v58, s6 dst_sel:DWORD dst_unused:UNUSED_PAD src0_sel:WORD_0 src1_sel:DWORD
	v_mul_u32_u24_sdwa v42, v58, s6 dst_sel:DWORD dst_unused:UNUSED_PAD src0_sel:WORD_1 src1_sel:DWORD
	v_pk_fma_f16 v30, v1, v44, v30
	v_pk_fma_f16 v33, v3, v41, v33
	;; [unrolled: 1-line block ×5, first 2 shown]
	ds_read_b128 v[41:44], v26 offset:17504
	v_pk_fma_f16 v1, v1, v48, v47
	v_mul_u32_u24_sdwa v47, v59, s6 dst_sel:DWORD dst_unused:UNUSED_PAD src0_sel:WORD_0 src1_sel:DWORD
	v_mul_u32_u24_sdwa v48, v59, s6 dst_sel:DWORD dst_unused:UNUSED_PAD src0_sel:WORD_1 src1_sel:DWORD
	v_pk_fma_f16 v30, v3, v47, v30
	v_pk_fma_f16 v60, v3, v48, v1
	;; [unrolled: 1-line block ×4, first 2 shown]
	ds_read2_b64 v[1:4], v27 offset0:128 offset1:160
	ds_read_b128 v[56:59], v26 offset:17520
	s_waitcnt lgkmcnt(2)
	v_mul_u32_u24_sdwa v48, v41, s6 dst_sel:DWORD dst_unused:UNUSED_PAD src0_sel:WORD_0 src1_sel:DWORD
	v_mul_u32_u24_sdwa v41, v41, s6 dst_sel:DWORD dst_unused:UNUSED_PAD src0_sel:WORD_1 src1_sel:DWORD
	v_mul_u32_u24_sdwa v61, v42, s6 dst_sel:DWORD dst_unused:UNUSED_PAD src0_sel:WORD_0 src1_sel:DWORD
	v_mul_u32_u24_sdwa v42, v42, s6 dst_sel:DWORD dst_unused:UNUSED_PAD src0_sel:WORD_1 src1_sel:DWORD
	s_waitcnt lgkmcnt(1)
	v_pk_fma_f16 v33, v1, v48, v33
	v_pk_fma_f16 v31, v1, v41, v31
	;; [unrolled: 1-line block ×8, first 2 shown]
	v_mul_u32_u24_sdwa v41, v43, s6 dst_sel:DWORD dst_unused:UNUSED_PAD src0_sel:WORD_0 src1_sel:DWORD
	v_mul_u32_u24_sdwa v42, v43, s6 dst_sel:DWORD dst_unused:UNUSED_PAD src0_sel:WORD_1 src1_sel:DWORD
	v_mul_u32_u24_sdwa v43, v44, s6 dst_sel:DWORD dst_unused:UNUSED_PAD src0_sel:WORD_0 src1_sel:DWORD
	v_mul_u32_u24_sdwa v44, v44, s6 dst_sel:DWORD dst_unused:UNUSED_PAD src0_sel:WORD_1 src1_sel:DWORD
	v_pk_fma_f16 v33, v3, v41, v33
	v_pk_fma_f16 v31, v3, v42, v31
	;; [unrolled: 1-line block ×8, first 2 shown]
	ds_read2_b64 v[1:4], v27 offset0:192 offset1:224
	s_waitcnt lgkmcnt(1)
	v_mul_u32_u24_sdwa v42, v56, s6 dst_sel:DWORD dst_unused:UNUSED_PAD src0_sel:WORD_0 src1_sel:DWORD
	v_mul_u32_u24_sdwa v43, v56, s6 dst_sel:DWORD dst_unused:UNUSED_PAD src0_sel:WORD_1 src1_sel:DWORD
	v_mul_u32_u24_sdwa v44, v57, s6 dst_sel:DWORD dst_unused:UNUSED_PAD src0_sel:WORD_0 src1_sel:DWORD
	v_mul_u32_u24_sdwa v48, v57, s6 dst_sel:DWORD dst_unused:UNUSED_PAD src0_sel:WORD_1 src1_sel:DWORD
	s_waitcnt lgkmcnt(0)
	v_pk_fma_f16 v33, v1, v42, v33
	v_pk_fma_f16 v31, v1, v43, v31
	;; [unrolled: 1-line block ×7, first 2 shown]
	v_mul_u32_u24_sdwa v41, v58, s6 dst_sel:DWORD dst_unused:UNUSED_PAD src0_sel:WORD_0 src1_sel:DWORD
	v_mul_u32_u24_sdwa v42, v58, s6 dst_sel:DWORD dst_unused:UNUSED_PAD src0_sel:WORD_1 src1_sel:DWORD
	v_mul_u32_u24_sdwa v43, v59, s6 dst_sel:DWORD dst_unused:UNUSED_PAD src0_sel:WORD_0 src1_sel:DWORD
	v_pk_fma_f16 v33, v3, v41, v33
	v_pk_fma_f16 v31, v3, v42, v31
	;; [unrolled: 1-line block ×6, first 2 shown]
	ds_read_b128 v[41:44], v26 offset:17536
	v_pk_fma_f16 v1, v1, v48, v47
	v_mul_u32_u24_sdwa v47, v59, s6 dst_sel:DWORD dst_unused:UNUSED_PAD src0_sel:WORD_1 src1_sel:DWORD
	v_add_u32_e32 v29, 0x1000, v23
	v_pk_fma_f16 v48, v3, v47, v1
	v_pk_fma_f16 v47, v4, v47, v2
	ds_read2_b64 v[56:59], v29 offset1:32
	ds_read_b128 v[1:4], v26 offset:17552
	s_waitcnt lgkmcnt(2)
	v_mul_u32_u24_sdwa v61, v41, s6 dst_sel:DWORD dst_unused:UNUSED_PAD src0_sel:WORD_0 src1_sel:DWORD
	v_mul_u32_u24_sdwa v41, v41, s6 dst_sel:DWORD dst_unused:UNUSED_PAD src0_sel:WORD_1 src1_sel:DWORD
	v_mul_u32_u24_sdwa v62, v42, s6 dst_sel:DWORD dst_unused:UNUSED_PAD src0_sel:WORD_0 src1_sel:DWORD
	v_mul_u32_u24_sdwa v42, v42, s6 dst_sel:DWORD dst_unused:UNUSED_PAD src0_sel:WORD_1 src1_sel:DWORD
	s_waitcnt lgkmcnt(1)
	v_pk_fma_f16 v33, v56, v61, v33
	v_pk_fma_f16 v31, v56, v41, v31
	;; [unrolled: 1-line block ×7, first 2 shown]
	v_mul_u32_u24_sdwa v47, v43, s6 dst_sel:DWORD dst_unused:UNUSED_PAD src0_sel:WORD_0 src1_sel:DWORD
	v_mul_u32_u24_sdwa v43, v43, s6 dst_sel:DWORD dst_unused:UNUSED_PAD src0_sel:WORD_1 src1_sel:DWORD
	v_mul_u32_u24_sdwa v56, v44, s6 dst_sel:DWORD dst_unused:UNUSED_PAD src0_sel:WORD_0 src1_sel:DWORD
	v_mul_u32_u24_sdwa v44, v44, s6 dst_sel:DWORD dst_unused:UNUSED_PAD src0_sel:WORD_1 src1_sel:DWORD
	v_pk_fma_f16 v33, v58, v47, v33
	v_pk_fma_f16 v31, v58, v43, v31
	;; [unrolled: 1-line block ×6, first 2 shown]
	ds_read2_b64 v[41:44], v29 offset0:64 offset1:96
	v_pk_fma_f16 v35, v57, v62, v35
	v_pk_fma_f16 v30, v58, v56, v30
	;; [unrolled: 1-line block ×3, first 2 shown]
	s_waitcnt lgkmcnt(1)
	v_mul_u32_u24_sdwa v56, v1, s6 dst_sel:DWORD dst_unused:UNUSED_PAD src0_sel:WORD_0 src1_sel:DWORD
	v_mul_u32_u24_sdwa v1, v1, s6 dst_sel:DWORD dst_unused:UNUSED_PAD src0_sel:WORD_1 src1_sel:DWORD
	v_mul_u32_u24_sdwa v109, v2, s6 dst_sel:DWORD dst_unused:UNUSED_PAD src0_sel:WORD_0 src1_sel:DWORD
	v_mul_u32_u24_sdwa v2, v2, s6 dst_sel:DWORD dst_unused:UNUSED_PAD src0_sel:WORD_1 src1_sel:DWORD
	s_waitcnt lgkmcnt(0)
	v_pk_fma_f16 v33, v41, v56, v33
	v_pk_fma_f16 v31, v41, v1, v31
	;; [unrolled: 1-line block ×4, first 2 shown]
	v_mov_b32_e32 v48, s8
	v_addc_co_u32_e32 v13, vcc, v48, v13, vcc
	v_add_co_u32_e32 v12, vcc, v12, v34
	v_addc_co_u32_e32 v13, vcc, 0, v13, vcc
	v_pk_fma_f16 v47, v42, v1, v47
	v_add_u32_e32 v1, 0x1800, v23
	v_cmp_gt_i32_e32 vcc, s10, v46
	v_pk_fma_f16 v37, v42, v56, v37
	ds_read2_b64 v[56:59], v29 offset0:128 offset1:160
	ds_read2_b64 v[60:63], v29 offset0:192 offset1:224
	ds_read_b128 v[64:67], v26 offset:17568
	ds_read_b128 v[68:71], v26 offset:17584
	ds_read2_b64 v[72:75], v1 offset1:32
	ds_read2_b64 v[76:79], v1 offset0:64 offset1:96
	ds_read_b128 v[80:83], v26 offset:17600
	ds_read_b128 v[84:87], v26 offset:17616
	ds_read2_b64 v[88:91], v1 offset0:128 offset1:160
	ds_read2_b64 v[92:95], v1 offset0:192 offset1:224
	ds_read_b128 v[96:99], v26 offset:17632
	ds_read_b128 v[100:103], v26 offset:17648
	s_waitcnt lgkmcnt(0)
	s_barrier
	buffer_store_dword v36, off, s[0:3], 0
	buffer_store_dword v36, off, s[0:3], 0 offset:4
	buffer_store_dword v36, off, s[0:3], 0 offset:8
	;; [unrolled: 1-line block ×3, first 2 shown]
	v_cndmask_b32_e32 v13, v38, v13, vcc
	v_cndmask_b32_e32 v12, v39, v12, vcc
	flat_load_dwordx4 v[104:107], v[12:13]
	v_pk_fma_f16 v12, v42, v109, v35
	v_pk_fma_f16 v2, v42, v2, v108
	v_mul_u32_u24_sdwa v13, v3, s6 dst_sel:DWORD dst_unused:UNUSED_PAD src0_sel:WORD_0 src1_sel:DWORD
	v_mul_u32_u24_sdwa v3, v3, s6 dst_sel:DWORD dst_unused:UNUSED_PAD src0_sel:WORD_1 src1_sel:DWORD
	v_mul_u32_u24_sdwa v35, v4, s6 dst_sel:DWORD dst_unused:UNUSED_PAD src0_sel:WORD_0 src1_sel:DWORD
	v_mul_u32_u24_sdwa v4, v4, s6 dst_sel:DWORD dst_unused:UNUSED_PAD src0_sel:WORD_1 src1_sel:DWORD
	v_pk_fma_f16 v31, v43, v3, v31
	v_pk_fma_f16 v30, v43, v35, v30
	;; [unrolled: 1-line block ×6, first 2 shown]
	v_mul_u32_u24_sdwa v35, v64, s6 dst_sel:DWORD dst_unused:UNUSED_PAD src0_sel:WORD_1 src1_sel:DWORD
	v_mul_u32_u24_sdwa v42, v65, s6 dst_sel:DWORD dst_unused:UNUSED_PAD src0_sel:WORD_1 src1_sel:DWORD
	v_pk_fma_f16 v31, v56, v35, v31
	v_pk_fma_f16 v41, v56, v42, v41
	v_pk_fma_f16 v3, v57, v35, v3
	v_pk_fma_f16 v2, v57, v42, v2
	v_mul_u32_u24_sdwa v35, v66, s6 dst_sel:DWORD dst_unused:UNUSED_PAD src0_sel:WORD_1 src1_sel:DWORD
	v_mul_u32_u24_sdwa v42, v67, s6 dst_sel:DWORD dst_unused:UNUSED_PAD src0_sel:WORD_1 src1_sel:DWORD
	v_pk_fma_f16 v31, v58, v35, v31
	v_pk_fma_f16 v41, v58, v42, v41
	v_pk_fma_f16 v3, v59, v35, v3
	v_pk_fma_f16 v2, v59, v42, v2
	;; [unrolled: 6-line block ×5, first 2 shown]
	v_mov_b32_e32 v2, s8
	v_add_co_u32_e32 v3, vcc, s7, v10
	v_pk_fma_f16 v33, v43, v13, v33
	v_pk_fma_f16 v13, v44, v13, v37
	v_mul_u32_u24_sdwa v4, v64, s6 dst_sel:DWORD dst_unused:UNUSED_PAD src0_sel:WORD_0 src1_sel:DWORD
	v_mul_u32_u24_sdwa v37, v65, s6 dst_sel:DWORD dst_unused:UNUSED_PAD src0_sel:WORD_0 src1_sel:DWORD
	v_addc_co_u32_e32 v2, vcc, v2, v11, vcc
	v_pk_fma_f16 v33, v56, v4, v33
	v_pk_fma_f16 v30, v56, v37, v30
	;; [unrolled: 1-line block ×4, first 2 shown]
	v_mul_u32_u24_sdwa v13, v66, s6 dst_sel:DWORD dst_unused:UNUSED_PAD src0_sel:WORD_0 src1_sel:DWORD
	v_mul_u32_u24_sdwa v37, v67, s6 dst_sel:DWORD dst_unused:UNUSED_PAD src0_sel:WORD_0 src1_sel:DWORD
	v_add_co_u32_e32 v10, vcc, v3, v34
	v_pk_fma_f16 v33, v58, v13, v33
	v_pk_fma_f16 v30, v58, v37, v30
	;; [unrolled: 1-line block ×4, first 2 shown]
	v_mul_u32_u24_sdwa v13, v68, s6 dst_sel:DWORD dst_unused:UNUSED_PAD src0_sel:WORD_0 src1_sel:DWORD
	v_mul_u32_u24_sdwa v37, v69, s6 dst_sel:DWORD dst_unused:UNUSED_PAD src0_sel:WORD_0 src1_sel:DWORD
	v_addc_co_u32_e32 v2, vcc, 0, v2, vcc
	v_pk_fma_f16 v33, v60, v13, v33
	v_pk_fma_f16 v30, v60, v37, v30
	v_pk_fma_f16 v4, v61, v13, v4
	v_pk_fma_f16 v12, v61, v37, v12
	v_mul_u32_u24_sdwa v13, v70, s6 dst_sel:DWORD dst_unused:UNUSED_PAD src0_sel:WORD_0 src1_sel:DWORD
	v_mul_u32_u24_sdwa v37, v71, s6 dst_sel:DWORD dst_unused:UNUSED_PAD src0_sel:WORD_0 src1_sel:DWORD
	v_cmp_gt_i32_e32 vcc, s10, v40
	v_pk_fma_f16 v33, v62, v13, v33
	v_pk_fma_f16 v30, v62, v37, v30
	;; [unrolled: 1-line block ×4, first 2 shown]
	v_mul_u32_u24_sdwa v13, v80, s6 dst_sel:DWORD dst_unused:UNUSED_PAD src0_sel:WORD_0 src1_sel:DWORD
	v_mul_u32_u24_sdwa v37, v81, s6 dst_sel:DWORD dst_unused:UNUSED_PAD src0_sel:WORD_0 src1_sel:DWORD
	s_waitcnt vmcnt(0) lgkmcnt(0)
	ds_write_b128 v45, v[104:107]
	buffer_store_dword v36, off, s[0:3], 0
	buffer_store_dword v36, off, s[0:3], 0 offset:4
	buffer_store_dword v36, off, s[0:3], 0 offset:8
	buffer_store_dword v36, off, s[0:3], 0 offset:12
	v_cndmask_b32_e32 v3, v38, v2, vcc
	v_cndmask_b32_e32 v2, v39, v10, vcc
	v_pk_fma_f16 v33, v72, v13, v33
	v_pk_fma_f16 v30, v72, v37, v30
	;; [unrolled: 1-line block ×4, first 2 shown]
	flat_load_dwordx4 v[10:13], v[2:3]
	v_mul_u32_u24_sdwa v43, v82, s6 dst_sel:DWORD dst_unused:UNUSED_PAD src0_sel:WORD_0 src1_sel:DWORD
	v_mul_u32_u24_sdwa v44, v82, s6 dst_sel:DWORD dst_unused:UNUSED_PAD src0_sel:WORD_1 src1_sel:DWORD
	v_mul_u32_u24_sdwa v46, v83, s6 dst_sel:DWORD dst_unused:UNUSED_PAD src0_sel:WORD_0 src1_sel:DWORD
	v_mul_u32_u24_sdwa v47, v83, s6 dst_sel:DWORD dst_unused:UNUSED_PAD src0_sel:WORD_1 src1_sel:DWORD
	v_pk_fma_f16 v33, v74, v43, v33
	v_pk_fma_f16 v2, v74, v44, v31
	v_pk_fma_f16 v3, v74, v46, v30
	v_pk_fma_f16 v30, v74, v47, v41
	v_pk_fma_f16 v4, v75, v43, v4
	v_pk_fma_f16 v31, v75, v44, v35
	v_pk_fma_f16 v34, v75, v46, v37
	v_pk_fma_f16 v35, v75, v47, v42
	v_mul_u32_u24_sdwa v36, v84, s6 dst_sel:DWORD dst_unused:UNUSED_PAD src0_sel:WORD_0 src1_sel:DWORD
	v_mul_u32_u24_sdwa v37, v84, s6 dst_sel:DWORD dst_unused:UNUSED_PAD src0_sel:WORD_1 src1_sel:DWORD
	v_mul_u32_u24_sdwa v38, v85, s6 dst_sel:DWORD dst_unused:UNUSED_PAD src0_sel:WORD_0 src1_sel:DWORD
	v_mul_u32_u24_sdwa v39, v85, s6 dst_sel:DWORD dst_unused:UNUSED_PAD src0_sel:WORD_1 src1_sel:DWORD
	v_pk_fma_f16 v33, v76, v36, v33
	v_pk_fma_f16 v2, v76, v37, v2
	v_pk_fma_f16 v3, v76, v38, v3
	v_pk_fma_f16 v30, v76, v39, v30
	v_pk_fma_f16 v4, v77, v36, v4
	v_pk_fma_f16 v31, v77, v37, v31
	v_pk_fma_f16 v34, v77, v38, v34
	v_pk_fma_f16 v35, v77, v39, v35
	;; [unrolled: 12-line block ×7, first 2 shown]
	s_waitcnt vmcnt(0) lgkmcnt(0)
	ds_write_b128 v32, v[10:13]
	s_waitcnt lgkmcnt(0)
	s_barrier
	ds_read_b128 v[10:13], v26 offset:17664
	ds_read2_b64 v[30:33], v23 offset1:32
	ds_read_b128 v[34:37], v26 offset:17680
	ds_read_b128 v[38:41], v26 offset:17696
	;; [unrolled: 1-line block ×3, first 2 shown]
	s_waitcnt lgkmcnt(4)
	v_mul_u32_u24_sdwa v58, v10, s6 dst_sel:DWORD dst_unused:UNUSED_PAD src0_sel:WORD_0 src1_sel:DWORD
	v_mul_u32_u24_sdwa v10, v10, s6 dst_sel:DWORD dst_unused:UNUSED_PAD src0_sel:WORD_1 src1_sel:DWORD
	v_mul_u32_u24_sdwa v59, v11, s6 dst_sel:DWORD dst_unused:UNUSED_PAD src0_sel:WORD_0 src1_sel:DWORD
	v_mul_u32_u24_sdwa v11, v11, s6 dst_sel:DWORD dst_unused:UNUSED_PAD src0_sel:WORD_1 src1_sel:DWORD
	s_waitcnt lgkmcnt(3)
	v_pk_fma_f16 v46, v30, v58, v46
	v_pk_fma_f16 v2, v30, v10, v2
	;; [unrolled: 1-line block ×8, first 2 shown]
	v_mul_u32_u24_sdwa v31, v12, s6 dst_sel:DWORD dst_unused:UNUSED_PAD src0_sel:WORD_0 src1_sel:DWORD
	v_mul_u32_u24_sdwa v12, v12, s6 dst_sel:DWORD dst_unused:UNUSED_PAD src0_sel:WORD_1 src1_sel:DWORD
	v_mul_u32_u24_sdwa v48, v13, s6 dst_sel:DWORD dst_unused:UNUSED_PAD src0_sel:WORD_0 src1_sel:DWORD
	v_mul_u32_u24_sdwa v13, v13, s6 dst_sel:DWORD dst_unused:UNUSED_PAD src0_sel:WORD_1 src1_sel:DWORD
	v_pk_fma_f16 v46, v32, v31, v46
	v_pk_fma_f16 v2, v32, v12, v2
	;; [unrolled: 1-line block ×8, first 2 shown]
	ds_read2_b64 v[10:13], v23 offset0:64 offset1:96
	s_waitcnt lgkmcnt(3)
	v_mul_u32_u24_sdwa v47, v34, s6 dst_sel:DWORD dst_unused:UNUSED_PAD src0_sel:WORD_0 src1_sel:DWORD
	v_mul_u32_u24_sdwa v34, v34, s6 dst_sel:DWORD dst_unused:UNUSED_PAD src0_sel:WORD_1 src1_sel:DWORD
	v_mul_u32_u24_sdwa v48, v35, s6 dst_sel:DWORD dst_unused:UNUSED_PAD src0_sel:WORD_0 src1_sel:DWORD
	v_mul_u32_u24_sdwa v35, v35, s6 dst_sel:DWORD dst_unused:UNUSED_PAD src0_sel:WORD_1 src1_sel:DWORD
	s_waitcnt lgkmcnt(0)
	v_pk_fma_f16 v46, v10, v47, v46
	v_pk_fma_f16 v2, v10, v34, v2
	;; [unrolled: 1-line block ×8, first 2 shown]
	v_mul_u32_u24_sdwa v32, v36, s6 dst_sel:DWORD dst_unused:UNUSED_PAD src0_sel:WORD_0 src1_sel:DWORD
	v_mul_u32_u24_sdwa v33, v36, s6 dst_sel:DWORD dst_unused:UNUSED_PAD src0_sel:WORD_1 src1_sel:DWORD
	v_mul_u32_u24_sdwa v34, v37, s6 dst_sel:DWORD dst_unused:UNUSED_PAD src0_sel:WORD_0 src1_sel:DWORD
	v_mul_u32_u24_sdwa v35, v37, s6 dst_sel:DWORD dst_unused:UNUSED_PAD src0_sel:WORD_1 src1_sel:DWORD
	v_pk_fma_f16 v36, v12, v32, v46
	v_pk_fma_f16 v2, v12, v33, v2
	;; [unrolled: 1-line block ×8, first 2 shown]
	ds_read2_b64 v[10:13], v23 offset0:128 offset1:160
	v_mul_u32_u24_sdwa v33, v38, s6 dst_sel:DWORD dst_unused:UNUSED_PAD src0_sel:WORD_0 src1_sel:DWORD
	v_mul_u32_u24_sdwa v34, v38, s6 dst_sel:DWORD dst_unused:UNUSED_PAD src0_sel:WORD_1 src1_sel:DWORD
	v_mul_u32_u24_sdwa v35, v39, s6 dst_sel:DWORD dst_unused:UNUSED_PAD src0_sel:WORD_0 src1_sel:DWORD
	v_mul_u32_u24_sdwa v38, v39, s6 dst_sel:DWORD dst_unused:UNUSED_PAD src0_sel:WORD_1 src1_sel:DWORD
	s_waitcnt lgkmcnt(0)
	v_pk_fma_f16 v36, v10, v33, v36
	v_pk_fma_f16 v2, v10, v34, v2
	;; [unrolled: 1-line block ×8, first 2 shown]
	v_mul_u32_u24_sdwa v32, v40, s6 dst_sel:DWORD dst_unused:UNUSED_PAD src0_sel:WORD_0 src1_sel:DWORD
	v_mul_u32_u24_sdwa v33, v40, s6 dst_sel:DWORD dst_unused:UNUSED_PAD src0_sel:WORD_1 src1_sel:DWORD
	v_mul_u32_u24_sdwa v34, v41, s6 dst_sel:DWORD dst_unused:UNUSED_PAD src0_sel:WORD_0 src1_sel:DWORD
	v_mul_u32_u24_sdwa v35, v41, s6 dst_sel:DWORD dst_unused:UNUSED_PAD src0_sel:WORD_1 src1_sel:DWORD
	v_pk_fma_f16 v36, v12, v32, v36
	v_pk_fma_f16 v2, v12, v33, v2
	v_pk_fma_f16 v3, v12, v34, v3
	v_pk_fma_f16 v37, v12, v35, v10
	v_pk_fma_f16 v4, v13, v32, v4
	v_pk_fma_f16 v30, v13, v33, v30
	v_pk_fma_f16 v31, v13, v34, v31
	v_pk_fma_f16 v32, v13, v35, v11
	ds_read2_b64 v[10:13], v23 offset0:192 offset1:224
	v_mul_u32_u24_sdwa v23, v42, s6 dst_sel:DWORD dst_unused:UNUSED_PAD src0_sel:WORD_0 src1_sel:DWORD
	v_mul_u32_u24_sdwa v33, v42, s6 dst_sel:DWORD dst_unused:UNUSED_PAD src0_sel:WORD_1 src1_sel:DWORD
	v_mul_u32_u24_sdwa v34, v43, s6 dst_sel:DWORD dst_unused:UNUSED_PAD src0_sel:WORD_0 src1_sel:DWORD
	v_mul_u32_u24_sdwa v35, v43, s6 dst_sel:DWORD dst_unused:UNUSED_PAD src0_sel:WORD_1 src1_sel:DWORD
	s_waitcnt lgkmcnt(0)
	v_pk_fma_f16 v36, v10, v23, v36
	v_pk_fma_f16 v2, v10, v33, v2
	;; [unrolled: 1-line block ×6, first 2 shown]
	v_mul_u32_u24_sdwa v30, v44, s6 dst_sel:DWORD dst_unused:UNUSED_PAD src0_sel:WORD_0 src1_sel:DWORD
	v_mul_u32_u24_sdwa v31, v44, s6 dst_sel:DWORD dst_unused:UNUSED_PAD src0_sel:WORD_1 src1_sel:DWORD
	v_pk_fma_f16 v11, v11, v35, v32
	v_pk_fma_f16 v38, v12, v30, v36
	;; [unrolled: 1-line block ×5, first 2 shown]
	ds_read_b128 v[30:33], v26 offset:17728
	v_pk_fma_f16 v10, v10, v35, v37
	v_mul_u32_u24_sdwa v35, v45, s6 dst_sel:DWORD dst_unused:UNUSED_PAD src0_sel:WORD_0 src1_sel:DWORD
	v_mul_u32_u24_sdwa v37, v45, s6 dst_sel:DWORD dst_unused:UNUSED_PAD src0_sel:WORD_1 src1_sel:DWORD
	v_pk_fma_f16 v3, v12, v35, v3
	v_pk_fma_f16 v39, v12, v37, v10
	;; [unrolled: 1-line block ×4, first 2 shown]
	ds_read2_b64 v[10:13], v27 offset1:32
	ds_read_b128 v[34:37], v26 offset:17744
	s_waitcnt lgkmcnt(2)
	v_mul_u32_u24_sdwa v42, v30, s6 dst_sel:DWORD dst_unused:UNUSED_PAD src0_sel:WORD_0 src1_sel:DWORD
	v_mul_u32_u24_sdwa v30, v30, s6 dst_sel:DWORD dst_unused:UNUSED_PAD src0_sel:WORD_1 src1_sel:DWORD
	v_mul_u32_u24_sdwa v43, v31, s6 dst_sel:DWORD dst_unused:UNUSED_PAD src0_sel:WORD_0 src1_sel:DWORD
	v_mul_u32_u24_sdwa v31, v31, s6 dst_sel:DWORD dst_unused:UNUSED_PAD src0_sel:WORD_1 src1_sel:DWORD
	s_waitcnt lgkmcnt(1)
	v_pk_fma_f16 v38, v10, v42, v38
	v_pk_fma_f16 v2, v10, v30, v2
	;; [unrolled: 1-line block ×8, first 2 shown]
	v_mul_u32_u24_sdwa v31, v32, s6 dst_sel:DWORD dst_unused:UNUSED_PAD src0_sel:WORD_0 src1_sel:DWORD
	v_mul_u32_u24_sdwa v32, v32, s6 dst_sel:DWORD dst_unused:UNUSED_PAD src0_sel:WORD_1 src1_sel:DWORD
	v_mul_u32_u24_sdwa v39, v33, s6 dst_sel:DWORD dst_unused:UNUSED_PAD src0_sel:WORD_0 src1_sel:DWORD
	v_mul_u32_u24_sdwa v33, v33, s6 dst_sel:DWORD dst_unused:UNUSED_PAD src0_sel:WORD_1 src1_sel:DWORD
	v_pk_fma_f16 v38, v12, v31, v38
	v_pk_fma_f16 v2, v12, v32, v2
	;; [unrolled: 1-line block ×8, first 2 shown]
	ds_read2_b64 v[10:13], v27 offset0:64 offset1:96
	s_waitcnt lgkmcnt(1)
	v_mul_u32_u24_sdwa v32, v34, s6 dst_sel:DWORD dst_unused:UNUSED_PAD src0_sel:WORD_0 src1_sel:DWORD
	v_mul_u32_u24_sdwa v33, v34, s6 dst_sel:DWORD dst_unused:UNUSED_PAD src0_sel:WORD_1 src1_sel:DWORD
	v_mul_u32_u24_sdwa v34, v35, s6 dst_sel:DWORD dst_unused:UNUSED_PAD src0_sel:WORD_0 src1_sel:DWORD
	v_mul_u32_u24_sdwa v35, v35, s6 dst_sel:DWORD dst_unused:UNUSED_PAD src0_sel:WORD_1 src1_sel:DWORD
	s_waitcnt lgkmcnt(0)
	v_pk_fma_f16 v38, v10, v32, v38
	v_pk_fma_f16 v2, v10, v33, v2
	;; [unrolled: 1-line block ×7, first 2 shown]
	v_mul_u32_u24_sdwa v30, v36, s6 dst_sel:DWORD dst_unused:UNUSED_PAD src0_sel:WORD_0 src1_sel:DWORD
	v_mul_u32_u24_sdwa v31, v36, s6 dst_sel:DWORD dst_unused:UNUSED_PAD src0_sel:WORD_1 src1_sel:DWORD
	v_pk_fma_f16 v38, v12, v30, v38
	v_pk_fma_f16 v2, v12, v31, v2
	;; [unrolled: 1-line block ×4, first 2 shown]
	ds_read_b128 v[30:33], v26 offset:17760
	v_pk_fma_f16 v10, v10, v35, v40
	v_mul_u32_u24_sdwa v35, v37, s6 dst_sel:DWORD dst_unused:UNUSED_PAD src0_sel:WORD_0 src1_sel:DWORD
	v_mul_u32_u24_sdwa v36, v37, s6 dst_sel:DWORD dst_unused:UNUSED_PAD src0_sel:WORD_1 src1_sel:DWORD
	v_pk_fma_f16 v3, v12, v35, v3
	v_pk_fma_f16 v39, v12, v36, v10
	;; [unrolled: 1-line block ×4, first 2 shown]
	ds_read2_b64 v[10:13], v27 offset0:128 offset1:160
	ds_read_b128 v[34:37], v26 offset:17776
	s_waitcnt lgkmcnt(2)
	v_mul_u32_u24_sdwa v42, v30, s6 dst_sel:DWORD dst_unused:UNUSED_PAD src0_sel:WORD_0 src1_sel:DWORD
	v_mul_u32_u24_sdwa v30, v30, s6 dst_sel:DWORD dst_unused:UNUSED_PAD src0_sel:WORD_1 src1_sel:DWORD
	v_mul_u32_u24_sdwa v43, v31, s6 dst_sel:DWORD dst_unused:UNUSED_PAD src0_sel:WORD_0 src1_sel:DWORD
	v_mul_u32_u24_sdwa v31, v31, s6 dst_sel:DWORD dst_unused:UNUSED_PAD src0_sel:WORD_1 src1_sel:DWORD
	s_waitcnt lgkmcnt(1)
	v_pk_fma_f16 v38, v10, v42, v38
	v_pk_fma_f16 v2, v10, v30, v2
	;; [unrolled: 1-line block ×8, first 2 shown]
	v_mul_u32_u24_sdwa v31, v32, s6 dst_sel:DWORD dst_unused:UNUSED_PAD src0_sel:WORD_0 src1_sel:DWORD
	v_mul_u32_u24_sdwa v32, v32, s6 dst_sel:DWORD dst_unused:UNUSED_PAD src0_sel:WORD_1 src1_sel:DWORD
	v_mul_u32_u24_sdwa v39, v33, s6 dst_sel:DWORD dst_unused:UNUSED_PAD src0_sel:WORD_0 src1_sel:DWORD
	v_mul_u32_u24_sdwa v33, v33, s6 dst_sel:DWORD dst_unused:UNUSED_PAD src0_sel:WORD_1 src1_sel:DWORD
	v_pk_fma_f16 v38, v12, v31, v38
	v_pk_fma_f16 v2, v12, v32, v2
	;; [unrolled: 1-line block ×8, first 2 shown]
	ds_read2_b64 v[10:13], v27 offset0:192 offset1:224
	s_waitcnt lgkmcnt(1)
	v_mul_u32_u24_sdwa v27, v34, s6 dst_sel:DWORD dst_unused:UNUSED_PAD src0_sel:WORD_0 src1_sel:DWORD
	v_mul_u32_u24_sdwa v32, v34, s6 dst_sel:DWORD dst_unused:UNUSED_PAD src0_sel:WORD_1 src1_sel:DWORD
	v_mul_u32_u24_sdwa v33, v35, s6 dst_sel:DWORD dst_unused:UNUSED_PAD src0_sel:WORD_0 src1_sel:DWORD
	v_mul_u32_u24_sdwa v34, v35, s6 dst_sel:DWORD dst_unused:UNUSED_PAD src0_sel:WORD_1 src1_sel:DWORD
	s_waitcnt lgkmcnt(0)
	v_pk_fma_f16 v35, v10, v27, v38
	v_pk_fma_f16 v2, v10, v32, v2
	;; [unrolled: 1-line block ×6, first 2 shown]
	v_mul_u32_u24_sdwa v30, v36, s6 dst_sel:DWORD dst_unused:UNUSED_PAD src0_sel:WORD_0 src1_sel:DWORD
	v_mul_u32_u24_sdwa v31, v36, s6 dst_sel:DWORD dst_unused:UNUSED_PAD src0_sel:WORD_1 src1_sel:DWORD
	v_pk_fma_f16 v3, v10, v33, v3
	v_pk_fma_f16 v38, v12, v30, v35
	;; [unrolled: 1-line block ×5, first 2 shown]
	ds_read_b128 v[30:33], v26 offset:17792
	v_pk_fma_f16 v10, v10, v34, v40
	v_mul_u32_u24_sdwa v34, v37, s6 dst_sel:DWORD dst_unused:UNUSED_PAD src0_sel:WORD_0 src1_sel:DWORD
	v_mul_u32_u24_sdwa v36, v37, s6 dst_sel:DWORD dst_unused:UNUSED_PAD src0_sel:WORD_1 src1_sel:DWORD
	v_pk_fma_f16 v3, v12, v34, v3
	v_pk_fma_f16 v39, v12, v36, v10
	;; [unrolled: 1-line block ×4, first 2 shown]
	ds_read2_b64 v[10:13], v29 offset1:32
	ds_read_b128 v[34:37], v26 offset:17808
	s_waitcnt lgkmcnt(2)
	v_mul_u32_u24_sdwa v41, v30, s6 dst_sel:DWORD dst_unused:UNUSED_PAD src0_sel:WORD_0 src1_sel:DWORD
	v_mul_u32_u24_sdwa v30, v30, s6 dst_sel:DWORD dst_unused:UNUSED_PAD src0_sel:WORD_1 src1_sel:DWORD
	v_mul_u32_u24_sdwa v42, v31, s6 dst_sel:DWORD dst_unused:UNUSED_PAD src0_sel:WORD_0 src1_sel:DWORD
	v_mul_u32_u24_sdwa v31, v31, s6 dst_sel:DWORD dst_unused:UNUSED_PAD src0_sel:WORD_1 src1_sel:DWORD
	s_waitcnt lgkmcnt(1)
	v_pk_fma_f16 v38, v10, v41, v38
	v_pk_fma_f16 v2, v10, v30, v2
	;; [unrolled: 1-line block ×8, first 2 shown]
	v_mul_u32_u24_sdwa v30, v32, s6 dst_sel:DWORD dst_unused:UNUSED_PAD src0_sel:WORD_0 src1_sel:DWORD
	v_mul_u32_u24_sdwa v31, v32, s6 dst_sel:DWORD dst_unused:UNUSED_PAD src0_sel:WORD_1 src1_sel:DWORD
	v_mul_u32_u24_sdwa v32, v33, s6 dst_sel:DWORD dst_unused:UNUSED_PAD src0_sel:WORD_0 src1_sel:DWORD
	v_mul_u32_u24_sdwa v33, v33, s6 dst_sel:DWORD dst_unused:UNUSED_PAD src0_sel:WORD_1 src1_sel:DWORD
	v_pk_fma_f16 v38, v12, v30, v38
	v_pk_fma_f16 v2, v12, v31, v2
	;; [unrolled: 1-line block ×8, first 2 shown]
	ds_read2_b64 v[10:13], v29 offset0:64 offset1:96
	s_waitcnt lgkmcnt(1)
	v_mul_u32_u24_sdwa v31, v34, s6 dst_sel:DWORD dst_unused:UNUSED_PAD src0_sel:WORD_0 src1_sel:DWORD
	v_mul_u32_u24_sdwa v32, v34, s6 dst_sel:DWORD dst_unused:UNUSED_PAD src0_sel:WORD_1 src1_sel:DWORD
	v_mul_u32_u24_sdwa v33, v35, s6 dst_sel:DWORD dst_unused:UNUSED_PAD src0_sel:WORD_0 src1_sel:DWORD
	v_mul_u32_u24_sdwa v34, v35, s6 dst_sel:DWORD dst_unused:UNUSED_PAD src0_sel:WORD_1 src1_sel:DWORD
	s_waitcnt lgkmcnt(0)
	v_pk_fma_f16 v35, v10, v31, v38
	v_pk_fma_f16 v2, v10, v32, v2
	;; [unrolled: 1-line block ×6, first 2 shown]
	v_mul_u32_u24_sdwa v30, v36, s6 dst_sel:DWORD dst_unused:UNUSED_PAD src0_sel:WORD_0 src1_sel:DWORD
	v_mul_u32_u24_sdwa v31, v36, s6 dst_sel:DWORD dst_unused:UNUSED_PAD src0_sel:WORD_1 src1_sel:DWORD
	v_pk_fma_f16 v3, v10, v33, v3
	v_pk_fma_f16 v38, v12, v30, v35
	;; [unrolled: 1-line block ×5, first 2 shown]
	ds_read_b128 v[30:33], v26 offset:17824
	v_pk_fma_f16 v10, v10, v34, v39
	v_mul_u32_u24_sdwa v34, v37, s6 dst_sel:DWORD dst_unused:UNUSED_PAD src0_sel:WORD_0 src1_sel:DWORD
	v_mul_u32_u24_sdwa v36, v37, s6 dst_sel:DWORD dst_unused:UNUSED_PAD src0_sel:WORD_1 src1_sel:DWORD
	v_pk_fma_f16 v3, v12, v34, v3
	v_pk_fma_f16 v39, v12, v36, v10
	;; [unrolled: 1-line block ×4, first 2 shown]
	ds_read2_b64 v[10:13], v29 offset0:128 offset1:160
	ds_read_b128 v[34:37], v26 offset:17840
	s_waitcnt lgkmcnt(2)
	v_mul_u32_u24_sdwa v41, v30, s6 dst_sel:DWORD dst_unused:UNUSED_PAD src0_sel:WORD_0 src1_sel:DWORD
	v_mul_u32_u24_sdwa v30, v30, s6 dst_sel:DWORD dst_unused:UNUSED_PAD src0_sel:WORD_1 src1_sel:DWORD
	v_mul_u32_u24_sdwa v42, v31, s6 dst_sel:DWORD dst_unused:UNUSED_PAD src0_sel:WORD_0 src1_sel:DWORD
	v_mul_u32_u24_sdwa v31, v31, s6 dst_sel:DWORD dst_unused:UNUSED_PAD src0_sel:WORD_1 src1_sel:DWORD
	s_waitcnt lgkmcnt(1)
	v_pk_fma_f16 v38, v10, v41, v38
	v_pk_fma_f16 v2, v10, v30, v2
	;; [unrolled: 1-line block ×8, first 2 shown]
	v_mul_u32_u24_sdwa v30, v32, s6 dst_sel:DWORD dst_unused:UNUSED_PAD src0_sel:WORD_0 src1_sel:DWORD
	v_mul_u32_u24_sdwa v31, v32, s6 dst_sel:DWORD dst_unused:UNUSED_PAD src0_sel:WORD_1 src1_sel:DWORD
	v_mul_u32_u24_sdwa v32, v33, s6 dst_sel:DWORD dst_unused:UNUSED_PAD src0_sel:WORD_0 src1_sel:DWORD
	v_mul_u32_u24_sdwa v33, v33, s6 dst_sel:DWORD dst_unused:UNUSED_PAD src0_sel:WORD_1 src1_sel:DWORD
	v_pk_fma_f16 v38, v12, v30, v38
	v_pk_fma_f16 v2, v12, v31, v2
	;; [unrolled: 1-line block ×8, first 2 shown]
	ds_read2_b64 v[10:13], v29 offset0:192 offset1:224
	s_waitcnt lgkmcnt(1)
	v_mul_u32_u24_sdwa v29, v34, s6 dst_sel:DWORD dst_unused:UNUSED_PAD src0_sel:WORD_0 src1_sel:DWORD
	v_mul_u32_u24_sdwa v31, v34, s6 dst_sel:DWORD dst_unused:UNUSED_PAD src0_sel:WORD_1 src1_sel:DWORD
	v_mul_u32_u24_sdwa v32, v35, s6 dst_sel:DWORD dst_unused:UNUSED_PAD src0_sel:WORD_0 src1_sel:DWORD
	v_mul_u32_u24_sdwa v33, v35, s6 dst_sel:DWORD dst_unused:UNUSED_PAD src0_sel:WORD_1 src1_sel:DWORD
	s_waitcnt lgkmcnt(0)
	v_pk_fma_f16 v34, v10, v29, v38
	v_pk_fma_f16 v2, v10, v31, v2
	;; [unrolled: 1-line block ×6, first 2 shown]
	v_mul_u32_u24_sdwa v29, v36, s6 dst_sel:DWORD dst_unused:UNUSED_PAD src0_sel:WORD_0 src1_sel:DWORD
	v_mul_u32_u24_sdwa v30, v36, s6 dst_sel:DWORD dst_unused:UNUSED_PAD src0_sel:WORD_1 src1_sel:DWORD
	v_pk_fma_f16 v3, v10, v32, v3
	v_pk_fma_f16 v10, v10, v33, v39
	v_mul_u32_u24_sdwa v33, v37, s6 dst_sel:DWORD dst_unused:UNUSED_PAD src0_sel:WORD_0 src1_sel:DWORD
	v_mul_u32_u24_sdwa v35, v37, s6 dst_sel:DWORD dst_unused:UNUSED_PAD src0_sel:WORD_1 src1_sel:DWORD
	v_pk_fma_f16 v37, v12, v29, v34
	v_pk_fma_f16 v2, v12, v30, v2
	;; [unrolled: 1-line block ×4, first 2 shown]
	ds_read_b128 v[29:32], v26 offset:17856
	v_pk_fma_f16 v3, v12, v33, v3
	v_pk_fma_f16 v38, v12, v35, v10
	v_pk_fma_f16 v27, v13, v33, v27
	v_pk_fma_f16 v39, v13, v35, v11
	ds_read2_b64 v[10:13], v1 offset1:32
	ds_read_b128 v[33:36], v26 offset:17872
	s_waitcnt lgkmcnt(2)
	v_mul_u32_u24_sdwa v40, v29, s6 dst_sel:DWORD dst_unused:UNUSED_PAD src0_sel:WORD_0 src1_sel:DWORD
	v_mul_u32_u24_sdwa v29, v29, s6 dst_sel:DWORD dst_unused:UNUSED_PAD src0_sel:WORD_1 src1_sel:DWORD
	v_mul_u32_u24_sdwa v41, v30, s6 dst_sel:DWORD dst_unused:UNUSED_PAD src0_sel:WORD_0 src1_sel:DWORD
	v_mul_u32_u24_sdwa v30, v30, s6 dst_sel:DWORD dst_unused:UNUSED_PAD src0_sel:WORD_1 src1_sel:DWORD
	s_waitcnt lgkmcnt(1)
	v_pk_fma_f16 v37, v10, v40, v37
	v_pk_fma_f16 v2, v10, v29, v2
	v_pk_fma_f16 v3, v10, v41, v3
	v_pk_fma_f16 v10, v10, v30, v38
	v_pk_fma_f16 v4, v11, v40, v4
	v_pk_fma_f16 v23, v11, v29, v23
	v_pk_fma_f16 v27, v11, v41, v27
	v_pk_fma_f16 v11, v11, v30, v39
	v_mul_u32_u24_sdwa v29, v31, s6 dst_sel:DWORD dst_unused:UNUSED_PAD src0_sel:WORD_0 src1_sel:DWORD
	v_mul_u32_u24_sdwa v30, v31, s6 dst_sel:DWORD dst_unused:UNUSED_PAD src0_sel:WORD_1 src1_sel:DWORD
	v_mul_u32_u24_sdwa v31, v32, s6 dst_sel:DWORD dst_unused:UNUSED_PAD src0_sel:WORD_0 src1_sel:DWORD
	v_mul_u32_u24_sdwa v32, v32, s6 dst_sel:DWORD dst_unused:UNUSED_PAD src0_sel:WORD_1 src1_sel:DWORD
	v_pk_fma_f16 v37, v12, v29, v37
	v_pk_fma_f16 v2, v12, v30, v2
	;; [unrolled: 1-line block ×8, first 2 shown]
	ds_read2_b64 v[10:13], v1 offset0:64 offset1:96
	s_waitcnt lgkmcnt(1)
	v_mul_u32_u24_sdwa v30, v33, s6 dst_sel:DWORD dst_unused:UNUSED_PAD src0_sel:WORD_0 src1_sel:DWORD
	v_mul_u32_u24_sdwa v31, v33, s6 dst_sel:DWORD dst_unused:UNUSED_PAD src0_sel:WORD_1 src1_sel:DWORD
	v_mul_u32_u24_sdwa v32, v34, s6 dst_sel:DWORD dst_unused:UNUSED_PAD src0_sel:WORD_0 src1_sel:DWORD
	v_mul_u32_u24_sdwa v33, v34, s6 dst_sel:DWORD dst_unused:UNUSED_PAD src0_sel:WORD_1 src1_sel:DWORD
	s_waitcnt lgkmcnt(0)
	v_pk_fma_f16 v34, v10, v30, v37
	v_pk_fma_f16 v2, v10, v31, v2
	;; [unrolled: 1-line block ×6, first 2 shown]
	v_mul_u32_u24_sdwa v29, v35, s6 dst_sel:DWORD dst_unused:UNUSED_PAD src0_sel:WORD_0 src1_sel:DWORD
	v_mul_u32_u24_sdwa v30, v35, s6 dst_sel:DWORD dst_unused:UNUSED_PAD src0_sel:WORD_1 src1_sel:DWORD
	v_pk_fma_f16 v3, v10, v32, v3
	v_pk_fma_f16 v37, v12, v29, v34
	;; [unrolled: 1-line block ×5, first 2 shown]
	ds_read_b128 v[29:32], v26 offset:17888
	v_pk_fma_f16 v10, v10, v33, v38
	v_mul_u32_u24_sdwa v33, v36, s6 dst_sel:DWORD dst_unused:UNUSED_PAD src0_sel:WORD_0 src1_sel:DWORD
	v_mul_u32_u24_sdwa v35, v36, s6 dst_sel:DWORD dst_unused:UNUSED_PAD src0_sel:WORD_1 src1_sel:DWORD
	v_pk_fma_f16 v3, v12, v33, v3
	v_pk_fma_f16 v38, v12, v35, v10
	;; [unrolled: 1-line block ×4, first 2 shown]
	ds_read2_b64 v[10:13], v1 offset0:128 offset1:160
	ds_read_b128 v[33:36], v26 offset:17904
	s_waitcnt lgkmcnt(2)
	v_mul_u32_u24_sdwa v26, v29, s6 dst_sel:DWORD dst_unused:UNUSED_PAD src0_sel:WORD_0 src1_sel:DWORD
	v_mul_u32_u24_sdwa v29, v29, s6 dst_sel:DWORD dst_unused:UNUSED_PAD src0_sel:WORD_1 src1_sel:DWORD
	v_mul_u32_u24_sdwa v40, v30, s6 dst_sel:DWORD dst_unused:UNUSED_PAD src0_sel:WORD_0 src1_sel:DWORD
	v_mul_u32_u24_sdwa v30, v30, s6 dst_sel:DWORD dst_unused:UNUSED_PAD src0_sel:WORD_1 src1_sel:DWORD
	s_waitcnt lgkmcnt(1)
	v_pk_fma_f16 v37, v10, v26, v37
	v_pk_fma_f16 v2, v10, v29, v2
	;; [unrolled: 1-line block ×8, first 2 shown]
	v_mul_u32_u24_sdwa v27, v31, s6 dst_sel:DWORD dst_unused:UNUSED_PAD src0_sel:WORD_0 src1_sel:DWORD
	v_mul_u32_u24_sdwa v29, v31, s6 dst_sel:DWORD dst_unused:UNUSED_PAD src0_sel:WORD_1 src1_sel:DWORD
	v_mul_u32_u24_sdwa v30, v32, s6 dst_sel:DWORD dst_unused:UNUSED_PAD src0_sel:WORD_0 src1_sel:DWORD
	v_mul_u32_u24_sdwa v31, v32, s6 dst_sel:DWORD dst_unused:UNUSED_PAD src0_sel:WORD_1 src1_sel:DWORD
	v_pk_fma_f16 v32, v12, v27, v37
	v_pk_fma_f16 v37, v12, v29, v2
	;; [unrolled: 1-line block ×5, first 2 shown]
	ds_read2_b64 v[1:4], v1 offset0:192 offset1:224
	v_pk_fma_f16 v23, v13, v29, v23
	v_pk_fma_f16 v26, v13, v30, v26
	;; [unrolled: 1-line block ×3, first 2 shown]
	s_waitcnt lgkmcnt(1)
	v_mul_u32_u24_sdwa v13, v33, s6 dst_sel:DWORD dst_unused:UNUSED_PAD src0_sel:WORD_0 src1_sel:DWORD
	v_mul_u32_u24_sdwa v27, v33, s6 dst_sel:DWORD dst_unused:UNUSED_PAD src0_sel:WORD_1 src1_sel:DWORD
	v_mul_u32_u24_sdwa v29, v34, s6 dst_sel:DWORD dst_unused:UNUSED_PAD src0_sel:WORD_0 src1_sel:DWORD
	v_mul_u32_u24_sdwa v30, v34, s6 dst_sel:DWORD dst_unused:UNUSED_PAD src0_sel:WORD_1 src1_sel:DWORD
	s_waitcnt lgkmcnt(0)
	v_pk_fma_f16 v31, v1, v13, v32
	v_pk_fma_f16 v32, v1, v27, v37
	;; [unrolled: 1-line block ×8, first 2 shown]
	v_mul_u32_u24_sdwa v11, v35, s6 dst_sel:DWORD dst_unused:UNUSED_PAD src0_sel:WORD_0 src1_sel:DWORD
	v_mul_u32_u24_sdwa v23, v35, s6 dst_sel:DWORD dst_unused:UNUSED_PAD src0_sel:WORD_1 src1_sel:DWORD
	v_mul_u32_u24_sdwa v26, v36, s6 dst_sel:DWORD dst_unused:UNUSED_PAD src0_sel:WORD_0 src1_sel:DWORD
	v_mul_u32_u24_sdwa v27, v36, s6 dst_sel:DWORD dst_unused:UNUSED_PAD src0_sel:WORD_1 src1_sel:DWORD
	v_pk_fma_f16 v33, v3, v11, v31
	v_pk_fma_f16 v31, v3, v23, v32
	;; [unrolled: 1-line block ×8, first 2 shown]
	v_mov_b32_e32 v44, v5
	v_mov_b32_e32 v2, v6
	v_mov_b32_e32 v43, v28
	v_mov_b32_e32 v41, v25
	v_mov_b32_e32 v42, v24
	v_mov_b32_e32 v3, v7
	v_mov_b32_e32 v4, v8
	v_mov_b32_e32 v5, v9
	s_barrier
.LBB87_139:
	v_cmp_lt_i32_e32 vcc, v51, v50
	v_cndmask_b32_e32 v1, v49, v51, vcc
	v_lshlrev_b32_e32 v1, 2, v1
	ds_bpermute_b32 v6, v1, v42
	ds_bpermute_b32 v12, v1, v41
	ds_bpermute_b32 v13, v1, v44
	ds_bpermute_b32 v1, v1, v43
	v_cmp_lt_i32_e32 vcc, v52, v50
	v_cndmask_b32_e32 v7, v49, v52, vcc
	v_lshlrev_b32_e32 v7, 2, v7
	s_waitcnt lgkmcnt(3)
	v_add_f32_e32 v6, v42, v6
	s_waitcnt lgkmcnt(2)
	v_add_f32_e32 v12, v41, v12
	s_waitcnt lgkmcnt(1)
	v_add_f32_e32 v13, v44, v13
	s_waitcnt lgkmcnt(0)
	v_add_f32_e32 v1, v43, v1
	ds_bpermute_b32 v8, v7, v6
	ds_bpermute_b32 v23, v7, v12
	ds_bpermute_b32 v24, v7, v13
	ds_bpermute_b32 v7, v7, v1
	v_cmp_lt_i32_e32 vcc, v53, v50
	v_cndmask_b32_e32 v9, v49, v53, vcc
	v_lshlrev_b32_e32 v9, 2, v9
	s_waitcnt lgkmcnt(3)
	v_add_f32_e32 v6, v6, v8
	s_waitcnt lgkmcnt(2)
	v_add_f32_e32 v12, v12, v23
	s_waitcnt lgkmcnt(1)
	v_add_f32_e32 v13, v13, v24
	s_waitcnt lgkmcnt(0)
	v_add_f32_e32 v1, v1, v7
	;; [unrolled: 15-line block ×4, first 2 shown]
	ds_bpermute_b32 v8, v11, v6
	ds_bpermute_b32 v10, v11, v9
	;; [unrolled: 1-line block ×4, first 2 shown]
	s_cmp_eq_u64 s[20:21], 0
	s_cselect_b64 s[6:7], -1, 0
	s_cmp_lg_u32 s9, 0
	s_cselect_b64 s[10:11], -1, 0
	s_or_b64 s[6:7], s[10:11], s[6:7]
	s_waitcnt lgkmcnt(3)
	v_add_f32_e32 v6, v6, v8
	s_waitcnt lgkmcnt(2)
	v_add_f32_e32 v7, v9, v10
	;; [unrolled: 2-line block ×4, first 2 shown]
	s_and_b64 vcc, exec, s[6:7]
	s_cbranch_vccnz .LBB87_141
; %bb.140:
	s_lshl_b64 s[6:7], s[34:35], 2
	s_add_u32 s6, s20, s6
	s_addc_u32 s7, s21, s7
	v_mov_b32_e32 v1, 0
	global_load_dword v1, v1, s[6:7]
	v_max_f32_e32 v10, v2, v2
	v_max_f32_e32 v11, v3, v3
	s_mov_b32 s8, 0x3fb8aa3b
	v_max_f32_e32 v12, v4, v4
	s_mov_b32 s7, 0xc2ce8ed0
	s_mov_b32 s6, 0x42b17218
	v_mov_b32_e32 v13, 0x7f800000
	s_waitcnt vmcnt(0)
	v_max_f32_e32 v26, v1, v1
	v_max_f32_e32 v23, v10, v26
	v_sub_f32_e32 v2, v2, v23
	v_max_f32_e32 v24, v11, v26
	v_sub_f32_e32 v10, v1, v23
	v_mul_f32_e32 v28, 0x3fb8aa3b, v2
	v_sub_f32_e32 v3, v3, v24
	v_mul_f32_e32 v34, 0x3fb8aa3b, v10
	v_fma_f32 v41, v2, s8, -v28
	v_rndne_f32_e32 v42, v28
	v_max_f32_e32 v25, v12, v26
	v_sub_f32_e32 v11, v1, v24
	v_mul_f32_e32 v36, 0x3fb8aa3b, v3
	v_fma_f32 v43, v10, s8, -v34
	v_rndne_f32_e32 v44, v34
	v_fmac_f32_e32 v41, 0x32a5705f, v2
	v_sub_f32_e32 v28, v28, v42
	v_sub_f32_e32 v4, v4, v25
	v_mul_f32_e32 v38, 0x3fb8aa3b, v11
	v_fma_f32 v45, v3, s8, -v36
	v_rndne_f32_e32 v46, v36
	v_fmac_f32_e32 v43, 0x32a5705f, v10
	v_sub_f32_e32 v34, v34, v44
	v_add_f32_e32 v28, v28, v41
	v_mul_f32_e32 v39, 0x3fb8aa3b, v4
	v_fma_f32 v47, v11, s8, -v38
	v_rndne_f32_e32 v48, v38
	v_cvt_i32_f32_e32 v42, v42
	v_fmac_f32_e32 v45, 0x32a5705f, v3
	v_sub_f32_e32 v36, v36, v46
	v_add_f32_e32 v34, v34, v43
	v_exp_f32_e32 v28, v28
	v_fma_f32 v49, v4, s8, -v39
	v_rndne_f32_e32 v50, v39
	v_cvt_i32_f32_e32 v44, v44
	v_fmac_f32_e32 v47, 0x32a5705f, v11
	v_sub_f32_e32 v38, v38, v48
	v_add_f32_e32 v36, v36, v45
	v_exp_f32_e32 v34, v34
	v_cvt_i32_f32_e32 v46, v46
	v_fmac_f32_e32 v49, 0x32a5705f, v4
	v_sub_f32_e32 v39, v39, v50
	v_add_f32_e32 v38, v38, v47
	v_exp_f32_e32 v36, v36
	v_cvt_i32_f32_e32 v48, v48
	v_add_f32_e32 v39, v39, v49
	v_exp_f32_e32 v38, v38
	v_cvt_i32_f32_e32 v50, v50
	v_exp_f32_e32 v39, v39
	v_ldexp_f32 v28, v28, v42
	v_cmp_ngt_f32_e32 vcc, s7, v2
	v_ldexp_f32 v34, v34, v44
	v_cndmask_b32_e32 v28, 0, v28, vcc
	v_cmp_ngt_f32_e32 vcc, s7, v10
	v_ldexp_f32 v36, v36, v46
	v_cndmask_b32_e32 v34, 0, v34, vcc
	;; [unrolled: 3-line block ×4, first 2 shown]
	v_cmp_ngt_f32_e32 vcc, s7, v4
	v_sub_f32_e32 v12, v1, v25
	v_cndmask_b32_e32 v39, 0, v39, vcc
	v_cmp_nlt_f32_e32 vcc, s6, v2
	v_mul_f32_e32 v40, 0x3fb8aa3b, v12
	v_cndmask_b32_e32 v2, v13, v28, vcc
	v_cmp_nlt_f32_e32 vcc, s6, v10
	v_fma_f32 v51, v12, s8, -v40
	v_rndne_f32_e32 v52, v40
	v_cndmask_b32_e32 v10, v13, v34, vcc
	v_cmp_nlt_f32_e32 vcc, s6, v3
	v_fmac_f32_e32 v51, 0x32a5705f, v12
	v_sub_f32_e32 v40, v40, v52
	v_cndmask_b32_e32 v3, v13, v36, vcc
	v_add_f32_e32 v40, v40, v51
	v_cvt_f16_f32_e32 v28, v2
	v_cvt_f16_f32_e32 v34, v3
	v_cvt_i32_f32_e32 v52, v52
	v_exp_f32_e32 v40, v40
	v_cmp_nlt_f32_e32 vcc, s6, v11
	v_cndmask_b32_e32 v11, v13, v38, vcc
	v_fmac_f32_e32 v10, v6, v2
	v_fmac_f32_e32 v11, v7, v3
	v_mul_u32_u24_e32 v2, 0x10001, v28
	v_mul_u32_u24_e32 v3, 0x10001, v34
	v_cmp_nlt_f32_e32 vcc, s6, v4
	v_pk_mul_f16 v33, v33, v2
	v_pk_mul_f16 v37, v37, v2
	;; [unrolled: 1-line block ×4, first 2 shown]
	v_cndmask_b32_e32 v2, v13, v39, vcc
	v_ldexp_f32 v3, v40, v52
	v_cmp_ngt_f32_e32 vcc, s7, v12
	v_cndmask_b32_e32 v3, 0, v3, vcc
	v_cmp_nlt_f32_e32 vcc, s6, v12
	v_cndmask_b32_e32 v12, v13, v3, vcc
	v_max_f32_e32 v3, v5, v5
	v_max_f32_e32 v26, v3, v26
	v_sub_f32_e32 v3, v5, v26
	v_mul_f32_e32 v4, 0x3fb8aa3b, v3
	v_fma_f32 v5, v3, s8, -v4
	v_rndne_f32_e32 v6, v4
	v_fmac_f32_e32 v5, 0x32a5705f, v3
	v_sub_f32_e32 v4, v4, v6
	v_fmac_f32_e32 v12, v8, v2
	v_cvt_f16_f32_e32 v2, v2
	v_add_f32_e32 v4, v4, v5
	v_exp_f32_e32 v4, v4
	v_cvt_i32_f32_e32 v5, v6
	v_mul_u32_u24_e32 v2, 0x10001, v2
	v_sub_f32_e32 v1, v1, v26
	v_pk_mul_f16 v30, v30, v2
	v_pk_mul_f16 v32, v32, v2
	v_ldexp_f32 v2, v4, v5
	v_mul_f32_e32 v4, 0x3fb8aa3b, v1
	v_fma_f32 v5, v1, s8, -v4
	v_rndne_f32_e32 v6, v4
	v_fmac_f32_e32 v5, 0x32a5705f, v1
	v_sub_f32_e32 v4, v4, v6
	v_add_f32_e32 v4, v4, v5
	v_exp_f32_e32 v4, v4
	v_cvt_i32_f32_e32 v5, v6
	v_cmp_ngt_f32_e32 vcc, s7, v3
	v_cndmask_b32_e32 v2, 0, v2, vcc
	v_cmp_nlt_f32_e32 vcc, s6, v3
	v_cndmask_b32_e32 v2, v13, v2, vcc
	v_ldexp_f32 v3, v4, v5
	v_cvt_f16_f32_e32 v4, v2
	v_cmp_ngt_f32_e32 vcc, s7, v1
	v_cndmask_b32_e32 v3, 0, v3, vcc
	v_cmp_nlt_f32_e32 vcc, s6, v1
	v_cndmask_b32_e32 v13, v13, v3, vcc
	v_fmac_f32_e32 v13, v9, v2
	v_mul_u32_u24_e32 v1, 0x10001, v4
	v_mov_b32_e32 v6, v10
	v_mov_b32_e32 v2, v23
	v_pk_mul_f16 v29, v29, v1
	v_pk_mul_f16 v27, v27, v1
	v_mov_b32_e32 v7, v11
	v_mov_b32_e32 v8, v12
	;; [unrolled: 1-line block ×6, first 2 shown]
	v_cmp_gt_i32_e32 vcc, s30, v22
	s_and_saveexec_b64 s[6:7], vcc
	s_cbranch_execnz .LBB87_142
	s_branch .LBB87_161
.LBB87_141:
	v_mov_b32_e32 v10, v6
	v_mov_b32_e32 v11, v7
	;; [unrolled: 1-line block ×4, first 2 shown]
	v_cmp_gt_i32_e32 vcc, s30, v22
	s_and_saveexec_b64 s[6:7], vcc
	s_cbranch_execz .LBB87_161
.LBB87_142:
	s_load_dword s8, s[4:5], 0xd4
	v_mov_b32_e32 v1, 1.0
	s_waitcnt lgkmcnt(0)
	s_cmp_lg_u32 s8, 1
	s_cselect_b64 s[6:7], -1, 0
	s_cmp_eq_u32 s8, 1
	s_cselect_b64 s[10:11], -1, 0
	s_and_b64 vcc, exec, s[6:7]
	s_cbranch_vccnz .LBB87_144
; %bb.143:
	v_div_scale_f32 v1, s[4:5], v10, v10, 1.0
	v_div_scale_f32 v22, vcc, 1.0, v10, 1.0
	v_rcp_f32_e32 v23, v1
	v_fma_f32 v24, -v1, v23, 1.0
	v_fmac_f32_e32 v23, v24, v23
	v_mul_f32_e32 v24, v22, v23
	v_fma_f32 v25, -v1, v24, v22
	v_fmac_f32_e32 v24, v25, v23
	v_fma_f32 v1, -v1, v24, v22
	v_div_fmas_f32 v1, v1, v23, v24
	v_div_fixup_f32 v1, v1, v10, 1.0
.LBB87_144:
	s_mul_i32 s12, s33, s30
	s_add_i32 s12, s12, s18
	v_add_u32_e32 v10, s12, v20
	v_mul_lo_u32 v10, v10, s31
	v_cmp_eq_u32_e32 vcc, 0, v0
	v_cvt_f32_f16_e32 v20, v33
	v_cvt_f32_f16_e32 v24, v37
	v_add_u32_e32 v0, s34, v10
	v_mul_lo_u32 v0, s8, v0
	v_cvt_f32_f16_sdwa v10, v33 dst_sel:DWORD dst_unused:UNUSED_PAD src0_sel:WORD_1
	v_cvt_f32_f16_sdwa v25, v37 dst_sel:DWORD dst_unused:UNUSED_PAD src0_sel:WORD_1
	v_mov_b32_e32 v34, 0
	v_add_u32_e32 v0, s9, v0
	v_lshl_add_u32 v33, v0, 7, v18
	v_lshlrev_b64 v[33:34], 2, v[33:34]
	v_mul_f32_e32 v22, v1, v20
	v_mul_f32_e32 v23, v1, v10
	;; [unrolled: 1-line block ×4, first 2 shown]
	v_mov_b32_e32 v1, s25
	v_add_co_u32_e64 v33, s[4:5], s24, v33
	v_addc_co_u32_e64 v34, s[4:5], v1, v34, s[4:5]
	s_and_b64 s[6:7], vcc, s[6:7]
	global_store_dwordx4 v[33:34], v[22:25], off
	s_and_saveexec_b64 s[4:5], s[6:7]
	s_cbranch_execz .LBB87_146
; %bb.145:
	v_ashrrev_i32_e32 v1, 31, v0
	v_lshlrev_b64 v[0:1], 3, v[0:1]
	v_mov_b32_e32 v10, s27
	v_add_co_u32_e32 v0, vcc, s26, v0
	v_addc_co_u32_e32 v1, vcc, v10, v1, vcc
	v_mov_b32_e32 v22, v2
	v_mov_b32_e32 v23, v6
	global_store_dwordx2 v[0:1], v[22:23], off
.LBB87_146:
	s_or_b64 exec, exec, s[4:5]
	v_cmp_gt_i32_e32 vcc, s30, v21
	s_and_b64 exec, exec, vcc
	s_cbranch_execz .LBB87_161
; %bb.147:
	v_cndmask_b32_e64 v0, 0, 1, s[10:11]
	v_cmp_ne_u32_e64 s[4:5], 1, v0
	s_andn2_b64 vcc, exec, s[10:11]
	v_mov_b32_e32 v1, 1.0
	s_cbranch_vccnz .LBB87_149
; %bb.148:
	v_div_scale_f32 v0, s[10:11], v11, v11, 1.0
	v_div_scale_f32 v1, vcc, 1.0, v11, 1.0
	v_rcp_f32_e32 v2, v0
	v_fma_f32 v6, -v0, v2, 1.0
	v_fmac_f32_e32 v2, v6, v2
	v_mul_f32_e32 v6, v1, v2
	v_fma_f32 v10, -v0, v6, v1
	v_fmac_f32_e32 v6, v10, v2
	v_fma_f32 v0, -v0, v6, v1
	v_div_fmas_f32 v0, v0, v2, v6
	v_div_fixup_f32 v1, v0, v11, 1.0
.LBB87_149:
	v_add_u32_e32 v0, s12, v19
	v_mul_lo_u32 v0, v0, s31
	v_cvt_f32_f16_e32 v2, v31
	v_cvt_f32_f16_sdwa v6, v31 dst_sel:DWORD dst_unused:UNUSED_PAD src0_sel:WORD_1
	v_cvt_f32_f16_e32 v21, v35
	v_add_u32_e32 v0, s34, v0
	v_mul_lo_u32 v0, s8, v0
	v_cvt_f32_f16_sdwa v22, v35 dst_sel:DWORD dst_unused:UNUSED_PAD src0_sel:WORD_1
	v_mov_b32_e32 v11, 0
	v_mul_f32_e32 v19, v1, v2
	v_add_u32_e32 v0, s9, v0
	v_lshl_add_u32 v10, v0, 7, v18
	v_mul_f32_e32 v20, v1, v6
	v_mul_f32_e32 v21, v1, v21
	;; [unrolled: 1-line block ×3, first 2 shown]
	v_lshlrev_b64 v[1:2], 2, v[10:11]
	v_mov_b32_e32 v6, s25
	v_add_co_u32_e32 v1, vcc, s24, v1
	v_addc_co_u32_e32 v2, vcc, v6, v2, vcc
	global_store_dwordx4 v[1:2], v[19:22], off
	s_and_saveexec_b64 s[10:11], s[6:7]
	s_cbranch_execz .LBB87_151
; %bb.150:
	v_ashrrev_i32_e32 v1, 31, v0
	v_lshlrev_b64 v[0:1], 3, v[0:1]
	v_mov_b32_e32 v2, s27
	v_add_co_u32_e32 v0, vcc, s26, v0
	v_addc_co_u32_e32 v1, vcc, v2, v1, vcc
	v_mov_b32_e32 v6, v3
	global_store_dwordx2 v[0:1], v[6:7], off
.LBB87_151:
	s_or_b64 exec, exec, s[10:11]
	v_cmp_gt_i32_e32 vcc, s30, v17
	s_and_b64 exec, exec, vcc
	s_cbranch_execz .LBB87_161
; %bb.152:
	s_and_b64 vcc, exec, s[4:5]
	v_mov_b32_e32 v1, 1.0
	s_cbranch_vccnz .LBB87_154
; %bb.153:
	v_div_scale_f32 v0, s[10:11], v12, v12, 1.0
	v_div_scale_f32 v1, vcc, 1.0, v12, 1.0
	v_rcp_f32_e32 v2, v0
	v_fma_f32 v3, -v0, v2, 1.0
	v_fmac_f32_e32 v2, v3, v2
	v_mul_f32_e32 v3, v1, v2
	v_fma_f32 v6, -v0, v3, v1
	v_fmac_f32_e32 v3, v6, v2
	v_fma_f32 v0, -v0, v3, v1
	v_div_fmas_f32 v0, v0, v2, v3
	v_div_fixup_f32 v1, v0, v12, 1.0
.LBB87_154:
	v_add_u32_e32 v0, s12, v16
	v_mul_lo_u32 v0, v0, s31
	v_cvt_f32_f16_e32 v2, v30
	v_cvt_f32_f16_sdwa v6, v30 dst_sel:DWORD dst_unused:UNUSED_PAD src0_sel:WORD_1
	v_cvt_f32_f16_e32 v7, v32
	v_add_u32_e32 v0, s34, v0
	v_mul_lo_u32 v0, s8, v0
	v_cvt_f32_f16_sdwa v10, v32 dst_sel:DWORD dst_unused:UNUSED_PAD src0_sel:WORD_1
	v_mov_b32_e32 v3, 0
	v_mul_f32_e32 v19, v1, v2
	v_add_u32_e32 v0, s9, v0
	v_lshl_add_u32 v2, v0, 7, v18
	v_mul_f32_e32 v20, v1, v6
	v_mul_f32_e32 v21, v1, v7
	;; [unrolled: 1-line block ×3, first 2 shown]
	v_lshlrev_b64 v[1:2], 2, v[2:3]
	v_mov_b32_e32 v3, s25
	v_add_co_u32_e32 v1, vcc, s24, v1
	v_addc_co_u32_e32 v2, vcc, v3, v2, vcc
	global_store_dwordx4 v[1:2], v[19:22], off
	s_and_saveexec_b64 s[10:11], s[6:7]
	s_cbranch_execz .LBB87_156
; %bb.155:
	v_ashrrev_i32_e32 v1, 31, v0
	v_lshlrev_b64 v[0:1], 3, v[0:1]
	v_mov_b32_e32 v2, s27
	v_add_co_u32_e32 v0, vcc, s26, v0
	v_addc_co_u32_e32 v1, vcc, v2, v1, vcc
	v_mov_b32_e32 v7, v4
	global_store_dwordx2 v[0:1], v[7:8], off
.LBB87_156:
	s_or_b64 exec, exec, s[10:11]
	v_cmp_gt_i32_e32 vcc, s30, v15
	s_and_b64 exec, exec, vcc
	s_cbranch_execz .LBB87_161
; %bb.157:
	s_and_b64 vcc, exec, s[4:5]
	v_mov_b32_e32 v1, 1.0
	s_cbranch_vccnz .LBB87_159
; %bb.158:
	v_div_scale_f32 v0, s[4:5], v13, v13, 1.0
	v_div_scale_f32 v1, vcc, 1.0, v13, 1.0
	v_rcp_f32_e32 v2, v0
	v_fma_f32 v3, -v0, v2, 1.0
	v_fmac_f32_e32 v2, v3, v2
	v_mul_f32_e32 v3, v1, v2
	v_fma_f32 v4, -v0, v3, v1
	v_fmac_f32_e32 v3, v4, v2
	v_fma_f32 v0, -v0, v3, v1
	v_div_fmas_f32 v0, v0, v2, v3
	v_div_fixup_f32 v1, v0, v13, 1.0
.LBB87_159:
	v_add_u32_e32 v0, s12, v14
	v_mul_lo_u32 v0, v0, s31
	v_cvt_f32_f16_e32 v2, v29
	v_cvt_f32_f16_sdwa v4, v29 dst_sel:DWORD dst_unused:UNUSED_PAD src0_sel:WORD_1
	v_cvt_f32_f16_e32 v6, v27
	v_add_u32_e32 v0, s34, v0
	v_mul_lo_u32 v0, s8, v0
	v_cvt_f32_f16_sdwa v7, v27 dst_sel:DWORD dst_unused:UNUSED_PAD src0_sel:WORD_1
	v_mov_b32_e32 v3, 0
	v_mul_f32_e32 v10, v1, v2
	v_add_u32_e32 v0, s9, v0
	v_lshl_add_u32 v2, v0, 7, v18
	v_mul_f32_e32 v11, v1, v4
	v_mul_f32_e32 v12, v1, v6
	;; [unrolled: 1-line block ×3, first 2 shown]
	v_lshlrev_b64 v[1:2], 2, v[2:3]
	v_mov_b32_e32 v3, s25
	v_add_co_u32_e32 v1, vcc, s24, v1
	v_addc_co_u32_e32 v2, vcc, v3, v2, vcc
	global_store_dwordx4 v[1:2], v[10:13], off
	s_and_b64 exec, exec, s[6:7]
	s_cbranch_execz .LBB87_161
; %bb.160:
	v_ashrrev_i32_e32 v1, 31, v0
	v_lshlrev_b64 v[0:1], 3, v[0:1]
	v_mov_b32_e32 v2, s27
	v_add_co_u32_e32 v0, vcc, s26, v0
	v_addc_co_u32_e32 v1, vcc, v2, v1, vcc
	v_mov_b32_e32 v8, v5
	global_store_dwordx2 v[0:1], v[8:9], off
	s_endpgm
.LBB87_161:
	s_endpgm
	.section	.rodata,"a",@progbits
	.p2align	6, 0x0
	.amdhsa_kernel _ZL15flash_attn_tileILi128ELi128ELi32ELi1ELb1EEvPKcS1_S1_S1_S1_PKiPfP15HIP_vector_typeIfLj2EEffffjfiS5_IjLj3EEiiiiiiiiiiiliiliiiiil
		.amdhsa_group_segment_fixed_size 21504
		.amdhsa_private_segment_fixed_size 32
		.amdhsa_kernarg_size 464
		.amdhsa_user_sgpr_count 8
		.amdhsa_user_sgpr_private_segment_buffer 1
		.amdhsa_user_sgpr_dispatch_ptr 0
		.amdhsa_user_sgpr_queue_ptr 0
		.amdhsa_user_sgpr_kernarg_segment_ptr 1
		.amdhsa_user_sgpr_dispatch_id 0
		.amdhsa_user_sgpr_flat_scratch_init 1
		.amdhsa_user_sgpr_private_segment_size 0
		.amdhsa_uses_dynamic_stack 0
		.amdhsa_system_sgpr_private_segment_wavefront_offset 1
		.amdhsa_system_sgpr_workgroup_id_x 1
		.amdhsa_system_sgpr_workgroup_id_y 1
		.amdhsa_system_sgpr_workgroup_id_z 1
		.amdhsa_system_sgpr_workgroup_info 0
		.amdhsa_system_vgpr_workitem_id 1
		.amdhsa_next_free_vgpr 110
		.amdhsa_next_free_sgpr 96
		.amdhsa_reserve_vcc 1
		.amdhsa_reserve_flat_scratch 1
		.amdhsa_float_round_mode_32 0
		.amdhsa_float_round_mode_16_64 0
		.amdhsa_float_denorm_mode_32 3
		.amdhsa_float_denorm_mode_16_64 3
		.amdhsa_dx10_clamp 1
		.amdhsa_ieee_mode 1
		.amdhsa_fp16_overflow 0
		.amdhsa_exception_fp_ieee_invalid_op 0
		.amdhsa_exception_fp_denorm_src 0
		.amdhsa_exception_fp_ieee_div_zero 0
		.amdhsa_exception_fp_ieee_overflow 0
		.amdhsa_exception_fp_ieee_underflow 0
		.amdhsa_exception_fp_ieee_inexact 0
		.amdhsa_exception_int_div_zero 0
	.end_amdhsa_kernel
	.section	.text._ZL15flash_attn_tileILi128ELi128ELi32ELi1ELb1EEvPKcS1_S1_S1_S1_PKiPfP15HIP_vector_typeIfLj2EEffffjfiS5_IjLj3EEiiiiiiiiiiiliiliiiiil,"axG",@progbits,_ZL15flash_attn_tileILi128ELi128ELi32ELi1ELb1EEvPKcS1_S1_S1_S1_PKiPfP15HIP_vector_typeIfLj2EEffffjfiS5_IjLj3EEiiiiiiiiiiiliiliiiiil,comdat
.Lfunc_end87:
	.size	_ZL15flash_attn_tileILi128ELi128ELi32ELi1ELb1EEvPKcS1_S1_S1_S1_PKiPfP15HIP_vector_typeIfLj2EEffffjfiS5_IjLj3EEiiiiiiiiiiiliiliiiiil, .Lfunc_end87-_ZL15flash_attn_tileILi128ELi128ELi32ELi1ELb1EEvPKcS1_S1_S1_S1_PKiPfP15HIP_vector_typeIfLj2EEffffjfiS5_IjLj3EEiiiiiiiiiiiliiliiiiil
                                        ; -- End function
	.set _ZL15flash_attn_tileILi128ELi128ELi32ELi1ELb1EEvPKcS1_S1_S1_S1_PKiPfP15HIP_vector_typeIfLj2EEffffjfiS5_IjLj3EEiiiiiiiiiiiliiliiiiil.num_vgpr, 110
	.set _ZL15flash_attn_tileILi128ELi128ELi32ELi1ELb1EEvPKcS1_S1_S1_S1_PKiPfP15HIP_vector_typeIfLj2EEffffjfiS5_IjLj3EEiiiiiiiiiiiliiliiiiil.num_agpr, 0
	.set _ZL15flash_attn_tileILi128ELi128ELi32ELi1ELb1EEvPKcS1_S1_S1_S1_PKiPfP15HIP_vector_typeIfLj2EEffffjfiS5_IjLj3EEiiiiiiiiiiiliiliiiiil.numbered_sgpr, 52
	.set _ZL15flash_attn_tileILi128ELi128ELi32ELi1ELb1EEvPKcS1_S1_S1_S1_PKiPfP15HIP_vector_typeIfLj2EEffffjfiS5_IjLj3EEiiiiiiiiiiiliiliiiiil.num_named_barrier, 0
	.set _ZL15flash_attn_tileILi128ELi128ELi32ELi1ELb1EEvPKcS1_S1_S1_S1_PKiPfP15HIP_vector_typeIfLj2EEffffjfiS5_IjLj3EEiiiiiiiiiiiliiliiiiil.private_seg_size, 32
	.set _ZL15flash_attn_tileILi128ELi128ELi32ELi1ELb1EEvPKcS1_S1_S1_S1_PKiPfP15HIP_vector_typeIfLj2EEffffjfiS5_IjLj3EEiiiiiiiiiiiliiliiiiil.uses_vcc, 1
	.set _ZL15flash_attn_tileILi128ELi128ELi32ELi1ELb1EEvPKcS1_S1_S1_S1_PKiPfP15HIP_vector_typeIfLj2EEffffjfiS5_IjLj3EEiiiiiiiiiiiliiliiiiil.uses_flat_scratch, 1
	.set _ZL15flash_attn_tileILi128ELi128ELi32ELi1ELb1EEvPKcS1_S1_S1_S1_PKiPfP15HIP_vector_typeIfLj2EEffffjfiS5_IjLj3EEiiiiiiiiiiiliiliiiiil.has_dyn_sized_stack, 0
	.set _ZL15flash_attn_tileILi128ELi128ELi32ELi1ELb1EEvPKcS1_S1_S1_S1_PKiPfP15HIP_vector_typeIfLj2EEffffjfiS5_IjLj3EEiiiiiiiiiiiliiliiiiil.has_recursion, 0
	.set _ZL15flash_attn_tileILi128ELi128ELi32ELi1ELb1EEvPKcS1_S1_S1_S1_PKiPfP15HIP_vector_typeIfLj2EEffffjfiS5_IjLj3EEiiiiiiiiiiiliiliiiiil.has_indirect_call, 0
	.section	.AMDGPU.csdata,"",@progbits
; Kernel info:
; codeLenInByte = 39716
; TotalNumSgprs: 58
; NumVgprs: 110
; ScratchSize: 32
; MemoryBound: 0
; FloatMode: 240
; IeeeMode: 1
; LDSByteSize: 21504 bytes/workgroup (compile time only)
; SGPRBlocks: 12
; VGPRBlocks: 27
; NumSGPRsForWavesPerEU: 102
; NumVGPRsForWavesPerEU: 110
; Occupancy: 2
; WaveLimiterHint : 1
; COMPUTE_PGM_RSRC2:SCRATCH_EN: 1
; COMPUTE_PGM_RSRC2:USER_SGPR: 8
; COMPUTE_PGM_RSRC2:TRAP_HANDLER: 0
; COMPUTE_PGM_RSRC2:TGID_X_EN: 1
; COMPUTE_PGM_RSRC2:TGID_Y_EN: 1
; COMPUTE_PGM_RSRC2:TGID_Z_EN: 1
; COMPUTE_PGM_RSRC2:TIDIG_COMP_CNT: 1
	.section	.text._ZL15flash_attn_tileILi128ELi128ELi16ELi1ELb1EEvPKcS1_S1_S1_S1_PKiPfP15HIP_vector_typeIfLj2EEffffjfiS5_IjLj3EEiiiiiiiiiiiliiliiiiil,"axG",@progbits,_ZL15flash_attn_tileILi128ELi128ELi16ELi1ELb1EEvPKcS1_S1_S1_S1_PKiPfP15HIP_vector_typeIfLj2EEffffjfiS5_IjLj3EEiiiiiiiiiiiliiliiiiil,comdat
	.globl	_ZL15flash_attn_tileILi128ELi128ELi16ELi1ELb1EEvPKcS1_S1_S1_S1_PKiPfP15HIP_vector_typeIfLj2EEffffjfiS5_IjLj3EEiiiiiiiiiiiliiliiiiil ; -- Begin function _ZL15flash_attn_tileILi128ELi128ELi16ELi1ELb1EEvPKcS1_S1_S1_S1_PKiPfP15HIP_vector_typeIfLj2EEffffjfiS5_IjLj3EEiiiiiiiiiiiliiliiiiil
	.p2align	8
	.type	_ZL15flash_attn_tileILi128ELi128ELi16ELi1ELb1EEvPKcS1_S1_S1_S1_PKiPfP15HIP_vector_typeIfLj2EEffffjfiS5_IjLj3EEiiiiiiiiiiiliiliiiiil,@function
_ZL15flash_attn_tileILi128ELi128ELi16ELi1ELb1EEvPKcS1_S1_S1_S1_PKiPfP15HIP_vector_typeIfLj2EEffffjfiS5_IjLj3EEiiiiiiiiiiiliiliiiiil: ; @_ZL15flash_attn_tileILi128ELi128ELi16ELi1ELb1EEvPKcS1_S1_S1_S1_PKiPfP15HIP_vector_typeIfLj2EEffffjfiS5_IjLj3EEiiiiiiiiiiiliiliiiiil
; %bb.0:
	s_load_dwordx4 s[36:39], s[4:5], 0x5c
	s_load_dwordx2 s[46:47], s[4:5], 0x80
	s_add_u32 flat_scratch_lo, s6, s11
	s_addc_u32 flat_scratch_hi, s7, 0
	s_add_u32 s0, s0, s11
	s_waitcnt lgkmcnt(0)
	v_cvt_f32_u32_e32 v2, s39
	s_addc_u32 s1, s1, 0
	s_sub_i32 s6, 0, s39
	s_load_dwordx16 s[16:31], s[4:5], 0x0
	v_rcp_iflag_f32_e32 v2, v2
	s_load_dwordx2 s[48:49], s[4:5], 0xb8
	s_mov_b64 s[44:45], 0
	v_mul_f32_e32 v2, 0x4f7ffffe, v2
	v_cvt_u32_f32_e32 v2, v2
	v_readfirstlane_b32 s7, v2
	s_mul_i32 s6, s6, s7
	s_mul_hi_u32 s6, s7, s6
	s_add_i32 s7, s7, s6
	s_mul_hi_u32 s6, s10, s7
	s_mul_i32 s7, s6, s39
	s_sub_i32 s7, s10, s7
	s_add_i32 s11, s6, 1
	s_sub_i32 s12, s7, s39
	s_cmp_ge_u32 s7, s39
	s_cselect_b32 s6, s11, s6
	s_cselect_b32 s7, s12, s7
	s_add_i32 s11, s6, 1
	s_cmp_ge_u32 s7, s39
	s_cselect_b32 s33, s11, s6
	s_abs_i32 s6, s47
	v_cvt_f32_u32_e32 v2, s6
	s_mul_i32 s12, s33, s39
	s_sub_i32 s13, 0, s6
	s_sub_i32 s34, s10, s12
	v_rcp_iflag_f32_e32 v2, v2
	s_abs_i32 s11, s39
	s_xor_b32 s7, s39, s47
	s_ashr_i32 s7, s7, 31
	v_mul_f32_e32 v2, 0x4f7ffffe, v2
	v_cvt_u32_f32_e32 v2, v2
	v_readfirstlane_b32 s10, v2
	s_mul_i32 s13, s13, s10
	s_mul_hi_u32 s12, s10, s13
	s_add_i32 s10, s10, s12
	s_mul_hi_u32 s10, s11, s10
	s_mul_i32 s12, s10, s6
	s_sub_i32 s11, s11, s12
	s_add_i32 s13, s10, 1
	s_sub_i32 s12, s11, s6
	s_cmp_ge_u32 s11, s6
	s_cselect_b32 s10, s13, s10
	s_cselect_b32 s11, s12, s11
	s_add_i32 s12, s10, 1
	s_cmp_ge_u32 s11, s6
	s_cselect_b32 s6, s12, s10
	s_xor_b32 s6, s6, s7
	s_sub_i32 s51, s6, s7
	s_abs_i32 s47, s51
	v_cvt_f32_u32_e32 v2, s47
	s_sub_i32 s6, 0, s47
	s_abs_i32 s50, s34
	v_rcp_iflag_f32_e32 v2, v2
	v_mul_f32_e32 v2, 0x4f7ffffe, v2
	v_cvt_u32_f32_e32 v2, v2
	v_readfirstlane_b32 s7, v2
	s_mul_i32 s6, s6, s7
	s_mul_hi_u32 s6, s7, s6
	s_add_i32 s6, s7, s6
	s_waitcnt lgkmcnt(0)
	s_cmp_eq_u64 s[22:23], 0
	s_cbranch_scc1 .LBB88_2
; %bb.1:
	s_abs_i32 s7, s48
	v_cvt_f32_u32_e32 v2, s7
	s_sub_i32 s14, 0, s7
	s_abs_i32 s13, s33
	s_ashr_i32 s12, s33, 31
	v_rcp_iflag_f32_e32 v2, v2
	s_load_dwordx2 s[10:11], s[4:5], 0xc8
	v_mul_f32_e32 v2, 0x4f7ffffe, v2
	v_cvt_u32_f32_e32 v2, v2
	v_readfirstlane_b32 s15, v2
	s_mul_i32 s14, s14, s15
	s_mul_hi_u32 s14, s15, s14
	s_add_i32 s15, s15, s14
	s_mul_hi_u32 s14, s13, s15
	s_mul_i32 s14, s14, s7
	s_sub_i32 s13, s13, s14
	s_sub_i32 s14, s13, s7
	s_cmp_ge_u32 s13, s7
	s_cselect_b32 s13, s14, s13
	s_sub_i32 s14, s13, s7
	s_cmp_ge_u32 s13, s7
	s_cselect_b32 s7, s14, s13
	s_xor_b32 s7, s7, s12
	s_sub_i32 s7, s7, s12
	s_ashr_i32 s12, s7, 31
	s_waitcnt lgkmcnt(0)
	s_mul_hi_u32 s13, s10, s7
	s_mul_i32 s12, s10, s12
	s_mul_i32 s11, s11, s7
	s_add_i32 s12, s13, s12
	s_add_i32 s12, s12, s11
	s_mul_i32 s7, s10, s7
	s_add_u32 s44, s22, s7
	s_addc_u32 s45, s23, s12
.LBB88_2:
	s_load_dwordx4 s[12:15], s[4:5], 0x40
	s_load_dwordx2 s[22:23], s[4:5], 0x50
	s_mul_hi_u32 s48, s50, s6
	v_mov_b32_e32 v28, 1.0
	s_waitcnt lgkmcnt(0)
	v_cmp_le_f32_e64 s[6:7], s13, 0
	s_and_b64 vcc, exec, s[6:7]
	s_cbranch_vccnz .LBB88_4
; %bb.3:
	v_mov_b32_e32 v2, s22
	v_sub_co_u32_e32 v2, vcc, s34, v2
	v_mov_b32_e32 v3, s15
	v_mov_b32_e32 v4, s14
	s_add_i32 s6, s34, 1
	v_lshlrev_b32_e32 v2, 1, v2
	v_cndmask_b32_e32 v3, v3, v4, vcc
	v_or_b32_e32 v2, 1, v2
	v_mov_b32_e32 v4, s6
	v_cndmask_b32_e32 v2, v2, v4, vcc
	v_cvt_f32_i32_e32 v2, v2
	v_cmp_neq_f32_e32 vcc, 1.0, v3
	s_mov_b32 s6, 0x3f2aaaab
	s_movk_i32 s10, 0x204
	v_cndmask_b32_e32 v4, 1.0, v2, vcc
	v_cmp_neq_f32_e32 vcc, 0, v4
	v_cndmask_b32_e32 v5, 1.0, v3, vcc
	v_frexp_mant_f32_e64 v2, |v5|
	v_cmp_gt_f32_e32 vcc, s6, v2
	v_cndmask_b32_e64 v3, 1.0, 2.0, vcc
	v_mul_f32_e32 v2, v2, v3
	v_add_f32_e32 v3, 1.0, v2
	v_rcp_f32_e32 v6, v3
	v_add_f32_e32 v7, -1.0, v2
	v_add_f32_e32 v8, -1.0, v3
	v_sub_f32_e32 v2, v2, v8
	v_mul_f32_e32 v8, v7, v6
	v_mul_f32_e32 v9, v3, v8
	v_fma_f32 v3, v8, v3, -v9
	v_fmac_f32_e32 v3, v8, v2
	v_add_f32_e32 v2, v9, v3
	v_sub_f32_e32 v10, v7, v2
	v_sub_f32_e32 v9, v2, v9
	;; [unrolled: 1-line block ×5, first 2 shown]
	v_add_f32_e32 v2, v3, v2
	v_add_f32_e32 v2, v10, v2
	v_mul_f32_e32 v2, v6, v2
	v_add_f32_e32 v6, v8, v2
	v_sub_f32_e32 v3, v6, v8
	v_sub_f32_e32 v7, v2, v3
	v_mul_f32_e32 v2, v6, v6
	v_fma_f32 v3, v6, v6, -v2
	v_add_f32_e32 v8, v7, v7
	v_fmac_f32_e32 v3, v6, v8
	v_add_f32_e32 v8, v2, v3
	v_mov_b32_e32 v9, 0x3e91f4c4
	v_sub_f32_e32 v2, v8, v2
	v_fmac_f32_e32 v9, 0x3e76c4e1, v8
	v_mov_b32_e32 v10, 0x3ecccdef
	v_sub_f32_e32 v2, v3, v2
	v_mul_f32_e32 v3, v6, v8
	v_fmac_f32_e32 v10, v8, v9
	v_fma_f32 v9, v8, v6, -v3
	v_fmac_f32_e32 v9, v8, v7
	v_fmac_f32_e32 v9, v2, v6
	v_add_f32_e32 v11, v3, v9
	v_sub_f32_e32 v3, v11, v3
	v_sub_f32_e32 v9, v9, v3
	v_mul_f32_e32 v3, v8, v10
	v_fma_f32 v8, v8, v10, -v3
	v_fmac_f32_e32 v8, v2, v10
	v_add_f32_e32 v10, v3, v8
	v_sub_f32_e32 v2, v10, v3
	v_sub_f32_e32 v8, v8, v2
	v_cvt_f64_f32_e64 v[2:3], |v5|
	v_add_f32_e32 v12, 0x3f2aaaaa, v10
	v_add_f32_e32 v13, 0xbf2aaaaa, v12
	;; [unrolled: 1-line block ×3, first 2 shown]
	v_frexp_exp_i32_f64_e32 v2, v[2:3]
	v_sub_f32_e32 v10, v10, v13
	v_add_f32_e32 v3, v8, v10
	v_add_f32_e32 v8, v12, v3
	v_sub_f32_e32 v10, v12, v8
	v_add_f32_e32 v3, v3, v10
	v_mul_f32_e32 v10, v11, v8
	v_fma_f32 v12, v11, v8, -v10
	v_subbrev_co_u32_e32 v2, vcc, 0, v2, vcc
	v_cvt_f32_i32_e32 v2, v2
	v_fmac_f32_e32 v12, v11, v3
	s_mov_b32 s6, 0x3f317218
	v_fmac_f32_e32 v12, v9, v8
	v_mul_f32_e32 v3, 0x3f317218, v2
	v_fma_f32 v8, v2, s6, -v3
	v_fmac_f32_e32 v8, 0xb102e308, v2
	v_ldexp_f32 v2, v7, 1
	v_add_f32_e32 v7, v3, v8
	v_sub_f32_e32 v3, v7, v3
	v_ldexp_f32 v6, v6, 1
	v_sub_f32_e32 v3, v8, v3
	v_add_f32_e32 v8, v10, v12
	v_sub_f32_e32 v9, v8, v10
	v_add_f32_e32 v10, v6, v8
	v_sub_f32_e32 v9, v12, v9
	v_sub_f32_e32 v6, v10, v6
	;; [unrolled: 1-line block ×3, first 2 shown]
	v_add_f32_e32 v2, v2, v9
	v_add_f32_e32 v2, v2, v6
	;; [unrolled: 1-line block ×3, first 2 shown]
	v_sub_f32_e32 v8, v6, v10
	v_sub_f32_e32 v2, v2, v8
	v_add_f32_e32 v8, v7, v6
	v_sub_f32_e32 v9, v8, v7
	v_sub_f32_e32 v10, v8, v9
	;; [unrolled: 1-line block ×4, first 2 shown]
	v_add_f32_e32 v6, v6, v7
	v_add_f32_e32 v7, v3, v2
	v_sub_f32_e32 v9, v7, v3
	v_sub_f32_e32 v10, v7, v9
	;; [unrolled: 1-line block ×4, first 2 shown]
	v_add_f32_e32 v2, v2, v3
	v_add_f32_e32 v3, v7, v6
	;; [unrolled: 1-line block ×3, first 2 shown]
	v_sub_f32_e32 v7, v6, v8
	v_sub_f32_e32 v3, v3, v7
	v_add_f32_e32 v2, v2, v3
	v_add_f32_e32 v3, v6, v2
	v_sub_f32_e32 v6, v3, v6
	v_sub_f32_e32 v2, v2, v6
	v_mul_f32_e32 v6, v4, v3
	v_fma_f32 v3, v4, v3, -v6
	v_fmac_f32_e32 v3, v4, v2
	v_add_f32_e32 v2, v6, v3
	v_cmp_class_f32_e64 vcc, v6, s10
	v_sub_f32_e32 v7, v2, v6
	v_cndmask_b32_e32 v2, v2, v6, vcc
	s_mov_b32 s7, 0x42b17218
	v_mov_b32_e32 v6, 0x37000000
	v_cmp_eq_f32_e32 vcc, s7, v2
	v_cndmask_b32_e32 v6, 0, v6, vcc
	v_sub_f32_e32 v3, v3, v7
	v_sub_f32_e32 v7, v2, v6
	s_mov_b32 s11, 0x3fb8aa3b
	v_mul_f32_e32 v8, 0x3fb8aa3b, v7
	v_fma_f32 v9, v7, s11, -v8
	v_rndne_f32_e32 v10, v8
	v_fmac_f32_e32 v9, 0x32a5705f, v7
	v_sub_f32_e32 v8, v8, v10
	v_add_f32_e32 v8, v8, v9
	v_exp_f32_e32 v8, v8
	v_cvt_i32_f32_e32 v9, v10
	s_mov_b32 s6, 0x7f800000
	v_cmp_neq_f32_e64 vcc, |v2|, s6
	s_mov_b32 s6, 0xc2ce8ed0
	v_cndmask_b32_e32 v2, 0, v3, vcc
	v_ldexp_f32 v3, v8, v9
	v_cmp_ngt_f32_e32 vcc, s6, v7
	v_add_f32_e32 v2, v6, v2
	v_cndmask_b32_e32 v3, 0, v3, vcc
	v_mov_b32_e32 v6, 0x7f800000
	v_cmp_nlt_f32_e32 vcc, s7, v7
	v_cndmask_b32_e32 v3, v6, v3, vcc
	v_fma_f32 v2, v3, v2, v3
	v_cmp_class_f32_e64 vcc, v3, s10
	v_cndmask_b32_e32 v2, v2, v3, vcc
	v_trunc_f32_e32 v3, v4
	v_cmp_eq_f32_e32 vcc, v3, v4
	v_mul_f32_e32 v3, 0.5, v4
	v_trunc_f32_e32 v8, v3
	v_cmp_neq_f32_e64 s[6:7], v8, v3
	s_and_b64 s[6:7], vcc, s[6:7]
	v_cndmask_b32_e64 v3, 1.0, v5, s[6:7]
	s_brev_b32 s13, -2
	v_mov_b32_e32 v7, 0x7fc00000
	v_bfi_b32 v2, s13, v2, v3
	v_cndmask_b32_e32 v3, v7, v2, vcc
	v_cmp_gt_f32_e32 vcc, 0, v5
	v_cndmask_b32_e32 v2, v2, v3, vcc
	v_cmp_class_f32_e64 s[14:15], v5, s10
	v_cmp_eq_f32_e32 vcc, 0, v5
	v_cmp_gt_f32_e64 s[10:11], 0, v4
	s_xor_b64 s[10:11], s[10:11], vcc
	v_cndmask_b32_e64 v3, v6, 0, s[10:11]
	v_cndmask_b32_e64 v4, 0, v5, s[6:7]
	v_bfi_b32 v3, s13, v3, v4
	s_or_b64 vcc, vcc, s[14:15]
	v_cndmask_b32_e32 v2, v2, v3, vcc
	v_cmp_o_f32_e32 vcc, v5, v5
	v_cndmask_b32_e32 v28, v7, v2, vcc
.LBB88_4:
	s_lshl_b32 s22, s8, 4
	v_lshlrev_b32_e32 v22, 1, v1
	s_load_dwordx4 s[40:43], s[4:5], 0x70
	v_add_u32_e32 v24, s22, v22
	v_or_b32_e32 v20, 1, v22
	v_mul_hi_u32 v2, v24, s36
	v_add_u32_e32 v21, s22, v20
	v_mul_hi_u32 v5, v21, s36
	s_waitcnt lgkmcnt(0)
	s_mul_i32 s7, s33, s42
	v_add_u32_e32 v2, v24, v2
	s_ashr_i32 s35, s34, 31
	s_ashr_i32 s6, s51, 31
	;; [unrolled: 1-line block ×3, first 2 shown]
	v_lshrrev_b32_e32 v2, s37, v2
	v_add_u32_e32 v5, v21, v5
	s_add_u32 s7, s16, s7
	s_mul_i32 s11, s34, s41
	v_mul_lo_u32 v2, v2, s38
	v_lshrrev_b32_e32 v5, s37, v5
	s_addc_u32 s10, s17, s10
	s_ashr_i32 s13, s11, 31
	v_mul_lo_u32 v7, v5, s38
	s_add_u32 s7, s7, s11
	s_addc_u32 s13, s10, s13
	s_ashr_i32 s41, s40, 31
	s_lshr_b64 s[10:11], s[40:41], 2
	v_sub_u32_e32 v2, v24, v2
	v_mad_u64_u32 v[3:4], s[14:15], s10, v2, 0
	v_sub_u32_e32 v10, v21, v7
	v_mad_u64_u32 v[7:8], s[10:11], s10, v10, 0
	v_mov_b32_e32 v9, s13
	s_lshr_b32 s13, s41, 2
	v_lshlrev_b32_e32 v6, 4, v0
	v_mad_u64_u32 v[4:5], s[14:15], s13, v2, v[4:5]
	v_add_co_u32_e32 v11, vcc, s7, v6
	v_mov_b32_e32 v5, v8
	v_addc_co_u32_e32 v12, vcc, 0, v9, vcc
	v_mad_u64_u32 v[8:9], s[10:11], s13, v10, v[5:6]
	v_lshlrev_b64 v[3:4], 2, v[3:4]
	v_lshlrev_b32_e32 v25, 3, v0
	v_add_co_u32_e32 v3, vcc, v11, v3
	v_lshlrev_b64 v[7:8], 2, v[7:8]
	v_addc_co_u32_e32 v4, vcc, v12, v4, vcc
	v_add_co_u32_e32 v7, vcc, v11, v7
	global_load_dwordx4 v[3:6], v[3:4], off
	v_addc_co_u32_e32 v8, vcc, v12, v8, vcc
	global_load_dwordx4 v[7:10], v[7:8], off
	v_lshlrev_b32_e32 v33, 9, v1
	v_add_u32_e32 v11, 0x4400, v25
	v_add_u32_e32 v12, v11, v33
	v_mov_b32_e32 v35, 0
	v_lshl_add_u32 v11, v20, 8, v11
	s_cmp_eq_u64 s[26:27], 0
	s_waitcnt vmcnt(1)
	v_fma_mixlo_f16 v3, s12, v3, 0
	v_fma_mixlo_f16 v4, s12, v4, 0
	;; [unrolled: 1-line block ×4, first 2 shown]
	v_lshlrev_b32_e32 v4, 16, v4
	v_and_b32_e32 v3, 0xffff, v3
	v_lshlrev_b32_e32 v6, 16, v6
	v_and_b32_e32 v5, 0xffff, v5
	s_waitcnt vmcnt(0)
	v_fma_mixlo_f16 v7, s12, v7, 0
	v_fma_mixlo_f16 v8, s12, v8, 0
	v_fma_mixlo_f16 v9, s12, v9, 0
	v_fma_mixlo_f16 v10, s12, v10, 0
	v_or_b32_e32 v3, v4, v3
	v_or3_b32 v4, v6, v5, 0
	v_lshlrev_b32_e32 v5, 16, v8
	v_and_b32_e32 v6, 0xffff, v7
	v_lshlrev_b32_e32 v7, 16, v10
	v_and_b32_e32 v8, 0xffff, v9
	v_or3_b32 v3, 0, 0, v3
	v_or_b32_e32 v6, v5, v6
	v_or3_b32 v5, v7, v8, 0
	ds_write_b64 v12, v[3:4]
	v_or3_b32 v4, 0, 0, v6
	ds_write_b64 v11, v[4:5]
	s_waitcnt lgkmcnt(0)
	s_barrier
	s_cbranch_scc1 .LBB88_6
; %bb.5:
	s_load_dword s7, s[4:5], 0xd0
	s_mov_b32 s11, 0
	s_waitcnt lgkmcnt(0)
	s_mul_i32 s7, s7, s33
	s_add_i32 s10, s7, s8
	s_lshl_b64 s[10:11], s[10:11], 2
	s_add_u32 s10, s26, s10
	s_addc_u32 s11, s27, s11
	s_load_dword s46, s[10:11], 0x0
.LBB88_6:
	s_nop 0
	s_load_dwordx2 s[10:11], s[4:5], 0x8c
	s_load_dwordx4 s[12:15], s[4:5], 0x98
	s_ashr_i32 s7, s33, 31
	s_ashr_i32 s43, s49, 1
	s_load_dwordx2 s[26:27], s[4:5], 0xa8
	s_waitcnt lgkmcnt(0)
	s_ashr_i32 s16, s10, 2
	s_ashr_i32 s8, s14, 2
	s_mul_hi_u32 s10, s12, s33
	s_mul_i32 s14, s12, s7
	s_add_i32 s10, s10, s14
	s_mul_i32 s13, s13, s33
	s_add_i32 s10, s10, s13
	s_mul_i32 s12, s12, s33
	s_add_u32 s12, s18, s12
	s_mul_i32 s13, s48, s47
	s_addc_u32 s10, s19, s10
	s_sub_i32 s13, s50, s13
	s_xor_b32 s6, s35, s6
	s_add_i32 s14, s48, 1
	s_sub_i32 s17, s13, s47
	s_cmp_ge_u32 s13, s47
	s_cselect_b32 s14, s14, s48
	s_cselect_b32 s13, s17, s13
	s_add_i32 s17, s14, 1
	s_cmp_ge_u32 s13, s47
	s_cselect_b32 s13, s17, s14
	s_xor_b32 s13, s13, s6
	s_sub_i32 s6, s13, s6
	s_mul_i32 s11, s6, s11
	s_ashr_i32 s13, s11, 31
	s_add_u32 s18, s12, s11
	s_addc_u32 s17, s10, s13
	s_mul_hi_u32 s10, s26, s33
	s_mul_i32 s7, s26, s7
	s_add_i32 s7, s10, s7
	s_mul_i32 s10, s27, s33
	s_add_i32 s7, s7, s10
	s_mul_i32 s10, s26, s33
	s_add_u32 s10, s20, s10
	s_mul_i32 s6, s6, s15
	s_addc_u32 s7, s21, s7
	s_ashr_i32 s11, s6, 31
	v_mul_lo_u32 v34, v2, s43
	s_add_u32 s40, s10, s6
	v_lshlrev_b32_e32 v23, 2, v0
	s_addc_u32 s41, s7, s11
	s_lshl_b32 s42, s9, 6
	s_sub_i32 s19, s46, 64
	s_cmp_ge_i32 s42, s19
	v_lshrrev_b32_e32 v38, 4, v0
	v_and_b32_e32 v37, 60, v23
	v_or_b32_e32 v30, 1, v24
	v_mbcnt_lo_u32_b32 v31, -1, 0
	s_cbranch_scc1 .LBB88_36
; %bb.7:
	v_mul_hi_u32 v12, s36, v30
	v_add_u32_e32 v4, v38, v22
	v_mul_lo_u32 v2, s16, v4
	v_lshlrev_b32_e32 v5, 2, v37
	v_add_u32_e32 v12, v30, v12
	v_lshrrev_b32_e32 v12, s37, v12
	v_mul_lo_u32 v12, v12, s38
	s_movk_i32 s6, 0x110
	v_mad_u32_u24 v39, v4, s6, v5
	s_lshl_b32 s6, s16, 4
	v_sub_u32_e32 v12, v30, v12
	v_mul_lo_u32 v45, v12, s43
	v_mul_lo_u32 v12, s8, v4
	v_add_u32_e32 v6, s6, v2
	v_add_u32_e32 v8, s6, v6
	s_cmp_lg_u64 s[44:45], 0
	v_add_u32_e32 v10, s6, v8
	s_cselect_b64 s[10:11], -1, 0
	s_lshl_b32 s6, s8, 4
	v_add_u32_e32 v14, s6, v12
	v_add_u32_e32 v16, s6, v14
	v_mov_b32_e32 v13, 0x5400
	v_add_u32_e32 v18, s6, v16
	v_ashrrev_i32_e32 v3, 31, v2
	v_ashrrev_i32_e32 v7, 31, v6
	v_ashrrev_i32_e32 v9, 31, v8
	v_ashrrev_i32_e32 v11, 31, v10
	v_lshl_add_u32 v46, v1, 8, v13
	v_ashrrev_i32_e32 v13, 31, v12
	v_ashrrev_i32_e32 v15, 31, v14
	;; [unrolled: 1-line block ×4, first 2 shown]
	v_lshl_or_b32 v47, v4, 8, v5
	s_add_u32 s12, s4, 0xd0
	v_lshlrev_b64 v[4:5], 2, v[2:3]
	v_lshlrev_b64 v[6:7], 2, v[6:7]
	;; [unrolled: 1-line block ×8, first 2 shown]
	v_mov_b32_e32 v29, 0
	v_add_u32_e32 v40, 0x1100, v39
	v_add_u32_e32 v41, 0x2200, v39
	;; [unrolled: 1-line block ×4, first 2 shown]
	v_mul_u32_u24_e32 v44, 0x110, v0
	v_add_u32_e32 v48, 0x1000, v47
	v_add_u32_e32 v49, 0x2000, v47
	;; [unrolled: 1-line block ×3, first 2 shown]
	s_addc_u32 s13, s5, 0
	v_mov_b32_e32 v60, 0xfeffffff
	v_lshlrev_b32_e32 v51, 2, v37
	s_mov_b32 s20, 0x3f200000
	s_mov_b32 s21, 0x3fb8aa3b
	;; [unrolled: 1-line block ×4, first 2 shown]
	v_mov_b32_e32 v52, 0xbd5c1c4e
	v_mov_b32_e32 v53, 0x3e088382
	v_mov_b32_e32 v54, 0xbeaaaa99
	s_brev_b32 s47, -2
	s_mov_b32 s48, 0x10001
	v_mov_b32_e32 v55, 0x7f800000
	v_mbcnt_hi_u32_b32 v56, -1, v31
	v_mov_b32_e32 v26, 0
	v_mov_b32_e32 v32, 0
	;; [unrolled: 1-line block ×6, first 2 shown]
.LBB88_8:                               ; =>This Inner Loop Header: Depth=1
	s_mul_hi_i32 s7, s42, s16
	s_mul_i32 s6, s42, s16
	s_lshl_b64 s[6:7], s[6:7], 2
	s_add_u32 s6, s18, s6
	s_addc_u32 s7, s17, s7
	v_mov_b32_e32 v2, s7
	v_add_co_u32_e32 v3, vcc, s6, v4
	v_addc_co_u32_e32 v35, vcc, v2, v5, vcc
	v_add_co_u32_e32 v2, vcc, v3, v51
	v_addc_co_u32_e32 v3, vcc, 0, v35, vcc
	v_mov_b32_e32 v35, s7
	v_add_co_u32_e32 v36, vcc, s6, v6
	v_addc_co_u32_e32 v61, vcc, v35, v7, vcc
	v_add_co_u32_e32 v35, vcc, v36, v51
	v_addc_co_u32_e32 v36, vcc, 0, v61, vcc
	global_load_dwordx4 v[62:65], v[2:3], off
	global_load_dwordx4 v[66:69], v[35:36], off
	v_mov_b32_e32 v2, s7
	v_add_co_u32_e32 v3, vcc, s6, v8
	v_addc_co_u32_e32 v35, vcc, v2, v9, vcc
	v_add_co_u32_e32 v2, vcc, v3, v51
	v_addc_co_u32_e32 v3, vcc, 0, v35, vcc
	v_mov_b32_e32 v35, s7
	v_add_co_u32_e32 v36, vcc, s6, v10
	v_addc_co_u32_e32 v61, vcc, v35, v11, vcc
	v_add_co_u32_e32 v35, vcc, v36, v51
	v_addc_co_u32_e32 v36, vcc, 0, v61, vcc
	global_load_dwordx4 v[70:73], v[2:3], off
	global_load_dwordx4 v[74:77], v[35:36], off
	v_mov_b32_e32 v61, 0
	v_mov_b32_e32 v35, 0
	;; [unrolled: 1-line block ×3, first 2 shown]
	s_waitcnt vmcnt(3)
	ds_write_b128 v39, v[62:65]
	s_waitcnt vmcnt(2)
	ds_write_b128 v40, v[66:69]
	;; [unrolled: 2-line block ×4, first 2 shown]
	s_waitcnt lgkmcnt(0)
	s_barrier
	ds_read_b128 v[63:66], v44
	ds_read_b128 v[67:70], v43
	ds_read_b128 v[71:74], v44 offset:8704
	ds_read_b128 v[75:78], v43 offset:256
	s_waitcnt lgkmcnt(2)
	;;#ASMSTART
	v_dot2_f32_f16 v61, v63, v67, v61
	;;#ASMEND
	;;#ASMSTART
	v_dot2_f32_f16 v61, v64, v68, v61
	;;#ASMEND
	;; [unrolled: 3-line block ×4, first 2 shown]
	s_waitcnt lgkmcnt(0)
	;;#ASMSTART
	v_dot2_f32_f16 v35, v63, v75, v35
	;;#ASMEND
	;;#ASMSTART
	v_dot2_f32_f16 v35, v64, v76, v35
	;;#ASMEND
	v_mov_b32_e32 v62, 0
	;;#ASMSTART
	v_dot2_f32_f16 v35, v65, v77, v35
	;;#ASMEND
	;;#ASMSTART
	v_dot2_f32_f16 v35, v66, v78, v35
	;;#ASMEND
	;;#ASMSTART
	v_dot2_f32_f16 v62, v71, v67, v62
	;;#ASMEND
	;;#ASMSTART
	v_dot2_f32_f16 v62, v72, v68, v62
	;;#ASMEND
	;;#ASMSTART
	v_dot2_f32_f16 v62, v73, v69, v62
	;;#ASMEND
	;;#ASMSTART
	v_dot2_f32_f16 v62, v74, v70, v62
	;;#ASMEND
	;;#ASMSTART
	v_dot2_f32_f16 v36, v71, v75, v36
	;;#ASMEND
	;;#ASMSTART
	v_dot2_f32_f16 v36, v72, v76, v36
	;;#ASMEND
	;;#ASMSTART
	v_dot2_f32_f16 v36, v73, v77, v36
	;;#ASMEND
	;;#ASMSTART
	v_dot2_f32_f16 v36, v74, v78, v36
	;;#ASMEND
	ds_read_b128 v[63:66], v43 offset:16
	ds_read_b128 v[67:70], v44 offset:16
	ds_read_b128 v[71:74], v44 offset:8720
	ds_read_b128 v[75:78], v43 offset:272
	s_waitcnt lgkmcnt(2)
	;;#ASMSTART
	v_dot2_f32_f16 v61, v67, v63, v61
	;;#ASMEND
	;;#ASMSTART
	v_dot2_f32_f16 v61, v68, v64, v61
	;;#ASMEND
	;;#ASMSTART
	v_dot2_f32_f16 v61, v69, v65, v61
	;;#ASMEND
	;;#ASMSTART
	v_dot2_f32_f16 v61, v70, v66, v61
	;;#ASMEND
	s_waitcnt lgkmcnt(0)
	;;#ASMSTART
	v_dot2_f32_f16 v35, v67, v75, v35
	;;#ASMEND
	;;#ASMSTART
	v_dot2_f32_f16 v35, v68, v76, v35
	;;#ASMEND
	;;#ASMSTART
	v_dot2_f32_f16 v35, v69, v77, v35
	;;#ASMEND
	;;#ASMSTART
	v_dot2_f32_f16 v35, v70, v78, v35
	;;#ASMEND
	;;#ASMSTART
	v_dot2_f32_f16 v62, v71, v63, v62
	;;#ASMEND
	;;#ASMSTART
	v_dot2_f32_f16 v62, v72, v64, v62
	;;#ASMEND
	;;#ASMSTART
	v_dot2_f32_f16 v62, v73, v65, v62
	;;#ASMEND
	;;#ASMSTART
	v_dot2_f32_f16 v62, v74, v66, v62
	;;#ASMEND
	;;#ASMSTART
	v_dot2_f32_f16 v36, v71, v75, v36
	;;#ASMEND
	;;#ASMSTART
	v_dot2_f32_f16 v36, v72, v76, v36
	;;#ASMEND
	;;#ASMSTART
	v_dot2_f32_f16 v36, v73, v77, v36
	;;#ASMEND
	;;#ASMSTART
	v_dot2_f32_f16 v36, v74, v78, v36
	;;#ASMEND
	ds_read_b128 v[63:66], v43 offset:32
	ds_read_b128 v[67:70], v44 offset:32
	ds_read_b128 v[71:74], v44 offset:8736
	ds_read_b128 v[75:78], v43 offset:288
	s_waitcnt lgkmcnt(2)
	;;#ASMSTART
	v_dot2_f32_f16 v61, v67, v63, v61
	;;#ASMEND
	;;#ASMSTART
	v_dot2_f32_f16 v61, v68, v64, v61
	;;#ASMEND
	;;#ASMSTART
	v_dot2_f32_f16 v61, v69, v65, v61
	;;#ASMEND
	;;#ASMSTART
	v_dot2_f32_f16 v61, v70, v66, v61
	;;#ASMEND
	s_waitcnt lgkmcnt(0)
	;;#ASMSTART
	v_dot2_f32_f16 v35, v67, v75, v35
	;;#ASMEND
	;;#ASMSTART
	v_dot2_f32_f16 v35, v68, v76, v35
	;;#ASMEND
	;; [unrolled: 54-line block ×15, first 2 shown]
	;;#ASMSTART
	v_dot2_f32_f16 v35, v69, v77, v35
	;;#ASMEND
	;;#ASMSTART
	v_dot2_f32_f16 v35, v70, v78, v35
	;;#ASMEND
	;; [unrolled: 3-line block ×9, first 2 shown]
	v_cmp_nlt_f32_e64 s[6:7], |v61|, s20
	;;#ASMSTART
	v_dot2_f32_f16 v36, v74, v78, v36
	;;#ASMEND
                                        ; implicit-def: $vgpr66
	s_and_saveexec_b64 s[14:15], s[6:7]
	s_xor_b64 s[6:7], exec, s[14:15]
	s_cbranch_execz .LBB88_10
; %bb.9:                                ;   in Loop: Header=BB88_8 Depth=1
	v_add_f32_e64 v2, |v61|, |v61|
	v_mul_f32_e32 v3, 0x3fb8aa3b, v2
	v_rndne_f32_e32 v63, v3
	v_sub_f32_e32 v64, v3, v63
	v_fma_f32 v3, v2, s21, -v3
	v_fmac_f32_e32 v3, 0x32a5705f, v2
	v_add_f32_e32 v3, v64, v3
	v_cvt_i32_f32_e32 v63, v63
	v_exp_f32_e32 v3, v3
	v_cmp_ngt_f32_e32 vcc, s26, v2
	v_ldexp_f32 v3, v3, v63
	v_cndmask_b32_e32 v3, 0, v3, vcc
	v_cmp_nlt_f32_e32 vcc, s27, v2
	v_cndmask_b32_e32 v2, v55, v3, vcc
	v_add_f32_e32 v2, 1.0, v2
	v_rcp_f32_e32 v2, v2
	v_fma_f32 v66, v2, -2.0, 1.0
.LBB88_10:                              ;   in Loop: Header=BB88_8 Depth=1
	s_andn2_saveexec_b64 s[6:7], s[6:7]
; %bb.11:                               ;   in Loop: Header=BB88_8 Depth=1
	v_mul_f32_e32 v2, v61, v61
	v_mov_b32_e32 v3, 0x3ca908c9
	v_fmac_f32_e32 v3, 0xbbbac73d, v2
	v_fma_f32 v3, v2, v3, v52
	v_fma_f32 v3, v2, v3, v53
	v_fma_f32 v3, v2, v3, v54
	v_mul_f32_e64 v3, |v61|, v3
	v_fma_f32 v66, v2, v3, |v61|
; %bb.12:                               ;   in Loop: Header=BB88_8 Depth=1
	s_or_b64 exec, exec, s[6:7]
	v_add_u32_e32 v65, s42, v0
	v_add_u32_e32 v2, v65, v34
	v_cndmask_b32_e64 v3, 0, 1, s[10:11]
	v_cmp_ne_u32_e64 s[6:7], 1, v3
	s_andn2_b64 vcc, exec, s[10:11]
	v_ashrrev_i32_e32 v3, 31, v2
	s_cbranch_vccnz .LBB88_34
; %bb.13:                               ;   in Loop: Header=BB88_8 Depth=1
	v_lshlrev_b64 v[63:64], 1, v[2:3]
	v_mov_b32_e32 v67, s45
	v_add_co_u32_e32 v63, vcc, s44, v63
	v_addc_co_u32_e32 v64, vcc, v67, v64, vcc
	global_load_ushort v63, v[63:64], off
	s_waitcnt vmcnt(0)
	v_cvt_f32_f16_e32 v63, v63
	v_mul_f32_e32 v63, v28, v63
	v_cmp_nlt_f32_e64 s[14:15], |v62|, s20
                                        ; implicit-def: $vgpr67
	s_and_saveexec_b64 s[50:51], s[14:15]
	s_xor_b64 s[14:15], exec, s[50:51]
	s_cbranch_execz .LBB88_15
.LBB88_14:                              ;   in Loop: Header=BB88_8 Depth=1
	v_add_f32_e64 v64, |v62|, |v62|
	v_mul_f32_e32 v67, 0x3fb8aa3b, v64
	v_rndne_f32_e32 v68, v67
	v_sub_f32_e32 v69, v67, v68
	v_fma_f32 v67, v64, s21, -v67
	v_fmac_f32_e32 v67, 0x32a5705f, v64
	v_add_f32_e32 v67, v69, v67
	v_cvt_i32_f32_e32 v68, v68
	v_exp_f32_e32 v67, v67
	v_cmp_ngt_f32_e32 vcc, s26, v64
	v_ldexp_f32 v67, v67, v68
	v_cndmask_b32_e32 v67, 0, v67, vcc
	v_cmp_nlt_f32_e32 vcc, s27, v64
	v_cndmask_b32_e32 v64, v55, v67, vcc
	v_add_f32_e32 v64, 1.0, v64
	v_rcp_f32_e32 v64, v64
	v_fma_f32 v67, v64, -2.0, 1.0
.LBB88_15:                              ;   in Loop: Header=BB88_8 Depth=1
	s_andn2_saveexec_b64 s[14:15], s[14:15]
	s_cbranch_execz .LBB88_18
; %bb.16:                               ;   in Loop: Header=BB88_8 Depth=1
	v_mul_f32_e32 v64, v62, v62
	v_mov_b32_e32 v67, 0x3ca908c9
	v_fmac_f32_e32 v67, 0xbbbac73d, v64
	v_fma_f32 v67, v64, v67, v52
	v_fma_f32 v67, v64, v67, v53
	;; [unrolled: 1-line block ×3, first 2 shown]
	v_mul_f32_e64 v67, |v62|, v67
	v_fma_f32 v67, v64, v67, |v62|
	s_or_b64 exec, exec, s[14:15]
	s_and_b64 vcc, exec, s[6:7]
	s_cbranch_vccz .LBB88_19
.LBB88_17:                              ;   in Loop: Header=BB88_8 Depth=1
	v_mov_b32_e32 v64, 0
	s_branch .LBB88_20
.LBB88_18:                              ;   in Loop: Header=BB88_8 Depth=1
	s_or_b64 exec, exec, s[14:15]
	s_and_b64 vcc, exec, s[6:7]
	s_cbranch_vccnz .LBB88_17
.LBB88_19:                              ;   in Loop: Header=BB88_8 Depth=1
	v_lshlrev_b64 v[2:3], 1, v[2:3]
	v_mov_b32_e32 v64, s45
	v_add_co_u32_e32 v2, vcc, s44, v2
	v_addc_co_u32_e32 v3, vcc, v64, v3, vcc
	global_load_ushort v2, v[2:3], off offset:64
	s_waitcnt vmcnt(0)
	v_cvt_f32_f16_e32 v2, v2
	v_mul_f32_e32 v64, v28, v2
.LBB88_20:                              ;   in Loop: Header=BB88_8 Depth=1
	v_bfi_b32 v3, s47, v66, v61
	v_and_b32_e32 v61, 0x60, v56
	v_bfi_b32 v2, s47, v67, v62
	v_add_u32_e32 v61, 32, v61
	v_xor_b32_e32 v62, 16, v56
	v_fmac_f32_e32 v63, s23, v3
	v_cmp_lt_i32_e32 vcc, v62, v61
	v_fmac_f32_e32 v64, s23, v2
	v_add_f32_e32 v3, 0x40051340, v63
	v_cndmask_b32_e32 v62, v56, v62, vcc
	v_add_f32_e32 v2, 0x40051340, v64
	v_lshlrev_b32_e32 v66, 2, v62
	v_max3_f32 v2, v60, v3, v2
	ds_bpermute_b32 v3, v66, v2
	v_xor_b32_e32 v62, 8, v56
	v_cmp_lt_i32_e32 vcc, v62, v61
	v_cndmask_b32_e32 v62, v56, v62, vcc
	v_lshlrev_b32_e32 v70, 2, v62
	s_waitcnt lgkmcnt(0)
	v_max_f32_e32 v3, v3, v3
	v_max_f32_e32 v2, v2, v3
	ds_bpermute_b32 v3, v70, v2
	v_xor_b32_e32 v62, 4, v56
	v_cmp_lt_i32_e32 vcc, v62, v61
	v_cndmask_b32_e32 v62, v56, v62, vcc
	v_lshlrev_b32_e32 v69, 2, v62
	s_waitcnt lgkmcnt(0)
	v_max_f32_e32 v3, v3, v3
	v_max_f32_e32 v2, v2, v3
	;; [unrolled: 8-line block ×4, first 2 shown]
	ds_bpermute_b32 v72, v67, v71
	v_cmp_nlt_f32_e64 s[14:15], |v35|, s20
                                        ; implicit-def: $vgpr73
	s_and_saveexec_b64 s[50:51], s[14:15]
	s_xor_b64 s[14:15], exec, s[50:51]
	s_cbranch_execz .LBB88_22
; %bb.21:                               ;   in Loop: Header=BB88_8 Depth=1
	v_add_f32_e64 v2, |v35|, |v35|
	v_mul_f32_e32 v3, 0x3fb8aa3b, v2
	v_rndne_f32_e32 v61, v3
	v_sub_f32_e32 v62, v3, v61
	v_fma_f32 v3, v2, s21, -v3
	v_fmac_f32_e32 v3, 0x32a5705f, v2
	v_add_f32_e32 v3, v62, v3
	v_cvt_i32_f32_e32 v61, v61
	v_exp_f32_e32 v3, v3
	v_cmp_ngt_f32_e32 vcc, s26, v2
	v_ldexp_f32 v3, v3, v61
	v_cndmask_b32_e32 v3, 0, v3, vcc
	v_cmp_nlt_f32_e32 vcc, s27, v2
	v_cndmask_b32_e32 v2, v55, v3, vcc
	v_add_f32_e32 v2, 1.0, v2
	v_rcp_f32_e32 v2, v2
	v_fma_f32 v73, v2, -2.0, 1.0
.LBB88_22:                              ;   in Loop: Header=BB88_8 Depth=1
	s_andn2_saveexec_b64 s[14:15], s[14:15]
; %bb.23:                               ;   in Loop: Header=BB88_8 Depth=1
	v_mul_f32_e32 v2, v35, v35
	v_mov_b32_e32 v3, 0x3ca908c9
	v_fmac_f32_e32 v3, 0xbbbac73d, v2
	v_fma_f32 v3, v2, v3, v52
	v_fma_f32 v3, v2, v3, v53
	;; [unrolled: 1-line block ×3, first 2 shown]
	v_mul_f32_e64 v3, |v35|, v3
	v_fma_f32 v73, v2, v3, |v35|
; %bb.24:                               ;   in Loop: Header=BB88_8 Depth=1
	s_or_b64 exec, exec, s[14:15]
	v_add_u32_e32 v2, v65, v45
	s_and_b64 vcc, exec, s[6:7]
	v_ashrrev_i32_e32 v3, 31, v2
	s_cbranch_vccnz .LBB88_35
; %bb.25:                               ;   in Loop: Header=BB88_8 Depth=1
	v_lshlrev_b64 v[61:62], 1, v[2:3]
	v_mov_b32_e32 v65, s45
	v_add_co_u32_e32 v61, vcc, s44, v61
	v_addc_co_u32_e32 v62, vcc, v65, v62, vcc
	global_load_ushort v61, v[61:62], off
	s_waitcnt vmcnt(0)
	v_cvt_f32_f16_e32 v61, v61
	v_mul_f32_e32 v61, v28, v61
	v_cmp_nlt_f32_e64 s[14:15], |v36|, s20
                                        ; implicit-def: $vgpr65
	s_and_saveexec_b64 s[50:51], s[14:15]
	s_xor_b64 s[14:15], exec, s[50:51]
	s_cbranch_execz .LBB88_27
.LBB88_26:                              ;   in Loop: Header=BB88_8 Depth=1
	v_add_f32_e64 v62, |v36|, |v36|
	v_mul_f32_e32 v65, 0x3fb8aa3b, v62
	v_rndne_f32_e32 v74, v65
	v_sub_f32_e32 v75, v65, v74
	v_fma_f32 v65, v62, s21, -v65
	v_fmac_f32_e32 v65, 0x32a5705f, v62
	v_add_f32_e32 v65, v75, v65
	v_cvt_i32_f32_e32 v74, v74
	v_exp_f32_e32 v65, v65
	v_cmp_ngt_f32_e32 vcc, s26, v62
	v_ldexp_f32 v65, v65, v74
	v_cndmask_b32_e32 v65, 0, v65, vcc
	v_cmp_nlt_f32_e32 vcc, s27, v62
	v_cndmask_b32_e32 v62, v55, v65, vcc
	v_add_f32_e32 v62, 1.0, v62
	v_rcp_f32_e32 v62, v62
	v_fma_f32 v65, v62, -2.0, 1.0
.LBB88_27:                              ;   in Loop: Header=BB88_8 Depth=1
	s_andn2_saveexec_b64 s[14:15], s[14:15]
	s_cbranch_execz .LBB88_30
; %bb.28:                               ;   in Loop: Header=BB88_8 Depth=1
	v_mul_f32_e32 v62, v36, v36
	v_mov_b32_e32 v65, 0x3ca908c9
	v_fmac_f32_e32 v65, 0xbbbac73d, v62
	v_fma_f32 v65, v62, v65, v52
	v_fma_f32 v65, v62, v65, v53
	;; [unrolled: 1-line block ×3, first 2 shown]
	v_mul_f32_e64 v65, |v36|, v65
	v_fma_f32 v65, v62, v65, |v36|
	s_or_b64 exec, exec, s[14:15]
	s_and_b64 vcc, exec, s[6:7]
	s_cbranch_vccz .LBB88_31
.LBB88_29:                              ;   in Loop: Header=BB88_8 Depth=1
	v_mov_b32_e32 v62, 0
	s_branch .LBB88_32
.LBB88_30:                              ;   in Loop: Header=BB88_8 Depth=1
	s_or_b64 exec, exec, s[14:15]
	s_and_b64 vcc, exec, s[6:7]
	s_cbranch_vccnz .LBB88_29
.LBB88_31:                              ;   in Loop: Header=BB88_8 Depth=1
	v_lshlrev_b64 v[2:3], 1, v[2:3]
	v_mov_b32_e32 v62, s45
	v_add_co_u32_e32 v2, vcc, s44, v2
	v_addc_co_u32_e32 v3, vcc, v62, v3, vcc
	global_load_ushort v2, v[2:3], off offset:64
	s_waitcnt vmcnt(0)
	v_cvt_f32_f16_e32 v2, v2
	v_mul_f32_e32 v62, v28, v2
.LBB88_32:                              ;   in Loop: Header=BB88_8 Depth=1
	v_bfi_b32 v2, s47, v65, v36
	v_bfi_b32 v3, s47, v73, v35
	v_fmac_f32_e32 v61, s23, v3
	v_fmac_f32_e32 v62, s23, v2
	v_add_f32_e32 v3, 0x40051340, v61
	v_add_f32_e32 v2, 0x40051340, v62
	v_max3_f32 v2, v58, v3, v2
	ds_bpermute_b32 v3, v66, v2
	s_waitcnt lgkmcnt(1)
	v_max_f32_e32 v35, v72, v72
	s_mul_hi_i32 s7, s42, s8
	s_mul_i32 s6, s42, s8
	s_lshl_b64 s[6:7], s[6:7], 2
	s_waitcnt lgkmcnt(0)
	v_max_f32_e32 v3, v3, v3
	v_max_f32_e32 v3, v2, v3
	ds_bpermute_b32 v36, v70, v3
	v_max_f32_e32 v2, v71, v71
	v_max_f32_e32 v2, v2, v35
	v_sub_f32_e32 v35, v63, v2
	v_mul_f32_e32 v63, 0x3fb8aa3b, v35
	s_waitcnt lgkmcnt(0)
	v_max_f32_e32 v36, v36, v36
	v_max_f32_e32 v3, v3, v36
	ds_bpermute_b32 v36, v69, v3
	v_fma_f32 v65, v35, s21, -v63
	v_rndne_f32_e32 v66, v63
	v_fmac_f32_e32 v65, 0x32a5705f, v35
	v_sub_f32_e32 v63, v63, v66
	s_waitcnt lgkmcnt(0)
	v_max_f32_e32 v36, v36, v36
	v_max_f32_e32 v3, v3, v36
	ds_bpermute_b32 v36, v68, v3
	v_add_f32_e32 v63, v63, v65
	v_cvt_i32_f32_e32 v66, v66
	v_exp_f32_e32 v63, v63
	v_cmp_ngt_f32_e32 vcc, s26, v35
	s_waitcnt lgkmcnt(0)
	v_max_f32_e32 v36, v36, v36
	v_max_f32_e32 v3, v3, v36
	ds_bpermute_b32 v36, v67, v3
	v_ldexp_f32 v63, v63, v66
	v_sub_f32_e32 v79, v64, v2
	s_add_u32 s6, s40, s6
	s_addc_u32 s7, s41, s7
	s_waitcnt lgkmcnt(0)
	v_max_f32_e32 v36, v36, v36
	v_max_f32_e32 v3, v3, v36
	v_cndmask_b32_e32 v36, 0, v63, vcc
	v_mul_f32_e32 v63, 0x3fb8aa3b, v79
	v_fma_f32 v64, v79, s21, -v63
	v_rndne_f32_e32 v65, v63
	v_fmac_f32_e32 v64, 0x32a5705f, v79
	v_sub_f32_e32 v63, v63, v65
	v_add_f32_e32 v63, v63, v64
	v_exp_f32_e32 v63, v63
	v_cvt_i32_f32_e32 v64, v65
	v_cmp_nlt_f32_e32 vcc, s27, v35
	v_cndmask_b32_e32 v80, v55, v36, vcc
	v_mov_b32_e32 v35, s7
	v_add_co_u32_e32 v36, vcc, s6, v12
	v_ldexp_f32 v82, v63, v64
	v_addc_co_u32_e32 v63, vcc, v35, v13, vcc
	v_add_co_u32_e32 v35, vcc, v36, v51
	v_addc_co_u32_e32 v36, vcc, 0, v63, vcc
	v_mov_b32_e32 v63, s7
	v_add_co_u32_e32 v64, vcc, s6, v14
	v_addc_co_u32_e32 v63, vcc, v63, v15, vcc
	v_add_co_u32_e32 v67, vcc, v64, v51
	v_addc_co_u32_e32 v68, vcc, 0, v63, vcc
	v_mov_b32_e32 v63, s7
	v_add_co_u32_e32 v64, vcc, s6, v16
	;; [unrolled: 5-line block ×3, first 2 shown]
	v_addc_co_u32_e32 v63, vcc, v63, v19, vcc
	v_add_co_u32_e32 v75, vcc, v64, v51
	v_addc_co_u32_e32 v76, vcc, 0, v63, vcc
	s_barrier
	global_load_dwordx4 v[63:66], v[35:36], off
	s_nop 0
	global_load_dwordx4 v[67:70], v[67:68], off
	s_nop 0
	global_load_dwordx4 v[71:74], v[71:72], off
	s_nop 0
	global_load_dwordx4 v[75:78], v[75:76], off
	v_sub_f32_e32 v60, v60, v2
	v_cmp_ngt_f32_e32 vcc, s26, v79
	v_mul_f32_e32 v36, 0x3fb8aa3b, v60
	v_cndmask_b32_e32 v35, 0, v82, vcc
	v_fma_f32 v82, v60, s21, -v36
	v_rndne_f32_e32 v83, v36
	v_fmac_f32_e32 v82, 0x32a5705f, v60
	v_sub_f32_e32 v36, v36, v83
	v_add_f32_e32 v36, v36, v82
	v_exp_f32_e32 v82, v36
	v_cvt_i32_f32_e32 v83, v83
	v_cmp_nlt_f32_e32 vcc, s27, v79
	v_cndmask_b32_e32 v35, v55, v35, vcc
	v_add_f32_e32 v36, v80, v35
	v_cvt_f16_f32_e32 v79, v35
	v_ldexp_f32 v35, v82, v83
	v_cmp_ngt_f32_e32 vcc, s26, v60
	v_cndmask_b32_e32 v35, 0, v35, vcc
	v_cmp_nlt_f32_e32 vcc, s27, v60
	v_cndmask_b32_e32 v35, v55, v35, vcc
	v_fmac_f32_e32 v36, v59, v35
	v_sub_f32_e32 v59, v61, v3
	v_mul_f32_e32 v60, 0x3fb8aa3b, v59
	v_cvt_f16_f32_e32 v81, v80
	v_fma_f32 v61, v59, s21, -v60
	v_rndne_f32_e32 v80, v60
	v_fmac_f32_e32 v61, 0x32a5705f, v59
	v_sub_f32_e32 v60, v60, v80
	v_add_f32_e32 v60, v60, v61
	v_cvt_f16_f32_e32 v35, v35
	v_exp_f32_e32 v60, v60
	v_cvt_i32_f32_e32 v61, v80
	v_cmp_ngt_f32_e32 vcc, s26, v59
	v_mul_u32_u24_e32 v80, 0x10001, v35
	v_sub_f32_e32 v35, v58, v3
	v_ldexp_f32 v58, v60, v61
	v_sub_f32_e32 v60, v62, v3
	v_mul_f32_e32 v61, 0x3fb8aa3b, v60
	v_fma_f32 v62, v60, s21, -v61
	v_rndne_f32_e32 v82, v61
	v_fmac_f32_e32 v62, 0x32a5705f, v60
	v_sub_f32_e32 v61, v61, v82
	v_add_f32_e32 v61, v61, v62
	v_exp_f32_e32 v61, v61
	v_cvt_i32_f32_e32 v62, v82
	v_cndmask_b32_e32 v58, 0, v58, vcc
	v_cmp_nlt_f32_e32 vcc, s27, v59
	v_cndmask_b32_e32 v58, v55, v58, vcc
	v_ldexp_f32 v61, v61, v62
	v_mul_f32_e32 v62, 0x3fb8aa3b, v35
	v_fma_f32 v82, v35, s21, -v62
	v_rndne_f32_e32 v83, v62
	v_fmac_f32_e32 v82, 0x32a5705f, v35
	v_sub_f32_e32 v62, v62, v83
	v_add_f32_e32 v62, v62, v82
	v_exp_f32_e32 v62, v62
	v_cvt_i32_f32_e32 v82, v83
	v_cmp_ngt_f32_e32 vcc, s26, v60
	v_cndmask_b32_e32 v61, 0, v61, vcc
	v_cmp_nlt_f32_e32 vcc, s27, v60
	v_cndmask_b32_e32 v60, v55, v61, vcc
	v_ldexp_f32 v61, v62, v82
	v_cmp_ngt_f32_e32 vcc, s26, v35
	v_cndmask_b32_e32 v61, 0, v61, vcc
	v_cmp_nlt_f32_e32 vcc, s27, v35
	v_cvt_f16_f32_e32 v59, v58
	v_cndmask_b32_e32 v61, v55, v61, vcc
	v_add_f32_e32 v35, v58, v60
	v_cvt_f16_f32_e32 v58, v60
	v_cvt_f16_f32_e32 v62, v61
	v_fmac_f32_e32 v35, v57, v61
	v_add_u32_e32 v57, v46, v23
	v_pack_b32_f16 v59, v81, v59
	v_pack_b32_f16 v58, v79, v58
	v_mul_u32_u24_e32 v82, 0x10001, v62
	ds_write2_b32 v57, v59, v58 offset1:32
	s_waitcnt vmcnt(3)
	ds_write_b128 v47, v[63:66]
	s_waitcnt vmcnt(2)
	ds_write_b128 v48, v[67:70]
	;; [unrolled: 2-line block ×4, first 2 shown]
	s_waitcnt lgkmcnt(0)
	s_barrier
	ds_read_b128 v[57:60], v46
	ds_read2_b64 v[61:64], v25 offset1:32
	ds_read_b128 v[65:68], v46 offset:16
	ds_read_b128 v[69:72], v46 offset:32
	ds_read_b128 v[73:76], v46 offset:48
	s_waitcnt lgkmcnt(4)
	v_mul_u32_u24_sdwa v77, v57, s48 dst_sel:DWORD dst_unused:UNUSED_PAD src0_sel:WORD_0 src1_sel:DWORD
	v_pk_mul_f16 v32, v32, v80
	s_waitcnt lgkmcnt(3)
	v_pk_mul_f16 v78, v61, v77
	v_pk_fma_f16 v27, v27, v80, v78
	v_pk_fma_f16 v32, v62, v77, v32
	ds_read2_b64 v[77:80], v25 offset0:64 offset1:96
	v_mul_u32_u24_sdwa v57, v57, s48 dst_sel:DWORD dst_unused:UNUSED_PAD src0_sel:WORD_1 src1_sel:DWORD
	v_pk_mul_f16 v29, v29, v82
	v_pk_mul_f16 v61, v61, v57
	v_pk_fma_f16 v26, v26, v82, v61
	v_pk_fma_f16 v29, v62, v57, v29
	v_mul_u32_u24_sdwa v57, v58, s48 dst_sel:DWORD dst_unused:UNUSED_PAD src0_sel:WORD_0 src1_sel:DWORD
	v_mul_u32_u24_sdwa v58, v58, s48 dst_sel:DWORD dst_unused:UNUSED_PAD src0_sel:WORD_1 src1_sel:DWORD
	v_pk_fma_f16 v27, v63, v57, v27
	v_pk_fma_f16 v26, v63, v58, v26
	;; [unrolled: 1-line block ×4, first 2 shown]
	v_mul_u32_u24_sdwa v57, v59, s48 dst_sel:DWORD dst_unused:UNUSED_PAD src0_sel:WORD_0 src1_sel:DWORD
	v_mul_u32_u24_sdwa v58, v59, s48 dst_sel:DWORD dst_unused:UNUSED_PAD src0_sel:WORD_1 src1_sel:DWORD
	s_waitcnt lgkmcnt(0)
	v_pk_fma_f16 v27, v77, v57, v27
	v_pk_fma_f16 v26, v77, v58, v26
	;; [unrolled: 1-line block ×4, first 2 shown]
	v_mul_u32_u24_sdwa v61, v60, s48 dst_sel:DWORD dst_unused:UNUSED_PAD src0_sel:WORD_0 src1_sel:DWORD
	v_mul_u32_u24_sdwa v62, v60, s48 dst_sel:DWORD dst_unused:UNUSED_PAD src0_sel:WORD_1 src1_sel:DWORD
	ds_read2_b64 v[57:60], v25 offset0:128 offset1:160
	v_pk_fma_f16 v27, v79, v61, v27
	v_pk_fma_f16 v26, v79, v62, v26
	;; [unrolled: 1-line block ×4, first 2 shown]
	v_mul_u32_u24_sdwa v61, v65, s48 dst_sel:DWORD dst_unused:UNUSED_PAD src0_sel:WORD_0 src1_sel:DWORD
	v_mul_u32_u24_sdwa v62, v65, s48 dst_sel:DWORD dst_unused:UNUSED_PAD src0_sel:WORD_1 src1_sel:DWORD
	s_waitcnt lgkmcnt(0)
	v_pk_fma_f16 v27, v57, v61, v27
	v_pk_fma_f16 v26, v57, v62, v26
	v_pk_fma_f16 v32, v58, v61, v32
	v_pk_fma_f16 v29, v58, v62, v29
	ds_read2_b64 v[61:64], v25 offset0:192 offset1:224
	v_mul_u32_u24_sdwa v57, v66, s48 dst_sel:DWORD dst_unused:UNUSED_PAD src0_sel:WORD_0 src1_sel:DWORD
	v_mul_u32_u24_sdwa v58, v66, s48 dst_sel:DWORD dst_unused:UNUSED_PAD src0_sel:WORD_1 src1_sel:DWORD
	v_pk_fma_f16 v27, v59, v57, v27
	v_pk_fma_f16 v26, v59, v58, v26
	;; [unrolled: 1-line block ×4, first 2 shown]
	v_mul_u32_u24_sdwa v57, v67, s48 dst_sel:DWORD dst_unused:UNUSED_PAD src0_sel:WORD_0 src1_sel:DWORD
	v_mul_u32_u24_sdwa v58, v67, s48 dst_sel:DWORD dst_unused:UNUSED_PAD src0_sel:WORD_1 src1_sel:DWORD
	v_add_u32_e32 v65, 0x800, v25
	s_waitcnt lgkmcnt(0)
	v_pk_fma_f16 v27, v61, v57, v27
	v_pk_fma_f16 v26, v61, v58, v26
	v_pk_fma_f16 v32, v62, v57, v32
	v_pk_fma_f16 v29, v62, v58, v29
	ds_read2_b64 v[57:60], v65 offset1:32
	v_mul_u32_u24_sdwa v61, v68, s48 dst_sel:DWORD dst_unused:UNUSED_PAD src0_sel:WORD_0 src1_sel:DWORD
	v_mul_u32_u24_sdwa v62, v68, s48 dst_sel:DWORD dst_unused:UNUSED_PAD src0_sel:WORD_1 src1_sel:DWORD
	v_pk_fma_f16 v27, v63, v61, v27
	v_pk_fma_f16 v26, v63, v62, v26
	v_pk_fma_f16 v32, v64, v61, v32
	v_pk_fma_f16 v29, v64, v62, v29
	v_mul_u32_u24_sdwa v61, v69, s48 dst_sel:DWORD dst_unused:UNUSED_PAD src0_sel:WORD_0 src1_sel:DWORD
	v_mul_u32_u24_sdwa v62, v69, s48 dst_sel:DWORD dst_unused:UNUSED_PAD src0_sel:WORD_1 src1_sel:DWORD
	s_waitcnt lgkmcnt(0)
	v_pk_fma_f16 v27, v57, v61, v27
	v_pk_fma_f16 v26, v57, v62, v26
	v_pk_fma_f16 v32, v58, v61, v32
	v_pk_fma_f16 v29, v58, v62, v29
	ds_read2_b64 v[61:64], v65 offset0:64 offset1:96
	v_mul_u32_u24_sdwa v57, v70, s48 dst_sel:DWORD dst_unused:UNUSED_PAD src0_sel:WORD_0 src1_sel:DWORD
	v_mul_u32_u24_sdwa v58, v70, s48 dst_sel:DWORD dst_unused:UNUSED_PAD src0_sel:WORD_1 src1_sel:DWORD
	v_pk_fma_f16 v27, v59, v57, v27
	v_pk_fma_f16 v26, v59, v58, v26
	v_pk_fma_f16 v32, v60, v57, v32
	v_pk_fma_f16 v29, v60, v58, v29
	v_mul_u32_u24_sdwa v57, v71, s48 dst_sel:DWORD dst_unused:UNUSED_PAD src0_sel:WORD_0 src1_sel:DWORD
	v_mul_u32_u24_sdwa v58, v71, s48 dst_sel:DWORD dst_unused:UNUSED_PAD src0_sel:WORD_1 src1_sel:DWORD
	s_waitcnt lgkmcnt(0)
	v_pk_fma_f16 v27, v61, v57, v27
	v_pk_fma_f16 v26, v61, v58, v26
	v_pk_fma_f16 v32, v62, v57, v32
	v_pk_fma_f16 v29, v62, v58, v29
	ds_read2_b64 v[57:60], v65 offset0:128 offset1:160
	;; [unrolled: 14-line block ×3, first 2 shown]
	v_mul_u32_u24_sdwa v57, v74, s48 dst_sel:DWORD dst_unused:UNUSED_PAD src0_sel:WORD_0 src1_sel:DWORD
	v_mul_u32_u24_sdwa v58, v74, s48 dst_sel:DWORD dst_unused:UNUSED_PAD src0_sel:WORD_1 src1_sel:DWORD
	v_pk_fma_f16 v27, v59, v57, v27
	v_pk_fma_f16 v32, v60, v57, v32
	v_mul_u32_u24_sdwa v57, v75, s48 dst_sel:DWORD dst_unused:UNUSED_PAD src0_sel:WORD_0 src1_sel:DWORD
	v_pk_fma_f16 v26, v59, v58, v26
	v_pk_fma_f16 v29, v60, v58, v29
	v_mul_u32_u24_sdwa v58, v75, s48 dst_sel:DWORD dst_unused:UNUSED_PAD src0_sel:WORD_1 src1_sel:DWORD
	s_waitcnt lgkmcnt(0)
	v_pk_fma_f16 v27, v61, v57, v27
	v_pk_fma_f16 v32, v62, v57, v32
	v_mul_u32_u24_sdwa v57, v76, s48 dst_sel:DWORD dst_unused:UNUSED_PAD src0_sel:WORD_0 src1_sel:DWORD
	v_pk_fma_f16 v26, v61, v58, v26
	v_pk_fma_f16 v29, v62, v58, v29
	;; [unrolled: 1-line block ×4, first 2 shown]
	ds_read_b128 v[57:60], v46 offset:64
	v_add_u32_e32 v73, 0x1000, v25
	ds_read2_b64 v[65:68], v73 offset1:32
	v_mul_u32_u24_sdwa v61, v76, s48 dst_sel:DWORD dst_unused:UNUSED_PAD src0_sel:WORD_1 src1_sel:DWORD
	v_pk_fma_f16 v26, v63, v61, v26
	v_pk_fma_f16 v29, v64, v61, v29
	ds_read_b128 v[61:64], v46 offset:80
	s_waitcnt lgkmcnt(2)
	v_mul_u32_u24_sdwa v69, v57, s48 dst_sel:DWORD dst_unused:UNUSED_PAD src0_sel:WORD_0 src1_sel:DWORD
	s_waitcnt lgkmcnt(1)
	v_pk_fma_f16 v27, v65, v69, v27
	v_pk_fma_f16 v32, v66, v69, v32
	ds_read2_b64 v[69:72], v73 offset0:64 offset1:96
	v_mul_u32_u24_sdwa v57, v57, s48 dst_sel:DWORD dst_unused:UNUSED_PAD src0_sel:WORD_1 src1_sel:DWORD
	v_pk_fma_f16 v26, v65, v57, v26
	v_pk_fma_f16 v29, v66, v57, v29
	v_mul_u32_u24_sdwa v57, v58, s48 dst_sel:DWORD dst_unused:UNUSED_PAD src0_sel:WORD_0 src1_sel:DWORD
	v_mul_u32_u24_sdwa v58, v58, s48 dst_sel:DWORD dst_unused:UNUSED_PAD src0_sel:WORD_1 src1_sel:DWORD
	v_pk_fma_f16 v27, v67, v57, v27
	v_pk_fma_f16 v26, v67, v58, v26
	;; [unrolled: 1-line block ×4, first 2 shown]
	v_mul_u32_u24_sdwa v57, v59, s48 dst_sel:DWORD dst_unused:UNUSED_PAD src0_sel:WORD_0 src1_sel:DWORD
	v_mul_u32_u24_sdwa v58, v59, s48 dst_sel:DWORD dst_unused:UNUSED_PAD src0_sel:WORD_1 src1_sel:DWORD
	s_waitcnt lgkmcnt(0)
	v_pk_fma_f16 v27, v69, v57, v27
	v_pk_fma_f16 v26, v69, v58, v26
	;; [unrolled: 1-line block ×4, first 2 shown]
	v_mul_u32_u24_sdwa v65, v60, s48 dst_sel:DWORD dst_unused:UNUSED_PAD src0_sel:WORD_0 src1_sel:DWORD
	v_mul_u32_u24_sdwa v66, v60, s48 dst_sel:DWORD dst_unused:UNUSED_PAD src0_sel:WORD_1 src1_sel:DWORD
	ds_read2_b64 v[57:60], v73 offset0:128 offset1:160
	v_pk_fma_f16 v27, v71, v65, v27
	v_pk_fma_f16 v32, v72, v65, v32
	v_mul_u32_u24_sdwa v65, v61, s48 dst_sel:DWORD dst_unused:UNUSED_PAD src0_sel:WORD_0 src1_sel:DWORD
	v_pk_fma_f16 v26, v71, v66, v26
	v_pk_fma_f16 v29, v72, v66, v29
	s_waitcnt lgkmcnt(0)
	v_pk_fma_f16 v27, v57, v65, v27
	v_pk_fma_f16 v32, v58, v65, v32
	ds_read2_b64 v[65:68], v73 offset0:192 offset1:224
	v_mul_u32_u24_sdwa v61, v61, s48 dst_sel:DWORD dst_unused:UNUSED_PAD src0_sel:WORD_1 src1_sel:DWORD
	v_pk_fma_f16 v26, v57, v61, v26
	v_mul_u32_u24_sdwa v57, v62, s48 dst_sel:DWORD dst_unused:UNUSED_PAD src0_sel:WORD_0 src1_sel:DWORD
	v_pk_fma_f16 v29, v58, v61, v29
	v_mul_u32_u24_sdwa v58, v62, s48 dst_sel:DWORD dst_unused:UNUSED_PAD src0_sel:WORD_1 src1_sel:DWORD
	v_pk_fma_f16 v27, v59, v57, v27
	v_pk_fma_f16 v32, v60, v57, v32
	v_mul_u32_u24_sdwa v57, v63, s48 dst_sel:DWORD dst_unused:UNUSED_PAD src0_sel:WORD_0 src1_sel:DWORD
	v_pk_fma_f16 v26, v59, v58, v26
	v_pk_fma_f16 v29, v60, v58, v29
	v_mul_u32_u24_sdwa v58, v63, s48 dst_sel:DWORD dst_unused:UNUSED_PAD src0_sel:WORD_1 src1_sel:DWORD
	s_waitcnt lgkmcnt(0)
	v_pk_fma_f16 v27, v65, v57, v27
	v_pk_fma_f16 v32, v66, v57, v32
	v_mul_u32_u24_sdwa v57, v64, s48 dst_sel:DWORD dst_unused:UNUSED_PAD src0_sel:WORD_0 src1_sel:DWORD
	v_pk_fma_f16 v26, v65, v58, v26
	v_pk_fma_f16 v29, v66, v58, v29
	;; [unrolled: 1-line block ×4, first 2 shown]
	ds_read_b128 v[57:60], v46 offset:96
	v_add_u32_e32 v73, 0x1800, v25
	v_mul_u32_u24_sdwa v65, v64, s48 dst_sel:DWORD dst_unused:UNUSED_PAD src0_sel:WORD_1 src1_sel:DWORD
	ds_read2_b64 v[61:64], v73 offset1:32
	v_pk_fma_f16 v26, v67, v65, v26
	v_pk_fma_f16 v29, v68, v65, v29
	ds_read_b128 v[65:68], v46 offset:112
	s_waitcnt lgkmcnt(2)
	v_mul_u32_u24_sdwa v69, v57, s48 dst_sel:DWORD dst_unused:UNUSED_PAD src0_sel:WORD_0 src1_sel:DWORD
	s_waitcnt lgkmcnt(1)
	v_pk_fma_f16 v27, v61, v69, v27
	v_pk_fma_f16 v32, v62, v69, v32
	ds_read2_b64 v[69:72], v73 offset0:64 offset1:96
	v_mul_u32_u24_sdwa v57, v57, s48 dst_sel:DWORD dst_unused:UNUSED_PAD src0_sel:WORD_1 src1_sel:DWORD
	v_pk_fma_f16 v26, v61, v57, v26
	v_pk_fma_f16 v29, v62, v57, v29
	v_mul_u32_u24_sdwa v57, v58, s48 dst_sel:DWORD dst_unused:UNUSED_PAD src0_sel:WORD_0 src1_sel:DWORD
	v_mul_u32_u24_sdwa v58, v58, s48 dst_sel:DWORD dst_unused:UNUSED_PAD src0_sel:WORD_1 src1_sel:DWORD
	v_pk_fma_f16 v27, v63, v57, v27
	v_pk_fma_f16 v26, v63, v58, v26
	;; [unrolled: 1-line block ×4, first 2 shown]
	v_mul_u32_u24_sdwa v57, v59, s48 dst_sel:DWORD dst_unused:UNUSED_PAD src0_sel:WORD_0 src1_sel:DWORD
	v_mul_u32_u24_sdwa v58, v59, s48 dst_sel:DWORD dst_unused:UNUSED_PAD src0_sel:WORD_1 src1_sel:DWORD
	s_waitcnt lgkmcnt(0)
	v_pk_fma_f16 v27, v69, v57, v27
	v_pk_fma_f16 v26, v69, v58, v26
	;; [unrolled: 1-line block ×4, first 2 shown]
	v_mul_u32_u24_sdwa v61, v60, s48 dst_sel:DWORD dst_unused:UNUSED_PAD src0_sel:WORD_0 src1_sel:DWORD
	v_mul_u32_u24_sdwa v62, v60, s48 dst_sel:DWORD dst_unused:UNUSED_PAD src0_sel:WORD_1 src1_sel:DWORD
	ds_read2_b64 v[57:60], v73 offset0:128 offset1:160
	v_pk_fma_f16 v27, v71, v61, v27
	v_pk_fma_f16 v26, v71, v62, v26
	v_pk_fma_f16 v32, v72, v61, v32
	v_pk_fma_f16 v29, v72, v62, v29
	v_mul_u32_u24_sdwa v61, v65, s48 dst_sel:DWORD dst_unused:UNUSED_PAD src0_sel:WORD_0 src1_sel:DWORD
	v_mul_u32_u24_sdwa v62, v65, s48 dst_sel:DWORD dst_unused:UNUSED_PAD src0_sel:WORD_1 src1_sel:DWORD
	s_waitcnt lgkmcnt(0)
	v_pk_fma_f16 v27, v57, v61, v27
	v_pk_fma_f16 v26, v57, v62, v26
	;; [unrolled: 1-line block ×4, first 2 shown]
	ds_read2_b64 v[61:64], v73 offset0:192 offset1:224
	v_mul_u32_u24_sdwa v57, v66, s48 dst_sel:DWORD dst_unused:UNUSED_PAD src0_sel:WORD_0 src1_sel:DWORD
	v_mul_u32_u24_sdwa v58, v66, s48 dst_sel:DWORD dst_unused:UNUSED_PAD src0_sel:WORD_1 src1_sel:DWORD
	v_pk_fma_f16 v27, v59, v57, v27
	v_pk_fma_f16 v32, v60, v57, v32
	v_mul_u32_u24_sdwa v57, v67, s48 dst_sel:DWORD dst_unused:UNUSED_PAD src0_sel:WORD_0 src1_sel:DWORD
	v_pk_fma_f16 v26, v59, v58, v26
	v_pk_fma_f16 v29, v60, v58, v29
	v_mul_u32_u24_sdwa v58, v67, s48 dst_sel:DWORD dst_unused:UNUSED_PAD src0_sel:WORD_1 src1_sel:DWORD
	s_waitcnt lgkmcnt(0)
	v_pk_fma_f16 v27, v61, v57, v27
	v_pk_fma_f16 v32, v62, v57, v32
	v_mul_u32_u24_sdwa v57, v68, s48 dst_sel:DWORD dst_unused:UNUSED_PAD src0_sel:WORD_0 src1_sel:DWORD
	v_pk_fma_f16 v26, v61, v58, v26
	v_pk_fma_f16 v29, v62, v58, v29
	;; [unrolled: 1-line block ×4, first 2 shown]
	ds_read_b128 v[57:60], v46 offset:128
	v_add_u32_e32 v73, 0x2000, v25
	v_mul_u32_u24_sdwa v61, v68, s48 dst_sel:DWORD dst_unused:UNUSED_PAD src0_sel:WORD_1 src1_sel:DWORD
	ds_read2_b64 v[65:68], v73 offset1:32
	v_pk_fma_f16 v26, v63, v61, v26
	v_pk_fma_f16 v29, v64, v61, v29
	ds_read_b128 v[61:64], v46 offset:144
	s_waitcnt lgkmcnt(2)
	v_mul_u32_u24_sdwa v69, v57, s48 dst_sel:DWORD dst_unused:UNUSED_PAD src0_sel:WORD_0 src1_sel:DWORD
	s_waitcnt lgkmcnt(1)
	v_pk_fma_f16 v27, v65, v69, v27
	v_pk_fma_f16 v32, v66, v69, v32
	ds_read2_b64 v[69:72], v73 offset0:64 offset1:96
	v_mul_u32_u24_sdwa v57, v57, s48 dst_sel:DWORD dst_unused:UNUSED_PAD src0_sel:WORD_1 src1_sel:DWORD
	v_pk_fma_f16 v26, v65, v57, v26
	v_pk_fma_f16 v29, v66, v57, v29
	v_mul_u32_u24_sdwa v57, v58, s48 dst_sel:DWORD dst_unused:UNUSED_PAD src0_sel:WORD_0 src1_sel:DWORD
	v_mul_u32_u24_sdwa v58, v58, s48 dst_sel:DWORD dst_unused:UNUSED_PAD src0_sel:WORD_1 src1_sel:DWORD
	v_pk_fma_f16 v27, v67, v57, v27
	v_pk_fma_f16 v26, v67, v58, v26
	;; [unrolled: 1-line block ×4, first 2 shown]
	v_mul_u32_u24_sdwa v57, v59, s48 dst_sel:DWORD dst_unused:UNUSED_PAD src0_sel:WORD_0 src1_sel:DWORD
	v_mul_u32_u24_sdwa v58, v59, s48 dst_sel:DWORD dst_unused:UNUSED_PAD src0_sel:WORD_1 src1_sel:DWORD
	s_waitcnt lgkmcnt(0)
	v_pk_fma_f16 v27, v69, v57, v27
	v_pk_fma_f16 v26, v69, v58, v26
	v_pk_fma_f16 v32, v70, v57, v32
	v_pk_fma_f16 v29, v70, v58, v29
	v_mul_u32_u24_sdwa v65, v60, s48 dst_sel:DWORD dst_unused:UNUSED_PAD src0_sel:WORD_0 src1_sel:DWORD
	v_mul_u32_u24_sdwa v66, v60, s48 dst_sel:DWORD dst_unused:UNUSED_PAD src0_sel:WORD_1 src1_sel:DWORD
	ds_read2_b64 v[57:60], v73 offset0:128 offset1:160
	v_pk_fma_f16 v27, v71, v65, v27
	v_pk_fma_f16 v32, v72, v65, v32
	v_mul_u32_u24_sdwa v65, v61, s48 dst_sel:DWORD dst_unused:UNUSED_PAD src0_sel:WORD_0 src1_sel:DWORD
	v_pk_fma_f16 v26, v71, v66, v26
	v_pk_fma_f16 v29, v72, v66, v29
	s_waitcnt lgkmcnt(0)
	v_pk_fma_f16 v27, v57, v65, v27
	v_pk_fma_f16 v32, v58, v65, v32
	ds_read2_b64 v[65:68], v73 offset0:192 offset1:224
	v_mul_u32_u24_sdwa v61, v61, s48 dst_sel:DWORD dst_unused:UNUSED_PAD src0_sel:WORD_1 src1_sel:DWORD
	v_pk_fma_f16 v26, v57, v61, v26
	v_mul_u32_u24_sdwa v57, v62, s48 dst_sel:DWORD dst_unused:UNUSED_PAD src0_sel:WORD_0 src1_sel:DWORD
	v_pk_fma_f16 v29, v58, v61, v29
	v_mul_u32_u24_sdwa v58, v62, s48 dst_sel:DWORD dst_unused:UNUSED_PAD src0_sel:WORD_1 src1_sel:DWORD
	v_pk_fma_f16 v27, v59, v57, v27
	v_pk_fma_f16 v32, v60, v57, v32
	v_mul_u32_u24_sdwa v57, v63, s48 dst_sel:DWORD dst_unused:UNUSED_PAD src0_sel:WORD_0 src1_sel:DWORD
	v_pk_fma_f16 v26, v59, v58, v26
	v_pk_fma_f16 v29, v60, v58, v29
	v_mul_u32_u24_sdwa v58, v63, s48 dst_sel:DWORD dst_unused:UNUSED_PAD src0_sel:WORD_1 src1_sel:DWORD
	s_waitcnt lgkmcnt(0)
	v_pk_fma_f16 v27, v65, v57, v27
	v_pk_fma_f16 v32, v66, v57, v32
	v_mul_u32_u24_sdwa v57, v64, s48 dst_sel:DWORD dst_unused:UNUSED_PAD src0_sel:WORD_0 src1_sel:DWORD
	v_pk_fma_f16 v26, v65, v58, v26
	v_pk_fma_f16 v29, v66, v58, v29
	;; [unrolled: 1-line block ×4, first 2 shown]
	ds_read_b128 v[57:60], v46 offset:160
	v_add_u32_e32 v73, 0x2800, v25
	v_mul_u32_u24_sdwa v65, v64, s48 dst_sel:DWORD dst_unused:UNUSED_PAD src0_sel:WORD_1 src1_sel:DWORD
	ds_read2_b64 v[61:64], v73 offset1:32
	v_pk_fma_f16 v26, v67, v65, v26
	v_pk_fma_f16 v29, v68, v65, v29
	ds_read_b128 v[65:68], v46 offset:176
	s_waitcnt lgkmcnt(2)
	v_mul_u32_u24_sdwa v69, v57, s48 dst_sel:DWORD dst_unused:UNUSED_PAD src0_sel:WORD_0 src1_sel:DWORD
	s_waitcnt lgkmcnt(1)
	v_pk_fma_f16 v27, v61, v69, v27
	v_pk_fma_f16 v32, v62, v69, v32
	ds_read2_b64 v[69:72], v73 offset0:64 offset1:96
	v_mul_u32_u24_sdwa v57, v57, s48 dst_sel:DWORD dst_unused:UNUSED_PAD src0_sel:WORD_1 src1_sel:DWORD
	v_pk_fma_f16 v26, v61, v57, v26
	v_pk_fma_f16 v29, v62, v57, v29
	v_mul_u32_u24_sdwa v57, v58, s48 dst_sel:DWORD dst_unused:UNUSED_PAD src0_sel:WORD_0 src1_sel:DWORD
	v_mul_u32_u24_sdwa v58, v58, s48 dst_sel:DWORD dst_unused:UNUSED_PAD src0_sel:WORD_1 src1_sel:DWORD
	v_pk_fma_f16 v27, v63, v57, v27
	v_pk_fma_f16 v26, v63, v58, v26
	;; [unrolled: 1-line block ×4, first 2 shown]
	v_mul_u32_u24_sdwa v57, v59, s48 dst_sel:DWORD dst_unused:UNUSED_PAD src0_sel:WORD_0 src1_sel:DWORD
	v_mul_u32_u24_sdwa v58, v59, s48 dst_sel:DWORD dst_unused:UNUSED_PAD src0_sel:WORD_1 src1_sel:DWORD
	s_waitcnt lgkmcnt(0)
	v_pk_fma_f16 v27, v69, v57, v27
	v_pk_fma_f16 v26, v69, v58, v26
	;; [unrolled: 1-line block ×4, first 2 shown]
	v_mul_u32_u24_sdwa v61, v60, s48 dst_sel:DWORD dst_unused:UNUSED_PAD src0_sel:WORD_0 src1_sel:DWORD
	v_mul_u32_u24_sdwa v62, v60, s48 dst_sel:DWORD dst_unused:UNUSED_PAD src0_sel:WORD_1 src1_sel:DWORD
	ds_read2_b64 v[57:60], v73 offset0:128 offset1:160
	v_pk_fma_f16 v27, v71, v61, v27
	v_pk_fma_f16 v26, v71, v62, v26
	;; [unrolled: 1-line block ×4, first 2 shown]
	v_mul_u32_u24_sdwa v61, v65, s48 dst_sel:DWORD dst_unused:UNUSED_PAD src0_sel:WORD_0 src1_sel:DWORD
	v_mul_u32_u24_sdwa v62, v65, s48 dst_sel:DWORD dst_unused:UNUSED_PAD src0_sel:WORD_1 src1_sel:DWORD
	s_waitcnt lgkmcnt(0)
	v_pk_fma_f16 v27, v57, v61, v27
	v_pk_fma_f16 v26, v57, v62, v26
	v_pk_fma_f16 v32, v58, v61, v32
	v_pk_fma_f16 v29, v58, v62, v29
	ds_read2_b64 v[61:64], v73 offset0:192 offset1:224
	v_mul_u32_u24_sdwa v57, v66, s48 dst_sel:DWORD dst_unused:UNUSED_PAD src0_sel:WORD_0 src1_sel:DWORD
	v_mul_u32_u24_sdwa v58, v66, s48 dst_sel:DWORD dst_unused:UNUSED_PAD src0_sel:WORD_1 src1_sel:DWORD
	v_pk_fma_f16 v27, v59, v57, v27
	v_pk_fma_f16 v32, v60, v57, v32
	v_mul_u32_u24_sdwa v57, v67, s48 dst_sel:DWORD dst_unused:UNUSED_PAD src0_sel:WORD_0 src1_sel:DWORD
	v_pk_fma_f16 v26, v59, v58, v26
	v_pk_fma_f16 v29, v60, v58, v29
	v_mul_u32_u24_sdwa v58, v67, s48 dst_sel:DWORD dst_unused:UNUSED_PAD src0_sel:WORD_1 src1_sel:DWORD
	s_waitcnt lgkmcnt(0)
	v_pk_fma_f16 v27, v61, v57, v27
	v_pk_fma_f16 v32, v62, v57, v32
	v_mul_u32_u24_sdwa v57, v68, s48 dst_sel:DWORD dst_unused:UNUSED_PAD src0_sel:WORD_0 src1_sel:DWORD
	v_pk_fma_f16 v26, v61, v58, v26
	v_pk_fma_f16 v29, v62, v58, v29
	;; [unrolled: 1-line block ×4, first 2 shown]
	ds_read_b128 v[57:60], v46 offset:192
	v_add_u32_e32 v73, 0x3000, v25
	v_mul_u32_u24_sdwa v61, v68, s48 dst_sel:DWORD dst_unused:UNUSED_PAD src0_sel:WORD_1 src1_sel:DWORD
	ds_read2_b64 v[65:68], v73 offset1:32
	v_pk_fma_f16 v26, v63, v61, v26
	v_pk_fma_f16 v29, v64, v61, v29
	ds_read_b128 v[61:64], v46 offset:208
	s_waitcnt lgkmcnt(2)
	v_mul_u32_u24_sdwa v69, v57, s48 dst_sel:DWORD dst_unused:UNUSED_PAD src0_sel:WORD_0 src1_sel:DWORD
	s_waitcnt lgkmcnt(1)
	v_pk_fma_f16 v27, v65, v69, v27
	v_pk_fma_f16 v32, v66, v69, v32
	ds_read2_b64 v[69:72], v73 offset0:64 offset1:96
	v_mul_u32_u24_sdwa v57, v57, s48 dst_sel:DWORD dst_unused:UNUSED_PAD src0_sel:WORD_1 src1_sel:DWORD
	v_pk_fma_f16 v26, v65, v57, v26
	v_pk_fma_f16 v29, v66, v57, v29
	v_mul_u32_u24_sdwa v57, v58, s48 dst_sel:DWORD dst_unused:UNUSED_PAD src0_sel:WORD_0 src1_sel:DWORD
	v_mul_u32_u24_sdwa v58, v58, s48 dst_sel:DWORD dst_unused:UNUSED_PAD src0_sel:WORD_1 src1_sel:DWORD
	v_pk_fma_f16 v27, v67, v57, v27
	v_pk_fma_f16 v26, v67, v58, v26
	;; [unrolled: 1-line block ×4, first 2 shown]
	v_mul_u32_u24_sdwa v57, v59, s48 dst_sel:DWORD dst_unused:UNUSED_PAD src0_sel:WORD_0 src1_sel:DWORD
	v_mul_u32_u24_sdwa v58, v59, s48 dst_sel:DWORD dst_unused:UNUSED_PAD src0_sel:WORD_1 src1_sel:DWORD
	s_waitcnt lgkmcnt(0)
	v_pk_fma_f16 v27, v69, v57, v27
	v_pk_fma_f16 v26, v69, v58, v26
	;; [unrolled: 1-line block ×4, first 2 shown]
	v_mul_u32_u24_sdwa v65, v60, s48 dst_sel:DWORD dst_unused:UNUSED_PAD src0_sel:WORD_0 src1_sel:DWORD
	v_mul_u32_u24_sdwa v66, v60, s48 dst_sel:DWORD dst_unused:UNUSED_PAD src0_sel:WORD_1 src1_sel:DWORD
	ds_read2_b64 v[57:60], v73 offset0:128 offset1:160
	v_pk_fma_f16 v27, v71, v65, v27
	v_pk_fma_f16 v32, v72, v65, v32
	v_mul_u32_u24_sdwa v65, v61, s48 dst_sel:DWORD dst_unused:UNUSED_PAD src0_sel:WORD_0 src1_sel:DWORD
	v_pk_fma_f16 v26, v71, v66, v26
	v_pk_fma_f16 v29, v72, v66, v29
	s_waitcnt lgkmcnt(0)
	v_pk_fma_f16 v27, v57, v65, v27
	v_pk_fma_f16 v32, v58, v65, v32
	ds_read2_b64 v[65:68], v73 offset0:192 offset1:224
	v_mul_u32_u24_sdwa v61, v61, s48 dst_sel:DWORD dst_unused:UNUSED_PAD src0_sel:WORD_1 src1_sel:DWORD
	v_pk_fma_f16 v26, v57, v61, v26
	v_mul_u32_u24_sdwa v57, v62, s48 dst_sel:DWORD dst_unused:UNUSED_PAD src0_sel:WORD_0 src1_sel:DWORD
	v_pk_fma_f16 v29, v58, v61, v29
	v_mul_u32_u24_sdwa v58, v62, s48 dst_sel:DWORD dst_unused:UNUSED_PAD src0_sel:WORD_1 src1_sel:DWORD
	v_pk_fma_f16 v27, v59, v57, v27
	v_pk_fma_f16 v32, v60, v57, v32
	v_mul_u32_u24_sdwa v57, v63, s48 dst_sel:DWORD dst_unused:UNUSED_PAD src0_sel:WORD_0 src1_sel:DWORD
	v_pk_fma_f16 v26, v59, v58, v26
	v_pk_fma_f16 v29, v60, v58, v29
	v_mul_u32_u24_sdwa v58, v63, s48 dst_sel:DWORD dst_unused:UNUSED_PAD src0_sel:WORD_1 src1_sel:DWORD
	s_waitcnt lgkmcnt(0)
	v_pk_fma_f16 v27, v65, v57, v27
	v_pk_fma_f16 v32, v66, v57, v32
	v_mul_u32_u24_sdwa v57, v64, s48 dst_sel:DWORD dst_unused:UNUSED_PAD src0_sel:WORD_0 src1_sel:DWORD
	v_pk_fma_f16 v26, v65, v58, v26
	v_pk_fma_f16 v29, v66, v58, v29
	v_pk_fma_f16 v27, v67, v57, v27
	v_pk_fma_f16 v32, v68, v57, v32
	ds_read_b128 v[57:60], v46 offset:224
	v_add_u32_e32 v73, 0x3800, v25
	v_mul_u32_u24_sdwa v65, v64, s48 dst_sel:DWORD dst_unused:UNUSED_PAD src0_sel:WORD_1 src1_sel:DWORD
	ds_read2_b64 v[61:64], v73 offset1:32
	v_pk_fma_f16 v26, v67, v65, v26
	v_pk_fma_f16 v29, v68, v65, v29
	ds_read_b128 v[65:68], v46 offset:240
	s_waitcnt lgkmcnt(2)
	v_mul_u32_u24_sdwa v69, v57, s48 dst_sel:DWORD dst_unused:UNUSED_PAD src0_sel:WORD_0 src1_sel:DWORD
	s_waitcnt lgkmcnt(1)
	v_pk_fma_f16 v27, v61, v69, v27
	v_pk_fma_f16 v32, v62, v69, v32
	ds_read2_b64 v[69:72], v73 offset0:64 offset1:96
	v_mul_u32_u24_sdwa v57, v57, s48 dst_sel:DWORD dst_unused:UNUSED_PAD src0_sel:WORD_1 src1_sel:DWORD
	v_pk_fma_f16 v26, v61, v57, v26
	v_pk_fma_f16 v29, v62, v57, v29
	v_mul_u32_u24_sdwa v57, v58, s48 dst_sel:DWORD dst_unused:UNUSED_PAD src0_sel:WORD_0 src1_sel:DWORD
	v_mul_u32_u24_sdwa v58, v58, s48 dst_sel:DWORD dst_unused:UNUSED_PAD src0_sel:WORD_1 src1_sel:DWORD
	v_pk_fma_f16 v27, v63, v57, v27
	v_pk_fma_f16 v26, v63, v58, v26
	;; [unrolled: 1-line block ×4, first 2 shown]
	v_mul_u32_u24_sdwa v57, v59, s48 dst_sel:DWORD dst_unused:UNUSED_PAD src0_sel:WORD_0 src1_sel:DWORD
	v_mul_u32_u24_sdwa v58, v59, s48 dst_sel:DWORD dst_unused:UNUSED_PAD src0_sel:WORD_1 src1_sel:DWORD
	s_waitcnt lgkmcnt(0)
	v_pk_fma_f16 v27, v69, v57, v27
	v_pk_fma_f16 v26, v69, v58, v26
	;; [unrolled: 1-line block ×4, first 2 shown]
	v_mul_u32_u24_sdwa v61, v60, s48 dst_sel:DWORD dst_unused:UNUSED_PAD src0_sel:WORD_0 src1_sel:DWORD
	v_mul_u32_u24_sdwa v62, v60, s48 dst_sel:DWORD dst_unused:UNUSED_PAD src0_sel:WORD_1 src1_sel:DWORD
	ds_read2_b64 v[57:60], v73 offset0:128 offset1:160
	v_pk_fma_f16 v27, v71, v61, v27
	v_pk_fma_f16 v26, v71, v62, v26
	;; [unrolled: 1-line block ×4, first 2 shown]
	v_mul_u32_u24_sdwa v61, v65, s48 dst_sel:DWORD dst_unused:UNUSED_PAD src0_sel:WORD_0 src1_sel:DWORD
	v_mul_u32_u24_sdwa v62, v65, s48 dst_sel:DWORD dst_unused:UNUSED_PAD src0_sel:WORD_1 src1_sel:DWORD
	s_waitcnt lgkmcnt(0)
	v_pk_fma_f16 v27, v57, v61, v27
	v_pk_fma_f16 v26, v57, v62, v26
	;; [unrolled: 1-line block ×4, first 2 shown]
	ds_read2_b64 v[61:64], v73 offset0:192 offset1:224
	s_waitcnt lgkmcnt(0)
	s_barrier
	s_load_dword s6, s[12:13], 0x4
	v_mul_u32_u24_sdwa v57, v66, s48 dst_sel:DWORD dst_unused:UNUSED_PAD src0_sel:WORD_0 src1_sel:DWORD
	v_mul_u32_u24_sdwa v58, v66, s48 dst_sel:DWORD dst_unused:UNUSED_PAD src0_sel:WORD_1 src1_sel:DWORD
	v_pk_fma_f16 v27, v59, v57, v27
	v_pk_fma_f16 v26, v59, v58, v26
	;; [unrolled: 1-line block ×4, first 2 shown]
	v_mul_u32_u24_sdwa v57, v67, s48 dst_sel:DWORD dst_unused:UNUSED_PAD src0_sel:WORD_0 src1_sel:DWORD
	v_mul_u32_u24_sdwa v58, v67, s48 dst_sel:DWORD dst_unused:UNUSED_PAD src0_sel:WORD_1 src1_sel:DWORD
	s_waitcnt lgkmcnt(0)
	s_lshl_b32 s6, s6, 6
	v_pk_fma_f16 v27, v61, v57, v27
	v_pk_fma_f16 v26, v61, v58, v26
	;; [unrolled: 1-line block ×4, first 2 shown]
	v_mul_u32_u24_sdwa v57, v68, s48 dst_sel:DWORD dst_unused:UNUSED_PAD src0_sel:WORD_0 src1_sel:DWORD
	v_mul_u32_u24_sdwa v58, v68, s48 dst_sel:DWORD dst_unused:UNUSED_PAD src0_sel:WORD_1 src1_sel:DWORD
	s_add_i32 s42, s6, s42
	v_pk_fma_f16 v27, v63, v57, v27
	v_pk_fma_f16 v26, v63, v58, v26
	;; [unrolled: 1-line block ×3, first 2 shown]
	s_cmp_lt_i32 s42, s19
	v_pk_fma_f16 v29, v64, v58, v29
	s_cbranch_scc0 .LBB88_37
; %bb.33:                               ;   in Loop: Header=BB88_8 Depth=1
	v_mov_b32_e32 v60, v2
	v_mov_b32_e32 v58, v3
	;; [unrolled: 1-line block ×4, first 2 shown]
	s_branch .LBB88_8
.LBB88_34:                              ;   in Loop: Header=BB88_8 Depth=1
	v_mov_b32_e32 v63, 0
	v_cmp_nlt_f32_e64 s[14:15], |v62|, s20
                                        ; implicit-def: $vgpr67
	s_and_saveexec_b64 s[50:51], s[14:15]
	s_xor_b64 s[14:15], exec, s[50:51]
	s_cbranch_execz .LBB88_15
	s_branch .LBB88_14
.LBB88_35:                              ;   in Loop: Header=BB88_8 Depth=1
	v_mov_b32_e32 v61, 0
	v_cmp_nlt_f32_e64 s[14:15], |v36|, s20
                                        ; implicit-def: $vgpr65
	s_and_saveexec_b64 s[50:51], s[14:15]
	s_xor_b64 s[14:15], exec, s[50:51]
	s_cbranch_execz .LBB88_27
	s_branch .LBB88_26
.LBB88_36:
	v_mov_b32_e32 v2, 0xfeffffff
	v_mov_b32_e32 v3, v2
	;; [unrolled: 1-line block ×7, first 2 shown]
.LBB88_37:
	s_cmp_gt_i32 s46, s42
	s_cbranch_scc1 .LBB88_39
; %bb.38:
	v_mbcnt_hi_u32_b32 v7, -1, v31
	v_and_b32_e32 v4, 0x60, v7
	v_add_u32_e32 v8, 32, v4
	v_xor_b32_e32 v10, 16, v7
	v_xor_b32_e32 v9, 8, v7
	;; [unrolled: 1-line block ×5, first 2 shown]
	s_cbranch_execz .LBB88_40
	s_branch .LBB88_77
.LBB88_39:
                                        ; implicit-def: $vgpr7
                                        ; implicit-def: $vgpr8
                                        ; implicit-def: $vgpr10
                                        ; implicit-def: $vgpr9
                                        ; implicit-def: $vgpr11
                                        ; implicit-def: $vgpr12
                                        ; implicit-def: $vgpr13
.LBB88_40:
	v_add_u32_e32 v16, v38, v22
	v_mul_lo_u32 v9, s16, v16
	s_mul_hi_i32 s11, s42, s16
	s_mul_i32 s10, s42, s16
	s_mov_b64 s[6:7], src_private_base
	s_sub_i32 s46, s46, s42
	s_lshl_b64 s[10:11], s[10:11], 2
	v_ashrrev_i32_e32 v10, 31, v9
	s_add_u32 s6, s18, s10
	v_lshlrev_b64 v[5:6], 2, v[9:10]
	s_addc_u32 s14, s17, s11
	v_mov_b32_e32 v7, s14
	v_add_co_u32_e32 v5, vcc, s6, v5
	v_lshlrev_b32_e32 v4, 2, v37
	v_addc_co_u32_e32 v6, vcc, v7, v6, vcc
	v_add_co_u32_e32 v5, vcc, v5, v4
	v_mov_b32_e32 v14, 0
	v_addc_co_u32_e32 v6, vcc, 0, v6, vcc
	v_mov_b32_e32 v12, s7
	v_cmp_gt_i32_e64 s[10:11], s46, v16
	v_mov_b32_e32 v13, 0
	buffer_store_dword v14, off, s[0:3], 0
	buffer_store_dword v14, off, s[0:3], 0 offset:4
	buffer_store_dword v14, off, s[0:3], 0 offset:8
	;; [unrolled: 1-line block ×3, first 2 shown]
	v_cndmask_b32_e64 v6, v12, v6, s[10:11]
	v_cndmask_b32_e64 v5, v13, v5, s[10:11]
	flat_load_dwordx4 v[5:8], v[5:6]
	s_movk_i32 s7, 0x110
	v_mad_u32_u24 v15, v16, s7, v4
	s_lshl_b32 s7, s16, 4
	v_add_u32_e32 v9, s7, v9
	v_ashrrev_i32_e32 v10, 31, v9
	v_lshlrev_b64 v[10:11], 2, v[9:10]
	v_mov_b32_e32 v17, s14
	v_add_co_u32_e32 v10, vcc, s6, v10
	v_addc_co_u32_e32 v11, vcc, v17, v11, vcc
	v_add_u32_e32 v18, 16, v16
	v_add_co_u32_e32 v10, vcc, v10, v4
	v_addc_co_u32_e32 v11, vcc, 0, v11, vcc
	v_cmp_gt_i32_e64 s[12:13], s46, v18
	buffer_store_dword v14, off, s[0:3], 0
	buffer_store_dword v14, off, s[0:3], 0 offset:4
	buffer_store_dword v14, off, s[0:3], 0 offset:8
	;; [unrolled: 1-line block ×3, first 2 shown]
	v_cndmask_b32_e64 v11, v12, v11, s[12:13]
	v_cndmask_b32_e64 v10, v13, v10, s[12:13]
	v_add_u32_e32 v9, s7, v9
	v_add_u32_e32 v19, 32, v16
	v_cmp_gt_i32_e64 s[20:21], s46, v19
	v_add_u32_e32 v37, 48, v16
	s_waitcnt vmcnt(0) lgkmcnt(0)
	ds_write_b128 v15, v[5:8]
	flat_load_dwordx4 v[5:8], v[10:11]
	v_ashrrev_i32_e32 v10, 31, v9
	v_lshlrev_b64 v[10:11], 2, v[9:10]
	buffer_store_dword v14, off, s[0:3], 0
	buffer_store_dword v14, off, s[0:3], 0 offset:4
	buffer_store_dword v14, off, s[0:3], 0 offset:8
	;; [unrolled: 1-line block ×3, first 2 shown]
	v_add_co_u32_e32 v10, vcc, s6, v10
	v_addc_co_u32_e32 v11, vcc, v17, v11, vcc
	v_add_co_u32_e32 v10, vcc, v10, v4
	v_addc_co_u32_e32 v11, vcc, 0, v11, vcc
	v_cndmask_b32_e64 v11, v12, v11, s[20:21]
	v_cndmask_b32_e64 v10, v13, v10, s[20:21]
	v_add_u32_e32 v9, s7, v9
	s_waitcnt vmcnt(0) lgkmcnt(0)
	ds_write_b128 v15, v[5:8] offset:4352
	flat_load_dwordx4 v[5:8], v[10:11]
	v_ashrrev_i32_e32 v10, 31, v9
	v_lshlrev_b64 v[9:10], 2, v[9:10]
	v_mov_b32_e32 v11, s14
	v_add_co_u32_e32 v9, vcc, s6, v9
	v_addc_co_u32_e32 v10, vcc, v11, v10, vcc
	v_add_co_u32_e32 v9, vcc, v9, v4
	v_addc_co_u32_e32 v10, vcc, 0, v10, vcc
	v_cmp_gt_i32_e64 s[6:7], s46, v37
	v_cndmask_b32_e64 v10, v12, v10, s[6:7]
	v_cndmask_b32_e64 v9, v13, v9, s[6:7]
	buffer_store_dword v14, off, s[0:3], 0
	buffer_store_dword v14, off, s[0:3], 0 offset:4
	buffer_store_dword v14, off, s[0:3], 0 offset:8
	buffer_store_dword v14, off, s[0:3], 0 offset:12
	s_mov_b32 s14, 0x3f200000
	s_waitcnt vmcnt(0) lgkmcnt(0)
	ds_write_b128 v15, v[5:8] offset:8704
	flat_load_dwordx4 v[7:10], v[9:10]
	v_mul_u32_u24_e32 v6, 0x110, v0
	v_mov_b32_e32 v5, 0
	s_waitcnt vmcnt(0) lgkmcnt(0)
	ds_write_b128 v15, v[7:10] offset:13056
	s_waitcnt lgkmcnt(0)
	s_barrier
	ds_read_b128 v[8:11], v6
	ds_read_b128 v[38:41], v33 offset:17408
	ds_read_b128 v[42:45], v6 offset:8704
	;; [unrolled: 1-line block ×3, first 2 shown]
	s_waitcnt lgkmcnt(2)
	;;#ASMSTART
	v_dot2_f32_f16 v5, v8, v38, v5
	;;#ASMEND
	;;#ASMSTART
	v_dot2_f32_f16 v5, v9, v39, v5
	;;#ASMEND
	v_mov_b32_e32 v15, 0
	;;#ASMSTART
	v_dot2_f32_f16 v5, v10, v40, v5
	;;#ASMEND
	;;#ASMSTART
	v_dot2_f32_f16 v5, v11, v41, v5
	;;#ASMEND
	s_waitcnt lgkmcnt(0)
	;;#ASMSTART
	v_dot2_f32_f16 v15, v8, v46, v15
	;;#ASMEND
	;;#ASMSTART
	v_dot2_f32_f16 v15, v9, v47, v15
	;;#ASMEND
	v_mov_b32_e32 v7, 0
	;;#ASMSTART
	v_dot2_f32_f16 v15, v10, v48, v15
	;;#ASMEND
	;;#ASMSTART
	v_dot2_f32_f16 v15, v11, v49, v15
	;;#ASMEND
	;;#ASMSTART
	v_dot2_f32_f16 v7, v42, v38, v7
	;;#ASMEND
	;;#ASMSTART
	v_dot2_f32_f16 v7, v43, v39, v7
	;;#ASMEND
	;;#ASMSTART
	v_dot2_f32_f16 v7, v44, v40, v7
	;;#ASMEND
	;;#ASMSTART
	v_dot2_f32_f16 v7, v45, v41, v7
	;;#ASMEND
	;;#ASMSTART
	v_dot2_f32_f16 v14, v42, v46, v14
	;;#ASMEND
	;;#ASMSTART
	v_dot2_f32_f16 v14, v43, v47, v14
	;;#ASMEND
	;;#ASMSTART
	v_dot2_f32_f16 v14, v44, v48, v14
	;;#ASMEND
	;;#ASMSTART
	v_dot2_f32_f16 v14, v45, v49, v14
	;;#ASMEND
	ds_read_b128 v[8:11], v33 offset:17424
	ds_read_b128 v[38:41], v6 offset:16
	ds_read_b128 v[42:45], v6 offset:8720
	ds_read_b128 v[46:49], v33 offset:17680
	s_waitcnt lgkmcnt(2)
	;;#ASMSTART
	v_dot2_f32_f16 v5, v38, v8, v5
	;;#ASMEND
	;;#ASMSTART
	v_dot2_f32_f16 v5, v39, v9, v5
	;;#ASMEND
	;;#ASMSTART
	v_dot2_f32_f16 v5, v40, v10, v5
	;;#ASMEND
	;;#ASMSTART
	v_dot2_f32_f16 v5, v41, v11, v5
	;;#ASMEND
	s_waitcnt lgkmcnt(0)
	;;#ASMSTART
	v_dot2_f32_f16 v15, v38, v46, v15
	;;#ASMEND
	;;#ASMSTART
	v_dot2_f32_f16 v15, v39, v47, v15
	;;#ASMEND
	;;#ASMSTART
	v_dot2_f32_f16 v15, v40, v48, v15
	;;#ASMEND
	;;#ASMSTART
	v_dot2_f32_f16 v15, v41, v49, v15
	;;#ASMEND
	;;#ASMSTART
	v_dot2_f32_f16 v7, v42, v8, v7
	;;#ASMEND
	;;#ASMSTART
	v_dot2_f32_f16 v7, v43, v9, v7
	;;#ASMEND
	;;#ASMSTART
	v_dot2_f32_f16 v7, v44, v10, v7
	;;#ASMEND
	;;#ASMSTART
	v_dot2_f32_f16 v7, v45, v11, v7
	;;#ASMEND
	;;#ASMSTART
	v_dot2_f32_f16 v14, v42, v46, v14
	;;#ASMEND
	;;#ASMSTART
	v_dot2_f32_f16 v14, v43, v47, v14
	;;#ASMEND
	;;#ASMSTART
	v_dot2_f32_f16 v14, v44, v48, v14
	;;#ASMEND
	;;#ASMSTART
	v_dot2_f32_f16 v14, v45, v49, v14
	;;#ASMEND
	ds_read_b128 v[8:11], v33 offset:17440
	ds_read_b128 v[38:41], v6 offset:32
	ds_read_b128 v[42:45], v6 offset:8736
	ds_read_b128 v[46:49], v33 offset:17696
	s_waitcnt lgkmcnt(2)
	;;#ASMSTART
	v_dot2_f32_f16 v5, v38, v8, v5
	;;#ASMEND
	;;#ASMSTART
	v_dot2_f32_f16 v5, v39, v9, v5
	;;#ASMEND
	;;#ASMSTART
	v_dot2_f32_f16 v5, v40, v10, v5
	;;#ASMEND
	;;#ASMSTART
	v_dot2_f32_f16 v5, v41, v11, v5
	;;#ASMEND
	s_waitcnt lgkmcnt(0)
	;;#ASMSTART
	v_dot2_f32_f16 v15, v38, v46, v15
	;;#ASMEND
	;;#ASMSTART
	v_dot2_f32_f16 v15, v39, v47, v15
	;;#ASMEND
	;;#ASMSTART
	v_dot2_f32_f16 v15, v40, v48, v15
	;;#ASMEND
	;;#ASMSTART
	v_dot2_f32_f16 v15, v41, v49, v15
	;;#ASMEND
	;;#ASMSTART
	v_dot2_f32_f16 v7, v42, v8, v7
	;;#ASMEND
	;;#ASMSTART
	v_dot2_f32_f16 v7, v43, v9, v7
	;;#ASMEND
	;;#ASMSTART
	v_dot2_f32_f16 v7, v44, v10, v7
	;;#ASMEND
	;;#ASMSTART
	v_dot2_f32_f16 v7, v45, v11, v7
	;;#ASMEND
	;;#ASMSTART
	v_dot2_f32_f16 v14, v42, v46, v14
	;;#ASMEND
	;;#ASMSTART
	v_dot2_f32_f16 v14, v43, v47, v14
	;;#ASMEND
	;;#ASMSTART
	v_dot2_f32_f16 v14, v44, v48, v14
	;;#ASMEND
	;;#ASMSTART
	v_dot2_f32_f16 v14, v45, v49, v14
	;;#ASMEND
	ds_read_b128 v[8:11], v33 offset:17456
	ds_read_b128 v[38:41], v6 offset:48
	ds_read_b128 v[42:45], v6 offset:8752
	ds_read_b128 v[46:49], v33 offset:17712
	s_waitcnt lgkmcnt(2)
	;;#ASMSTART
	v_dot2_f32_f16 v5, v38, v8, v5
	;;#ASMEND
	;;#ASMSTART
	v_dot2_f32_f16 v5, v39, v9, v5
	;;#ASMEND
	;;#ASMSTART
	v_dot2_f32_f16 v5, v40, v10, v5
	;;#ASMEND
	;;#ASMSTART
	v_dot2_f32_f16 v5, v41, v11, v5
	;;#ASMEND
	s_waitcnt lgkmcnt(0)
	;;#ASMSTART
	v_dot2_f32_f16 v15, v38, v46, v15
	;;#ASMEND
	;;#ASMSTART
	v_dot2_f32_f16 v15, v39, v47, v15
	;;#ASMEND
	;;#ASMSTART
	v_dot2_f32_f16 v15, v40, v48, v15
	;;#ASMEND
	;;#ASMSTART
	v_dot2_f32_f16 v15, v41, v49, v15
	;;#ASMEND
	;;#ASMSTART
	v_dot2_f32_f16 v7, v42, v8, v7
	;;#ASMEND
	;;#ASMSTART
	v_dot2_f32_f16 v7, v43, v9, v7
	;;#ASMEND
	;;#ASMSTART
	v_dot2_f32_f16 v7, v44, v10, v7
	;;#ASMEND
	;;#ASMSTART
	v_dot2_f32_f16 v7, v45, v11, v7
	;;#ASMEND
	;;#ASMSTART
	v_dot2_f32_f16 v14, v42, v46, v14
	;;#ASMEND
	;;#ASMSTART
	v_dot2_f32_f16 v14, v43, v47, v14
	;;#ASMEND
	;;#ASMSTART
	v_dot2_f32_f16 v14, v44, v48, v14
	;;#ASMEND
	;;#ASMSTART
	v_dot2_f32_f16 v14, v45, v49, v14
	;;#ASMEND
	ds_read_b128 v[8:11], v33 offset:17472
	ds_read_b128 v[38:41], v6 offset:64
	ds_read_b128 v[42:45], v6 offset:8768
	ds_read_b128 v[46:49], v33 offset:17728
	s_waitcnt lgkmcnt(2)
	;;#ASMSTART
	v_dot2_f32_f16 v5, v38, v8, v5
	;;#ASMEND
	;;#ASMSTART
	v_dot2_f32_f16 v5, v39, v9, v5
	;;#ASMEND
	;;#ASMSTART
	v_dot2_f32_f16 v5, v40, v10, v5
	;;#ASMEND
	;;#ASMSTART
	v_dot2_f32_f16 v5, v41, v11, v5
	;;#ASMEND
	s_waitcnt lgkmcnt(0)
	;;#ASMSTART
	v_dot2_f32_f16 v15, v38, v46, v15
	;;#ASMEND
	;;#ASMSTART
	v_dot2_f32_f16 v15, v39, v47, v15
	;;#ASMEND
	;;#ASMSTART
	v_dot2_f32_f16 v15, v40, v48, v15
	;;#ASMEND
	;;#ASMSTART
	v_dot2_f32_f16 v15, v41, v49, v15
	;;#ASMEND
	;;#ASMSTART
	v_dot2_f32_f16 v7, v42, v8, v7
	;;#ASMEND
	;;#ASMSTART
	v_dot2_f32_f16 v7, v43, v9, v7
	;;#ASMEND
	;;#ASMSTART
	v_dot2_f32_f16 v7, v44, v10, v7
	;;#ASMEND
	;;#ASMSTART
	v_dot2_f32_f16 v7, v45, v11, v7
	;;#ASMEND
	;;#ASMSTART
	v_dot2_f32_f16 v14, v42, v46, v14
	;;#ASMEND
	;;#ASMSTART
	v_dot2_f32_f16 v14, v43, v47, v14
	;;#ASMEND
	;;#ASMSTART
	v_dot2_f32_f16 v14, v44, v48, v14
	;;#ASMEND
	;;#ASMSTART
	v_dot2_f32_f16 v14, v45, v49, v14
	;;#ASMEND
	ds_read_b128 v[8:11], v33 offset:17488
	ds_read_b128 v[38:41], v6 offset:80
	ds_read_b128 v[42:45], v6 offset:8784
	ds_read_b128 v[46:49], v33 offset:17744
	s_waitcnt lgkmcnt(2)
	;;#ASMSTART
	v_dot2_f32_f16 v5, v38, v8, v5
	;;#ASMEND
	;;#ASMSTART
	v_dot2_f32_f16 v5, v39, v9, v5
	;;#ASMEND
	;;#ASMSTART
	v_dot2_f32_f16 v5, v40, v10, v5
	;;#ASMEND
	;;#ASMSTART
	v_dot2_f32_f16 v5, v41, v11, v5
	;;#ASMEND
	s_waitcnt lgkmcnt(0)
	;;#ASMSTART
	v_dot2_f32_f16 v15, v38, v46, v15
	;;#ASMEND
	;;#ASMSTART
	v_dot2_f32_f16 v15, v39, v47, v15
	;;#ASMEND
	;;#ASMSTART
	v_dot2_f32_f16 v15, v40, v48, v15
	;;#ASMEND
	;;#ASMSTART
	v_dot2_f32_f16 v15, v41, v49, v15
	;;#ASMEND
	;;#ASMSTART
	v_dot2_f32_f16 v7, v42, v8, v7
	;;#ASMEND
	;;#ASMSTART
	v_dot2_f32_f16 v7, v43, v9, v7
	;;#ASMEND
	;;#ASMSTART
	v_dot2_f32_f16 v7, v44, v10, v7
	;;#ASMEND
	;;#ASMSTART
	v_dot2_f32_f16 v7, v45, v11, v7
	;;#ASMEND
	;;#ASMSTART
	v_dot2_f32_f16 v14, v42, v46, v14
	;;#ASMEND
	;;#ASMSTART
	v_dot2_f32_f16 v14, v43, v47, v14
	;;#ASMEND
	;;#ASMSTART
	v_dot2_f32_f16 v14, v44, v48, v14
	;;#ASMEND
	;;#ASMSTART
	v_dot2_f32_f16 v14, v45, v49, v14
	;;#ASMEND
	ds_read_b128 v[8:11], v33 offset:17504
	ds_read_b128 v[38:41], v6 offset:96
	ds_read_b128 v[42:45], v6 offset:8800
	ds_read_b128 v[46:49], v33 offset:17760
	s_waitcnt lgkmcnt(2)
	;;#ASMSTART
	v_dot2_f32_f16 v5, v38, v8, v5
	;;#ASMEND
	;;#ASMSTART
	v_dot2_f32_f16 v5, v39, v9, v5
	;;#ASMEND
	;;#ASMSTART
	v_dot2_f32_f16 v5, v40, v10, v5
	;;#ASMEND
	;;#ASMSTART
	v_dot2_f32_f16 v5, v41, v11, v5
	;;#ASMEND
	s_waitcnt lgkmcnt(0)
	;;#ASMSTART
	v_dot2_f32_f16 v15, v38, v46, v15
	;;#ASMEND
	;;#ASMSTART
	v_dot2_f32_f16 v15, v39, v47, v15
	;;#ASMEND
	;;#ASMSTART
	v_dot2_f32_f16 v15, v40, v48, v15
	;;#ASMEND
	;;#ASMSTART
	v_dot2_f32_f16 v15, v41, v49, v15
	;;#ASMEND
	;;#ASMSTART
	v_dot2_f32_f16 v7, v42, v8, v7
	;;#ASMEND
	;;#ASMSTART
	v_dot2_f32_f16 v7, v43, v9, v7
	;;#ASMEND
	;;#ASMSTART
	v_dot2_f32_f16 v7, v44, v10, v7
	;;#ASMEND
	;;#ASMSTART
	v_dot2_f32_f16 v7, v45, v11, v7
	;;#ASMEND
	;;#ASMSTART
	v_dot2_f32_f16 v14, v42, v46, v14
	;;#ASMEND
	;;#ASMSTART
	v_dot2_f32_f16 v14, v43, v47, v14
	;;#ASMEND
	;;#ASMSTART
	v_dot2_f32_f16 v14, v44, v48, v14
	;;#ASMEND
	;;#ASMSTART
	v_dot2_f32_f16 v14, v45, v49, v14
	;;#ASMEND
	ds_read_b128 v[8:11], v33 offset:17520
	ds_read_b128 v[38:41], v6 offset:112
	ds_read_b128 v[42:45], v6 offset:8816
	ds_read_b128 v[46:49], v33 offset:17776
	s_waitcnt lgkmcnt(2)
	;;#ASMSTART
	v_dot2_f32_f16 v5, v38, v8, v5
	;;#ASMEND
	;;#ASMSTART
	v_dot2_f32_f16 v5, v39, v9, v5
	;;#ASMEND
	;;#ASMSTART
	v_dot2_f32_f16 v5, v40, v10, v5
	;;#ASMEND
	;;#ASMSTART
	v_dot2_f32_f16 v5, v41, v11, v5
	;;#ASMEND
	s_waitcnt lgkmcnt(0)
	;;#ASMSTART
	v_dot2_f32_f16 v15, v38, v46, v15
	;;#ASMEND
	;;#ASMSTART
	v_dot2_f32_f16 v15, v39, v47, v15
	;;#ASMEND
	;;#ASMSTART
	v_dot2_f32_f16 v15, v40, v48, v15
	;;#ASMEND
	;;#ASMSTART
	v_dot2_f32_f16 v15, v41, v49, v15
	;;#ASMEND
	;;#ASMSTART
	v_dot2_f32_f16 v7, v42, v8, v7
	;;#ASMEND
	;;#ASMSTART
	v_dot2_f32_f16 v7, v43, v9, v7
	;;#ASMEND
	;;#ASMSTART
	v_dot2_f32_f16 v7, v44, v10, v7
	;;#ASMEND
	;;#ASMSTART
	v_dot2_f32_f16 v7, v45, v11, v7
	;;#ASMEND
	;;#ASMSTART
	v_dot2_f32_f16 v14, v42, v46, v14
	;;#ASMEND
	;;#ASMSTART
	v_dot2_f32_f16 v14, v43, v47, v14
	;;#ASMEND
	;;#ASMSTART
	v_dot2_f32_f16 v14, v44, v48, v14
	;;#ASMEND
	;;#ASMSTART
	v_dot2_f32_f16 v14, v45, v49, v14
	;;#ASMEND
	ds_read_b128 v[8:11], v33 offset:17536
	ds_read_b128 v[38:41], v6 offset:128
	ds_read_b128 v[42:45], v6 offset:8832
	ds_read_b128 v[46:49], v33 offset:17792
	s_waitcnt lgkmcnt(2)
	;;#ASMSTART
	v_dot2_f32_f16 v5, v38, v8, v5
	;;#ASMEND
	;;#ASMSTART
	v_dot2_f32_f16 v5, v39, v9, v5
	;;#ASMEND
	;;#ASMSTART
	v_dot2_f32_f16 v5, v40, v10, v5
	;;#ASMEND
	;;#ASMSTART
	v_dot2_f32_f16 v5, v41, v11, v5
	;;#ASMEND
	s_waitcnt lgkmcnt(0)
	;;#ASMSTART
	v_dot2_f32_f16 v15, v38, v46, v15
	;;#ASMEND
	;;#ASMSTART
	v_dot2_f32_f16 v15, v39, v47, v15
	;;#ASMEND
	;;#ASMSTART
	v_dot2_f32_f16 v15, v40, v48, v15
	;;#ASMEND
	;;#ASMSTART
	v_dot2_f32_f16 v15, v41, v49, v15
	;;#ASMEND
	;;#ASMSTART
	v_dot2_f32_f16 v7, v42, v8, v7
	;;#ASMEND
	;;#ASMSTART
	v_dot2_f32_f16 v7, v43, v9, v7
	;;#ASMEND
	;;#ASMSTART
	v_dot2_f32_f16 v7, v44, v10, v7
	;;#ASMEND
	;;#ASMSTART
	v_dot2_f32_f16 v7, v45, v11, v7
	;;#ASMEND
	;;#ASMSTART
	v_dot2_f32_f16 v14, v42, v46, v14
	;;#ASMEND
	;;#ASMSTART
	v_dot2_f32_f16 v14, v43, v47, v14
	;;#ASMEND
	;;#ASMSTART
	v_dot2_f32_f16 v14, v44, v48, v14
	;;#ASMEND
	;;#ASMSTART
	v_dot2_f32_f16 v14, v45, v49, v14
	;;#ASMEND
	ds_read_b128 v[8:11], v33 offset:17552
	ds_read_b128 v[38:41], v6 offset:144
	ds_read_b128 v[42:45], v6 offset:8848
	ds_read_b128 v[46:49], v33 offset:17808
	s_waitcnt lgkmcnt(2)
	;;#ASMSTART
	v_dot2_f32_f16 v5, v38, v8, v5
	;;#ASMEND
	;;#ASMSTART
	v_dot2_f32_f16 v5, v39, v9, v5
	;;#ASMEND
	;;#ASMSTART
	v_dot2_f32_f16 v5, v40, v10, v5
	;;#ASMEND
	;;#ASMSTART
	v_dot2_f32_f16 v5, v41, v11, v5
	;;#ASMEND
	s_waitcnt lgkmcnt(0)
	;;#ASMSTART
	v_dot2_f32_f16 v15, v38, v46, v15
	;;#ASMEND
	;;#ASMSTART
	v_dot2_f32_f16 v15, v39, v47, v15
	;;#ASMEND
	;;#ASMSTART
	v_dot2_f32_f16 v15, v40, v48, v15
	;;#ASMEND
	;;#ASMSTART
	v_dot2_f32_f16 v15, v41, v49, v15
	;;#ASMEND
	;;#ASMSTART
	v_dot2_f32_f16 v7, v42, v8, v7
	;;#ASMEND
	;;#ASMSTART
	v_dot2_f32_f16 v7, v43, v9, v7
	;;#ASMEND
	;;#ASMSTART
	v_dot2_f32_f16 v7, v44, v10, v7
	;;#ASMEND
	;;#ASMSTART
	v_dot2_f32_f16 v7, v45, v11, v7
	;;#ASMEND
	;;#ASMSTART
	v_dot2_f32_f16 v14, v42, v46, v14
	;;#ASMEND
	;;#ASMSTART
	v_dot2_f32_f16 v14, v43, v47, v14
	;;#ASMEND
	;;#ASMSTART
	v_dot2_f32_f16 v14, v44, v48, v14
	;;#ASMEND
	;;#ASMSTART
	v_dot2_f32_f16 v14, v45, v49, v14
	;;#ASMEND
	ds_read_b128 v[8:11], v33 offset:17568
	ds_read_b128 v[38:41], v6 offset:160
	ds_read_b128 v[42:45], v6 offset:8864
	ds_read_b128 v[46:49], v33 offset:17824
	s_waitcnt lgkmcnt(2)
	;;#ASMSTART
	v_dot2_f32_f16 v5, v38, v8, v5
	;;#ASMEND
	;;#ASMSTART
	v_dot2_f32_f16 v5, v39, v9, v5
	;;#ASMEND
	;;#ASMSTART
	v_dot2_f32_f16 v5, v40, v10, v5
	;;#ASMEND
	;;#ASMSTART
	v_dot2_f32_f16 v5, v41, v11, v5
	;;#ASMEND
	s_waitcnt lgkmcnt(0)
	;;#ASMSTART
	v_dot2_f32_f16 v15, v38, v46, v15
	;;#ASMEND
	;;#ASMSTART
	v_dot2_f32_f16 v15, v39, v47, v15
	;;#ASMEND
	;;#ASMSTART
	v_dot2_f32_f16 v15, v40, v48, v15
	;;#ASMEND
	;;#ASMSTART
	v_dot2_f32_f16 v15, v41, v49, v15
	;;#ASMEND
	;;#ASMSTART
	v_dot2_f32_f16 v7, v42, v8, v7
	;;#ASMEND
	;;#ASMSTART
	v_dot2_f32_f16 v7, v43, v9, v7
	;;#ASMEND
	;;#ASMSTART
	v_dot2_f32_f16 v7, v44, v10, v7
	;;#ASMEND
	;;#ASMSTART
	v_dot2_f32_f16 v7, v45, v11, v7
	;;#ASMEND
	;;#ASMSTART
	v_dot2_f32_f16 v14, v42, v46, v14
	;;#ASMEND
	;;#ASMSTART
	v_dot2_f32_f16 v14, v43, v47, v14
	;;#ASMEND
	;;#ASMSTART
	v_dot2_f32_f16 v14, v44, v48, v14
	;;#ASMEND
	;;#ASMSTART
	v_dot2_f32_f16 v14, v45, v49, v14
	;;#ASMEND
	ds_read_b128 v[8:11], v33 offset:17584
	ds_read_b128 v[38:41], v6 offset:176
	ds_read_b128 v[42:45], v6 offset:8880
	ds_read_b128 v[46:49], v33 offset:17840
	s_waitcnt lgkmcnt(2)
	;;#ASMSTART
	v_dot2_f32_f16 v5, v38, v8, v5
	;;#ASMEND
	;;#ASMSTART
	v_dot2_f32_f16 v5, v39, v9, v5
	;;#ASMEND
	;;#ASMSTART
	v_dot2_f32_f16 v5, v40, v10, v5
	;;#ASMEND
	;;#ASMSTART
	v_dot2_f32_f16 v5, v41, v11, v5
	;;#ASMEND
	s_waitcnt lgkmcnt(0)
	;;#ASMSTART
	v_dot2_f32_f16 v15, v38, v46, v15
	;;#ASMEND
	;;#ASMSTART
	v_dot2_f32_f16 v15, v39, v47, v15
	;;#ASMEND
	;;#ASMSTART
	v_dot2_f32_f16 v15, v40, v48, v15
	;;#ASMEND
	;;#ASMSTART
	v_dot2_f32_f16 v15, v41, v49, v15
	;;#ASMEND
	;;#ASMSTART
	v_dot2_f32_f16 v7, v42, v8, v7
	;;#ASMEND
	;;#ASMSTART
	v_dot2_f32_f16 v7, v43, v9, v7
	;;#ASMEND
	;;#ASMSTART
	v_dot2_f32_f16 v7, v44, v10, v7
	;;#ASMEND
	;;#ASMSTART
	v_dot2_f32_f16 v7, v45, v11, v7
	;;#ASMEND
	;;#ASMSTART
	v_dot2_f32_f16 v14, v42, v46, v14
	;;#ASMEND
	;;#ASMSTART
	v_dot2_f32_f16 v14, v43, v47, v14
	;;#ASMEND
	;;#ASMSTART
	v_dot2_f32_f16 v14, v44, v48, v14
	;;#ASMEND
	;;#ASMSTART
	v_dot2_f32_f16 v14, v45, v49, v14
	;;#ASMEND
	ds_read_b128 v[8:11], v33 offset:17600
	ds_read_b128 v[38:41], v6 offset:192
	ds_read_b128 v[42:45], v6 offset:8896
	ds_read_b128 v[46:49], v33 offset:17856
	s_waitcnt lgkmcnt(2)
	;;#ASMSTART
	v_dot2_f32_f16 v5, v38, v8, v5
	;;#ASMEND
	;;#ASMSTART
	v_dot2_f32_f16 v5, v39, v9, v5
	;;#ASMEND
	;;#ASMSTART
	v_dot2_f32_f16 v5, v40, v10, v5
	;;#ASMEND
	;;#ASMSTART
	v_dot2_f32_f16 v5, v41, v11, v5
	;;#ASMEND
	s_waitcnt lgkmcnt(0)
	;;#ASMSTART
	v_dot2_f32_f16 v15, v38, v46, v15
	;;#ASMEND
	;;#ASMSTART
	v_dot2_f32_f16 v15, v39, v47, v15
	;;#ASMEND
	;;#ASMSTART
	v_dot2_f32_f16 v15, v40, v48, v15
	;;#ASMEND
	;;#ASMSTART
	v_dot2_f32_f16 v15, v41, v49, v15
	;;#ASMEND
	;;#ASMSTART
	v_dot2_f32_f16 v7, v42, v8, v7
	;;#ASMEND
	;;#ASMSTART
	v_dot2_f32_f16 v7, v43, v9, v7
	;;#ASMEND
	;;#ASMSTART
	v_dot2_f32_f16 v7, v44, v10, v7
	;;#ASMEND
	;;#ASMSTART
	v_dot2_f32_f16 v7, v45, v11, v7
	;;#ASMEND
	;;#ASMSTART
	v_dot2_f32_f16 v14, v42, v46, v14
	;;#ASMEND
	;;#ASMSTART
	v_dot2_f32_f16 v14, v43, v47, v14
	;;#ASMEND
	;;#ASMSTART
	v_dot2_f32_f16 v14, v44, v48, v14
	;;#ASMEND
	;;#ASMSTART
	v_dot2_f32_f16 v14, v45, v49, v14
	;;#ASMEND
	ds_read_b128 v[8:11], v33 offset:17616
	ds_read_b128 v[38:41], v6 offset:208
	ds_read_b128 v[42:45], v6 offset:8912
	ds_read_b128 v[46:49], v33 offset:17872
	s_waitcnt lgkmcnt(2)
	;;#ASMSTART
	v_dot2_f32_f16 v5, v38, v8, v5
	;;#ASMEND
	;;#ASMSTART
	v_dot2_f32_f16 v5, v39, v9, v5
	;;#ASMEND
	;;#ASMSTART
	v_dot2_f32_f16 v5, v40, v10, v5
	;;#ASMEND
	;;#ASMSTART
	v_dot2_f32_f16 v5, v41, v11, v5
	;;#ASMEND
	s_waitcnt lgkmcnt(0)
	;;#ASMSTART
	v_dot2_f32_f16 v15, v38, v46, v15
	;;#ASMEND
	;;#ASMSTART
	v_dot2_f32_f16 v15, v39, v47, v15
	;;#ASMEND
	;;#ASMSTART
	v_dot2_f32_f16 v15, v40, v48, v15
	;;#ASMEND
	;;#ASMSTART
	v_dot2_f32_f16 v15, v41, v49, v15
	;;#ASMEND
	;;#ASMSTART
	v_dot2_f32_f16 v7, v42, v8, v7
	;;#ASMEND
	;;#ASMSTART
	v_dot2_f32_f16 v7, v43, v9, v7
	;;#ASMEND
	;;#ASMSTART
	v_dot2_f32_f16 v7, v44, v10, v7
	;;#ASMEND
	;;#ASMSTART
	v_dot2_f32_f16 v7, v45, v11, v7
	;;#ASMEND
	;;#ASMSTART
	v_dot2_f32_f16 v14, v42, v46, v14
	;;#ASMEND
	;;#ASMSTART
	v_dot2_f32_f16 v14, v43, v47, v14
	;;#ASMEND
	;;#ASMSTART
	v_dot2_f32_f16 v14, v44, v48, v14
	;;#ASMEND
	;;#ASMSTART
	v_dot2_f32_f16 v14, v45, v49, v14
	;;#ASMEND
	ds_read_b128 v[8:11], v33 offset:17632
	ds_read_b128 v[38:41], v6 offset:224
	ds_read_b128 v[42:45], v6 offset:8928
	ds_read_b128 v[46:49], v33 offset:17888
	s_waitcnt lgkmcnt(2)
	;;#ASMSTART
	v_dot2_f32_f16 v5, v38, v8, v5
	;;#ASMEND
	;;#ASMSTART
	v_dot2_f32_f16 v5, v39, v9, v5
	;;#ASMEND
	;;#ASMSTART
	v_dot2_f32_f16 v5, v40, v10, v5
	;;#ASMEND
	;;#ASMSTART
	v_dot2_f32_f16 v5, v41, v11, v5
	;;#ASMEND
	s_waitcnt lgkmcnt(0)
	;;#ASMSTART
	v_dot2_f32_f16 v15, v38, v46, v15
	;;#ASMEND
	;;#ASMSTART
	v_dot2_f32_f16 v15, v39, v47, v15
	;;#ASMEND
	;;#ASMSTART
	v_dot2_f32_f16 v15, v40, v48, v15
	;;#ASMEND
	;;#ASMSTART
	v_dot2_f32_f16 v15, v41, v49, v15
	;;#ASMEND
	;;#ASMSTART
	v_dot2_f32_f16 v7, v42, v8, v7
	;;#ASMEND
	;;#ASMSTART
	v_dot2_f32_f16 v7, v43, v9, v7
	;;#ASMEND
	;;#ASMSTART
	v_dot2_f32_f16 v7, v44, v10, v7
	;;#ASMEND
	;;#ASMSTART
	v_dot2_f32_f16 v7, v45, v11, v7
	;;#ASMEND
	;;#ASMSTART
	v_dot2_f32_f16 v14, v42, v46, v14
	;;#ASMEND
	;;#ASMSTART
	v_dot2_f32_f16 v14, v43, v47, v14
	;;#ASMEND
	;;#ASMSTART
	v_dot2_f32_f16 v14, v44, v48, v14
	;;#ASMEND
	;;#ASMSTART
	v_dot2_f32_f16 v14, v45, v49, v14
	;;#ASMEND
	ds_read_b128 v[8:11], v6 offset:240
	ds_read_b128 v[38:41], v33 offset:17648
	ds_read_b128 v[42:45], v6 offset:8944
	ds_read_b128 v[46:49], v33 offset:17904
	s_waitcnt lgkmcnt(2)
	;;#ASMSTART
	v_dot2_f32_f16 v5, v8, v38, v5
	;;#ASMEND
	;;#ASMSTART
	v_dot2_f32_f16 v5, v9, v39, v5
	;;#ASMEND
	;;#ASMSTART
	v_dot2_f32_f16 v5, v10, v40, v5
	;;#ASMEND
	;;#ASMSTART
	v_dot2_f32_f16 v5, v11, v41, v5
	;;#ASMEND
	s_waitcnt lgkmcnt(0)
	;;#ASMSTART
	v_dot2_f32_f16 v15, v8, v46, v15
	;;#ASMEND
	;;#ASMSTART
	v_dot2_f32_f16 v15, v9, v47, v15
	;;#ASMEND
	;;#ASMSTART
	v_dot2_f32_f16 v15, v10, v48, v15
	;;#ASMEND
	;;#ASMSTART
	v_dot2_f32_f16 v15, v11, v49, v15
	;;#ASMEND
	;;#ASMSTART
	v_dot2_f32_f16 v7, v42, v38, v7
	;;#ASMEND
	;;#ASMSTART
	v_dot2_f32_f16 v7, v43, v39, v7
	;;#ASMEND
	;;#ASMSTART
	v_dot2_f32_f16 v7, v44, v40, v7
	;;#ASMEND
	;;#ASMSTART
	v_dot2_f32_f16 v7, v45, v41, v7
	;;#ASMEND
	;;#ASMSTART
	v_dot2_f32_f16 v14, v42, v46, v14
	;;#ASMEND
	;;#ASMSTART
	v_dot2_f32_f16 v14, v43, v47, v14
	;;#ASMEND
	;;#ASMSTART
	v_dot2_f32_f16 v14, v44, v48, v14
	;;#ASMEND
	v_cmp_nlt_f32_e64 s[14:15], |v5|, s14
	;;#ASMSTART
	v_dot2_f32_f16 v14, v45, v49, v14
	;;#ASMEND
                                        ; implicit-def: $vgpr6
	s_and_saveexec_b64 s[16:17], s[14:15]
	s_xor_b64 s[14:15], exec, s[16:17]
	s_cbranch_execz .LBB88_42
; %bb.41:
	v_add_f32_e64 v6, |v5|, |v5|
	v_mul_f32_e32 v8, 0x3fb8aa3b, v6
	s_mov_b32 s16, 0x3fb8aa3b
	v_rndne_f32_e32 v9, v8
	v_sub_f32_e32 v10, v8, v9
	v_fma_f32 v8, v6, s16, -v8
	v_fmac_f32_e32 v8, 0x32a5705f, v6
	v_add_f32_e32 v8, v10, v8
	v_exp_f32_e32 v8, v8
	v_cvt_i32_f32_e32 v9, v9
	s_mov_b32 s16, 0xc2ce8ed0
	v_cmp_ngt_f32_e32 vcc, s16, v6
	s_mov_b32 s16, 0x42b17218
	v_ldexp_f32 v8, v8, v9
	v_cndmask_b32_e32 v8, 0, v8, vcc
	v_mov_b32_e32 v9, 0x7f800000
	v_cmp_nlt_f32_e32 vcc, s16, v6
	v_cndmask_b32_e32 v6, v9, v8, vcc
	v_add_f32_e32 v6, 1.0, v6
	v_rcp_f32_e32 v6, v6
	v_fma_f32 v6, v6, -2.0, 1.0
.LBB88_42:
	s_andn2_saveexec_b64 s[14:15], s[14:15]
	s_cbranch_execz .LBB88_44
; %bb.43:
	v_mul_f32_e32 v6, v5, v5
	v_mov_b32_e32 v8, 0x3ca908c9
	v_fmac_f32_e32 v8, 0xbbbac73d, v6
	v_mov_b32_e32 v9, 0xbd5c1c4e
	v_fmac_f32_e32 v9, v6, v8
	;; [unrolled: 2-line block ×4, first 2 shown]
	v_mul_f32_e64 v8, |v5|, v9
	v_fma_f32 v6, v6, v8, |v5|
.LBB88_44:
	s_or_b64 exec, exec, s[14:15]
	s_cmp_lg_u64 s[44:45], 0
	s_brev_b32 s14, -2
	v_bfi_b32 v5, s14, v6, v5
	s_cselect_b64 s[14:15], -1, 0
	v_mul_f32_e32 v17, s23, v5
	v_cndmask_b32_e64 v5, 0, 1, s[14:15]
	v_cmp_ne_u32_e64 s[14:15], 1, v5
	v_mov_b32_e32 v6, v3
	v_add_u32_e32 v8, s42, v34
	v_cmp_gt_i32_e64 s[16:17], s46, v0
	v_mov_b32_e32 v5, v2
	s_and_saveexec_b64 s[18:19], s[16:17]
	s_cbranch_execz .LBB88_49
; %bb.45:
	s_and_b64 vcc, exec, s[14:15]
	s_cbranch_vccnz .LBB88_47
; %bb.46:
	v_add_u32_e32 v5, v8, v0
	v_ashrrev_i32_e32 v6, 31, v5
	v_lshlrev_b64 v[5:6], 1, v[5:6]
	v_mov_b32_e32 v9, s45
	v_add_co_u32_e32 v5, vcc, s44, v5
	v_addc_co_u32_e32 v6, vcc, v9, v6, vcc
	global_load_ushort v5, v[5:6], off
	s_waitcnt vmcnt(0)
	v_cvt_f32_f16_e32 v5, v5
	v_mul_f32_e32 v5, v28, v5
	s_branch .LBB88_48
.LBB88_47:
	v_mov_b32_e32 v5, 0
.LBB88_48:
	v_add_f32_e32 v17, v17, v5
	v_add_f32_e32 v5, 0x40051340, v17
	v_max_f32_e32 v6, v2, v2
	v_max_f32_e32 v5, v6, v5
	v_mov_b32_e32 v6, v3
.LBB88_49:
	s_or_b64 exec, exec, s[18:19]
	s_mov_b32 s18, 0x3f200000
	v_cmp_nlt_f32_e64 s[18:19], |v7|, s18
                                        ; implicit-def: $vgpr9
	s_and_saveexec_b64 s[26:27], s[18:19]
	s_xor_b64 s[18:19], exec, s[26:27]
	s_cbranch_execz .LBB88_51
; %bb.50:
	v_add_f32_e64 v9, |v7|, |v7|
	v_mul_f32_e32 v10, 0x3fb8aa3b, v9
	s_mov_b32 s26, 0x3fb8aa3b
	v_rndne_f32_e32 v11, v10
	v_sub_f32_e32 v12, v10, v11
	v_fma_f32 v10, v9, s26, -v10
	v_fmac_f32_e32 v10, 0x32a5705f, v9
	v_add_f32_e32 v10, v12, v10
	v_exp_f32_e32 v10, v10
	v_cvt_i32_f32_e32 v11, v11
	s_mov_b32 s26, 0xc2ce8ed0
	v_cmp_ngt_f32_e32 vcc, s26, v9
	s_mov_b32 s26, 0x42b17218
	v_ldexp_f32 v10, v10, v11
	v_cndmask_b32_e32 v10, 0, v10, vcc
	v_mov_b32_e32 v11, 0x7f800000
	v_cmp_nlt_f32_e32 vcc, s26, v9
	v_cndmask_b32_e32 v9, v11, v10, vcc
	v_add_f32_e32 v9, 1.0, v9
	v_rcp_f32_e32 v9, v9
	v_fma_f32 v9, v9, -2.0, 1.0
.LBB88_51:
	s_andn2_saveexec_b64 s[18:19], s[18:19]
	s_cbranch_execz .LBB88_53
; %bb.52:
	v_mul_f32_e32 v9, v7, v7
	v_mov_b32_e32 v10, 0x3ca908c9
	v_fmac_f32_e32 v10, 0xbbbac73d, v9
	v_mov_b32_e32 v11, 0xbd5c1c4e
	v_fmac_f32_e32 v11, v9, v10
	;; [unrolled: 2-line block ×4, first 2 shown]
	v_mul_f32_e64 v10, |v7|, v11
	v_fma_f32 v9, v9, v10, |v7|
.LBB88_53:
	s_or_b64 exec, exec, s[18:19]
	s_brev_b32 s18, -2
	v_add_u32_e32 v33, 32, v0
	v_bfi_b32 v7, s18, v9, v7
	v_mul_f32_e32 v34, s23, v7
	v_cmp_gt_i32_e64 s[18:19], s46, v33
	s_and_saveexec_b64 s[26:27], s[18:19]
	s_cbranch_execz .LBB88_58
; %bb.54:
	s_and_b64 vcc, exec, s[14:15]
	s_cbranch_vccnz .LBB88_56
; %bb.55:
	v_ashrrev_i32_e32 v9, 31, v8
	v_add_co_u32_e32 v7, vcc, v8, v0
	v_addc_co_u32_e32 v8, vcc, 0, v9, vcc
	v_lshlrev_b64 v[7:8], 1, v[7:8]
	v_mov_b32_e32 v9, s45
	v_add_co_u32_e32 v7, vcc, s44, v7
	v_addc_co_u32_e32 v8, vcc, v9, v8, vcc
	global_load_ushort v7, v[7:8], off offset:64
	s_waitcnt vmcnt(0)
	v_cvt_f32_f16_e32 v7, v7
	v_mul_f32_e32 v7, v28, v7
	s_branch .LBB88_57
.LBB88_56:
	v_mov_b32_e32 v7, 0
.LBB88_57:
	v_add_f32_e32 v34, v34, v7
	v_add_f32_e32 v7, 0x40051340, v34
	v_max_f32_e32 v5, v5, v5
	v_max_f32_e32 v5, v5, v7
.LBB88_58:
	s_or_b64 exec, exec, s[26:27]
	v_mbcnt_hi_u32_b32 v7, -1, v31
	v_and_b32_e32 v8, 0x60, v7
	v_add_u32_e32 v8, 32, v8
	v_xor_b32_e32 v10, 16, v7
	v_cmp_lt_i32_e32 vcc, v10, v8
	v_cndmask_b32_e32 v9, v7, v10, vcc
	v_lshlrev_b32_e32 v31, 2, v9
	ds_bpermute_b32 v11, v31, v5
	v_xor_b32_e32 v9, 8, v7
	v_cmp_lt_i32_e32 vcc, v9, v8
	v_cndmask_b32_e32 v12, v7, v9, vcc
	v_max_f32_e32 v5, v5, v5
	s_waitcnt lgkmcnt(0)
	v_max_f32_e32 v11, v11, v11
	v_lshlrev_b32_e32 v38, 2, v12
	v_max_f32_e32 v5, v5, v11
	ds_bpermute_b32 v12, v38, v5
	v_xor_b32_e32 v11, 4, v7
	v_cmp_lt_i32_e32 vcc, v11, v8
	v_cndmask_b32_e32 v13, v7, v11, vcc
	v_lshlrev_b32_e32 v39, 2, v13
	s_waitcnt lgkmcnt(0)
	v_max_f32_e32 v12, v12, v12
	v_max_f32_e32 v5, v5, v12
	ds_bpermute_b32 v13, v39, v5
	v_xor_b32_e32 v12, 2, v7
	v_cmp_lt_i32_e32 vcc, v12, v8
	v_cndmask_b32_e32 v40, v7, v12, vcc
	v_lshlrev_b32_e32 v40, 2, v40
	s_waitcnt lgkmcnt(0)
	v_max_f32_e32 v13, v13, v13
	;; [unrolled: 8-line block ×3, first 2 shown]
	v_max_f32_e32 v5, v5, v42
	ds_bpermute_b32 v42, v41, v5
	s_mov_b32 s26, 0x3f200000
	v_cmp_nlt_f32_e64 s[26:27], |v15|, s26
                                        ; implicit-def: $vgpr43
	s_and_saveexec_b64 s[48:49], s[26:27]
	s_xor_b64 s[26:27], exec, s[48:49]
	s_cbranch_execz .LBB88_60
; %bb.59:
	v_add_f32_e64 v43, |v15|, |v15|
	v_mul_f32_e32 v44, 0x3fb8aa3b, v43
	s_mov_b32 s47, 0x3fb8aa3b
	v_rndne_f32_e32 v45, v44
	v_sub_f32_e32 v46, v44, v45
	v_fma_f32 v44, v43, s47, -v44
	v_fmac_f32_e32 v44, 0x32a5705f, v43
	v_add_f32_e32 v44, v46, v44
	v_exp_f32_e32 v44, v44
	v_cvt_i32_f32_e32 v45, v45
	s_mov_b32 s47, 0xc2ce8ed0
	v_cmp_ngt_f32_e32 vcc, s47, v43
	s_mov_b32 s47, 0x42b17218
	v_ldexp_f32 v44, v44, v45
	v_cndmask_b32_e32 v44, 0, v44, vcc
	v_mov_b32_e32 v45, 0x7f800000
	v_cmp_nlt_f32_e32 vcc, s47, v43
	v_cndmask_b32_e32 v43, v45, v44, vcc
	v_add_f32_e32 v43, 1.0, v43
	v_rcp_f32_e32 v43, v43
	v_fma_f32 v43, v43, -2.0, 1.0
.LBB88_60:
	s_andn2_saveexec_b64 s[26:27], s[26:27]
	s_cbranch_execz .LBB88_62
; %bb.61:
	v_mul_f32_e32 v43, v15, v15
	v_mov_b32_e32 v44, 0x3ca908c9
	v_fmac_f32_e32 v44, 0xbbbac73d, v43
	v_mov_b32_e32 v45, 0xbd5c1c4e
	v_fmac_f32_e32 v45, v43, v44
	;; [unrolled: 2-line block ×4, first 2 shown]
	v_mul_f32_e64 v44, |v15|, v45
	v_fma_f32 v43, v43, v44, |v15|
.LBB88_62:
	s_or_b64 exec, exec, s[26:27]
	v_mul_hi_u32 v44, s36, v30
	s_waitcnt lgkmcnt(0)
	v_max_f32_e32 v42, v42, v42
	v_max_f32_e32 v5, v5, v5
	s_brev_b32 s26, -2
	v_add_u32_e32 v44, v30, v44
	v_lshrrev_b32_e32 v44, s37, v44
	v_mul_lo_u32 v44, v44, s38
	v_max_f32_e32 v5, v5, v42
	v_bfi_b32 v42, s26, v43, v15
	v_sub_u32_e32 v30, v30, v44
	v_mul_lo_u32 v30, v30, s43
	v_add_u32_e32 v15, s42, v30
	v_mul_f32_e32 v30, s23, v42
	s_and_saveexec_b64 s[26:27], s[16:17]
	s_cbranch_execz .LBB88_67
; %bb.63:
	s_and_b64 vcc, exec, s[14:15]
	s_cbranch_vccnz .LBB88_65
; %bb.64:
	v_add_u32_e32 v42, v15, v0
	v_ashrrev_i32_e32 v43, 31, v42
	v_lshlrev_b64 v[42:43], 1, v[42:43]
	v_mov_b32_e32 v44, s45
	v_add_co_u32_e32 v42, vcc, s44, v42
	v_addc_co_u32_e32 v43, vcc, v44, v43, vcc
	global_load_ushort v42, v[42:43], off
	s_waitcnt vmcnt(0)
	v_cvt_f32_f16_e32 v42, v42
	v_mul_f32_e32 v42, v28, v42
	s_branch .LBB88_66
.LBB88_65:
	v_mov_b32_e32 v42, 0
.LBB88_66:
	v_add_f32_e32 v30, v30, v42
	v_add_f32_e32 v42, 0x40051340, v30
	v_max_f32_e32 v6, v6, v6
	v_max_f32_e32 v6, v6, v42
.LBB88_67:
	s_or_b64 exec, exec, s[26:27]
	s_mov_b32 s16, 0x3f200000
	v_cmp_nlt_f32_e64 s[16:17], |v14|, s16
                                        ; implicit-def: $vgpr42
	s_and_saveexec_b64 s[26:27], s[16:17]
	s_xor_b64 s[16:17], exec, s[26:27]
	s_cbranch_execz .LBB88_69
; %bb.68:
	v_add_f32_e64 v42, |v14|, |v14|
	v_mul_f32_e32 v43, 0x3fb8aa3b, v42
	s_mov_b32 s26, 0x3fb8aa3b
	v_rndne_f32_e32 v44, v43
	v_sub_f32_e32 v45, v43, v44
	v_fma_f32 v43, v42, s26, -v43
	v_fmac_f32_e32 v43, 0x32a5705f, v42
	v_add_f32_e32 v43, v45, v43
	v_exp_f32_e32 v43, v43
	v_cvt_i32_f32_e32 v44, v44
	s_mov_b32 s26, 0xc2ce8ed0
	v_cmp_ngt_f32_e32 vcc, s26, v42
	s_mov_b32 s26, 0x42b17218
	v_ldexp_f32 v43, v43, v44
	v_cndmask_b32_e32 v43, 0, v43, vcc
	v_mov_b32_e32 v44, 0x7f800000
	v_cmp_nlt_f32_e32 vcc, s26, v42
	v_cndmask_b32_e32 v42, v44, v43, vcc
	v_add_f32_e32 v42, 1.0, v42
	v_rcp_f32_e32 v42, v42
	v_fma_f32 v42, v42, -2.0, 1.0
.LBB88_69:
	s_andn2_saveexec_b64 s[16:17], s[16:17]
	s_cbranch_execz .LBB88_71
; %bb.70:
	v_mul_f32_e32 v42, v14, v14
	v_mov_b32_e32 v43, 0x3ca908c9
	v_fmac_f32_e32 v43, 0xbbbac73d, v42
	v_mov_b32_e32 v44, 0xbd5c1c4e
	v_fmac_f32_e32 v44, v42, v43
	;; [unrolled: 2-line block ×4, first 2 shown]
	v_mul_f32_e64 v43, |v14|, v44
	v_fma_f32 v42, v42, v43, |v14|
.LBB88_71:
	s_or_b64 exec, exec, s[16:17]
	s_brev_b32 s16, -2
	v_bfi_b32 v14, s16, v42, v14
	v_mul_f32_e32 v42, s23, v14
	s_and_saveexec_b64 s[16:17], s[18:19]
	s_cbranch_execz .LBB88_76
; %bb.72:
	s_and_b64 vcc, exec, s[14:15]
	s_cbranch_vccnz .LBB88_74
; %bb.73:
	v_ashrrev_i32_e32 v43, 31, v15
	v_add_co_u32_e32 v14, vcc, v15, v0
	v_addc_co_u32_e32 v15, vcc, 0, v43, vcc
	v_lshlrev_b64 v[14:15], 1, v[14:15]
	v_mov_b32_e32 v43, s45
	v_add_co_u32_e32 v14, vcc, s44, v14
	v_addc_co_u32_e32 v15, vcc, v43, v15, vcc
	global_load_ushort v14, v[14:15], off offset:64
	s_waitcnt vmcnt(0)
	v_cvt_f32_f16_e32 v14, v14
	v_mul_f32_e32 v14, v28, v14
	s_branch .LBB88_75
.LBB88_74:
	v_mov_b32_e32 v14, 0
.LBB88_75:
	v_add_f32_e32 v42, v42, v14
	v_add_f32_e32 v14, 0x40051340, v42
	v_max_f32_e32 v6, v6, v6
	v_max_f32_e32 v6, v6, v14
.LBB88_76:
	s_or_b64 exec, exec, s[16:17]
	ds_bpermute_b32 v14, v31, v6
	v_max_f32_e32 v6, v6, v6
	v_lshlrev_b32_e32 v15, 8, v1
	v_sub_f32_e32 v1, v2, v5
	v_sub_f32_e32 v2, v17, v5
	s_waitcnt lgkmcnt(0)
	v_max_f32_e32 v14, v14, v14
	v_max_f32_e32 v6, v6, v14
	ds_bpermute_b32 v14, v38, v6
	s_mov_b32 s19, 0x3fb8aa3b
	s_mov_b32 s23, 0xc2ce8ed0
	v_cmp_ngt_f32_e64 s[14:15], s23, v2
	s_mov_b32 s26, 0x42b17218
	s_waitcnt lgkmcnt(0)
	v_max_f32_e32 v14, v14, v14
	v_max_f32_e32 v6, v6, v14
	ds_bpermute_b32 v14, v39, v6
	v_cmp_gt_u32_e32 vcc, s46, v0
	s_waitcnt lgkmcnt(0)
	s_barrier
	v_max_f32_e32 v14, v14, v14
	v_max_f32_e32 v6, v6, v14
	ds_bpermute_b32 v14, v40, v6
	v_mov_b32_e32 v44, 0
	s_mov_b32 s18, 0x10001
	s_waitcnt lgkmcnt(0)
	v_max_f32_e32 v14, v14, v14
	v_max_f32_e32 v6, v6, v14
	ds_bpermute_b32 v14, v41, v6
	s_waitcnt lgkmcnt(0)
	v_max_f32_e32 v14, v14, v14
	v_max_f32_e32 v6, v6, v14
	v_mul_f32_e32 v14, 0x3fb8aa3b, v2
	v_fma_f32 v17, v2, s19, -v14
	v_rndne_f32_e32 v28, v14
	v_fmac_f32_e32 v17, 0x32a5705f, v2
	v_sub_f32_e32 v14, v14, v28
	v_add_f32_e32 v14, v14, v17
	v_exp_f32_e32 v14, v14
	v_cvt_i32_f32_e32 v17, v28
	v_mov_b32_e32 v28, 0x7f800000
	v_sub_f32_e32 v3, v3, v6
	v_ldexp_f32 v14, v14, v17
	v_cndmask_b32_e64 v14, 0, v14, s[14:15]
	v_cmp_nlt_f32_e64 s[14:15], s26, v2
	v_cndmask_b32_e64 v2, v28, v14, s[14:15]
	v_sub_f32_e32 v14, v34, v5
	v_mul_f32_e32 v17, 0x3fb8aa3b, v14
	v_fma_f32 v34, v14, s19, -v17
	v_rndne_f32_e32 v38, v17
	v_fmac_f32_e32 v34, 0x32a5705f, v14
	v_sub_f32_e32 v17, v17, v38
	v_add_f32_e32 v17, v17, v34
	v_exp_f32_e32 v17, v17
	v_cvt_i32_f32_e32 v34, v38
	v_cmp_ngt_f32_e64 s[16:17], s23, v14
	v_cmp_gt_u32_e64 s[14:15], s46, v33
	v_cndmask_b32_e32 v2, 0, v2, vcc
	v_ldexp_f32 v17, v17, v34
	v_cndmask_b32_e64 v17, 0, v17, s[16:17]
	v_cmp_nlt_f32_e64 s[16:17], s26, v14
	v_cndmask_b32_e64 v14, v28, v17, s[16:17]
	v_cndmask_b32_e64 v17, 0, v14, s[14:15]
	v_cvt_f16_f32_e32 v31, v2
	v_add_f32_e32 v14, v2, v17
	v_mul_f32_e32 v2, 0x3fb8aa3b, v1
	v_cvt_f16_f32_e32 v34, v17
	v_fma_f32 v17, v1, s19, -v2
	v_rndne_f32_e32 v38, v2
	v_fmac_f32_e32 v17, 0x32a5705f, v1
	v_sub_f32_e32 v2, v2, v38
	v_add_f32_e32 v2, v2, v17
	v_exp_f32_e32 v2, v2
	v_cvt_i32_f32_e32 v17, v38
	v_cmp_ngt_f32_e64 s[16:17], s23, v1
	v_ldexp_f32 v2, v2, v17
	v_cndmask_b32_e64 v2, 0, v2, s[16:17]
	v_cmp_nlt_f32_e64 s[16:17], s26, v1
	v_cndmask_b32_e64 v1, v28, v2, s[16:17]
	v_fmac_f32_e32 v14, v36, v1
	v_cvt_f16_f32_e32 v1, v1
	v_sub_f32_e32 v17, v30, v6
	v_mul_f32_e32 v30, 0x3fb8aa3b, v17
	v_rndne_f32_e32 v36, v30
	v_mul_u32_u24_e32 v2, 0x10001, v1
	v_pk_mul_f16 v1, v32, v2
	v_fma_f32 v32, v17, s19, -v30
	v_fmac_f32_e32 v32, 0x32a5705f, v17
	v_sub_f32_e32 v30, v30, v36
	v_add_f32_e32 v30, v30, v32
	v_exp_f32_e32 v30, v30
	v_cvt_i32_f32_e32 v32, v36
	v_cmp_ngt_f32_e64 s[16:17], s23, v17
	v_ldexp_f32 v30, v30, v32
	v_sub_f32_e32 v32, v42, v6
	v_mul_f32_e32 v36, 0x3fb8aa3b, v32
	v_fma_f32 v38, v32, s19, -v36
	v_rndne_f32_e32 v39, v36
	v_fmac_f32_e32 v38, 0x32a5705f, v32
	v_sub_f32_e32 v36, v36, v39
	v_add_f32_e32 v36, v36, v38
	v_exp_f32_e32 v36, v36
	v_cvt_i32_f32_e32 v38, v39
	v_cndmask_b32_e64 v30, 0, v30, s[16:17]
	v_cmp_nlt_f32_e64 s[16:17], s26, v17
	v_cndmask_b32_e64 v17, v28, v30, s[16:17]
	v_cndmask_b32_e32 v17, 0, v17, vcc
	v_ldexp_f32 v36, v36, v38
	v_cmp_ngt_f32_e32 vcc, s23, v32
	v_cndmask_b32_e32 v36, 0, v36, vcc
	v_cmp_nlt_f32_e32 vcc, s26, v32
	v_cndmask_b32_e32 v32, v28, v36, vcc
	v_mul_f32_e32 v36, 0x3fb8aa3b, v3
	v_fma_f32 v38, v3, s19, -v36
	v_rndne_f32_e32 v39, v36
	v_fmac_f32_e32 v38, 0x32a5705f, v3
	v_sub_f32_e32 v36, v36, v39
	v_add_f32_e32 v36, v36, v38
	v_exp_f32_e32 v36, v36
	v_cvt_i32_f32_e32 v38, v39
	v_cmp_ngt_f32_e32 vcc, s23, v3
	v_cndmask_b32_e64 v32, 0, v32, s[14:15]
	v_cvt_f16_f32_e32 v30, v17
	v_ldexp_f32 v36, v36, v38
	v_cndmask_b32_e32 v36, 0, v36, vcc
	v_cmp_nlt_f32_e32 vcc, s26, v3
	v_add_f32_e32 v17, v17, v32
	v_cndmask_b32_e32 v3, v28, v36, vcc
	v_fmac_f32_e32 v17, v35, v3
	v_cvt_f16_f32_e32 v3, v3
	v_cvt_f16_f32_e32 v32, v32
	v_pack_b32_f16 v30, v31, v30
	s_mul_hi_i32 s15, s42, s8
	v_mul_u32_u24_e32 v28, 0x10001, v3
	v_pk_mul_f16 v3, v29, v28
	v_add_u32_e32 v29, 0x5400, v15
	v_add_u32_e32 v35, v29, v23
	ds_write_b32 v35, v30
	v_lshl_add_u32 v29, v33, 2, v29
	v_pack_b32_f16 v30, v34, v32
	ds_write_b32 v29, v30
	v_mul_lo_u32 v30, s8, v16
	s_mul_i32 s14, s42, s8
	s_lshl_b64 s[14:15], s[14:15], 2
	s_add_u32 s16, s40, s14
	v_ashrrev_i32_e32 v31, 31, v30
	v_lshlrev_b64 v[31:32], 2, v[30:31]
	s_addc_u32 s17, s41, s15
	v_lshl_or_b32 v29, v16, 8, v4
	v_add_co_u32_e32 v16, vcc, s16, v31
	v_mov_b32_e32 v31, s17
	v_addc_co_u32_e32 v31, vcc, v31, v32, vcc
	s_lshl_b32 s8, s8, 4
	v_add_co_u32_e32 v16, vcc, v16, v4
	v_add_u32_e32 v30, s8, v30
	v_addc_co_u32_e32 v33, vcc, 0, v31, vcc
	v_ashrrev_i32_e32 v31, 31, v30
	v_lshlrev_b64 v[31:32], 2, v[30:31]
	v_lshl_or_b32 v35, v18, 8, v4
	v_add_co_u32_e32 v18, vcc, s16, v31
	v_mov_b32_e32 v31, s17
	v_addc_co_u32_e32 v31, vcc, v31, v32, vcc
	v_add_co_u32_e32 v36, vcc, v18, v4
	v_add_u32_e32 v18, s8, v30
	v_lshl_or_b32 v39, v19, 8, v4
	v_ashrrev_i32_e32 v19, 31, v18
	v_addc_co_u32_e32 v38, vcc, 0, v31, vcc
	v_lshlrev_b64 v[30:31], 2, v[18:19]
	v_add_u32_e32 v18, s8, v18
	v_add_co_u32_e32 v19, vcc, s16, v30
	v_mov_b32_e32 v30, s17
	v_addc_co_u32_e32 v30, vcc, v30, v31, vcc
	v_add_co_u32_e32 v40, vcc, v19, v4
	v_ashrrev_i32_e32 v19, 31, v18
	v_lshlrev_b64 v[18:19], 2, v[18:19]
	v_addc_co_u32_e32 v41, vcc, 0, v30, vcc
	v_add_co_u32_e32 v18, vcc, s16, v18
	v_mov_b32_e32 v30, s17
	s_mov_b64 s[14:15], src_private_base
	v_addc_co_u32_e32 v19, vcc, v30, v19, vcc
	v_mov_b32_e32 v34, 0
	v_add_co_u32_e32 v42, vcc, v18, v4
	v_lshl_or_b32 v4, v37, 8, v4
	v_mov_b32_e32 v37, s15
	v_addc_co_u32_e32 v43, vcc, 0, v19, vcc
	buffer_store_dword v34, off, s[0:3], 0
	buffer_store_dword v34, off, s[0:3], 0 offset:4
	buffer_store_dword v34, off, s[0:3], 0 offset:8
	;; [unrolled: 1-line block ×3, first 2 shown]
	v_cndmask_b32_e64 v19, v37, v33, s[10:11]
	v_cndmask_b32_e64 v18, v44, v16, s[10:11]
	flat_load_dwordx4 v[30:33], v[18:19]
	v_cndmask_b32_e64 v19, v37, v38, s[12:13]
	v_cndmask_b32_e64 v18, v44, v36, s[12:13]
	s_waitcnt vmcnt(0) lgkmcnt(0)
	ds_write_b128 v29, v[30:33]
	buffer_store_dword v34, off, s[0:3], 0
	buffer_store_dword v34, off, s[0:3], 0 offset:4
	buffer_store_dword v34, off, s[0:3], 0 offset:8
	buffer_store_dword v34, off, s[0:3], 0 offset:12
	flat_load_dwordx4 v[29:32], v[18:19]
	v_cndmask_b32_e64 v19, v37, v41, s[20:21]
	v_cndmask_b32_e64 v18, v44, v40, s[20:21]
	s_waitcnt vmcnt(0) lgkmcnt(0)
	ds_write_b128 v35, v[29:32]
	buffer_store_dword v34, off, s[0:3], 0
	buffer_store_dword v34, off, s[0:3], 0 offset:4
	buffer_store_dword v34, off, s[0:3], 0 offset:8
	buffer_store_dword v34, off, s[0:3], 0 offset:12
	;; [unrolled: 9-line block ×3, first 2 shown]
	flat_load_dwordx4 v[29:32], v[18:19]
	s_waitcnt vmcnt(0) lgkmcnt(0)
	ds_write_b128 v4, v[29:32]
	s_waitcnt lgkmcnt(0)
	s_barrier
	ds_read2_b64 v[29:32], v25 offset1:32
	ds_read_b128 v[33:36], v15 offset:21504
	ds_read_b128 v[37:40], v15 offset:21520
	ds_read_b128 v[41:44], v15 offset:21536
	ds_read_b128 v[45:48], v15 offset:21552
	s_waitcnt lgkmcnt(3)
	v_mul_u32_u24_sdwa v4, v33, s18 dst_sel:DWORD dst_unused:UNUSED_PAD src0_sel:WORD_0 src1_sel:DWORD
	v_mul_u32_u24_sdwa v16, v33, s18 dst_sel:DWORD dst_unused:UNUSED_PAD src0_sel:WORD_1 src1_sel:DWORD
	v_pk_mul_f16 v18, v29, v4
	v_pk_fma_f16 v2, v27, v2, v18
	v_pk_mul_f16 v18, v29, v16
	v_pk_fma_f16 v18, v26, v28, v18
	v_pk_fma_f16 v1, v30, v4, v1
	;; [unrolled: 1-line block ×3, first 2 shown]
	v_mul_u32_u24_sdwa v4, v34, s18 dst_sel:DWORD dst_unused:UNUSED_PAD src0_sel:WORD_0 src1_sel:DWORD
	v_mul_u32_u24_sdwa v16, v34, s18 dst_sel:DWORD dst_unused:UNUSED_PAD src0_sel:WORD_1 src1_sel:DWORD
	v_pk_fma_f16 v19, v31, v4, v2
	v_pk_fma_f16 v18, v31, v16, v18
	;; [unrolled: 1-line block ×4, first 2 shown]
	ds_read2_b64 v[1:4], v25 offset0:64 offset1:96
	v_mul_u32_u24_sdwa v27, v35, s18 dst_sel:DWORD dst_unused:UNUSED_PAD src0_sel:WORD_0 src1_sel:DWORD
	v_mul_u32_u24_sdwa v28, v35, s18 dst_sel:DWORD dst_unused:UNUSED_PAD src0_sel:WORD_1 src1_sel:DWORD
	s_waitcnt lgkmcnt(2)
	v_mul_u32_u24_sdwa v29, v41, s18 dst_sel:DWORD dst_unused:UNUSED_PAD src0_sel:WORD_1 src1_sel:DWORD
	v_add_u32_e32 v31, 0x1000, v25
	s_waitcnt lgkmcnt(0)
	v_pk_fma_f16 v19, v1, v27, v19
	v_pk_fma_f16 v1, v1, v28, v18
	;; [unrolled: 1-line block ×4, first 2 shown]
	v_mul_u32_u24_sdwa v16, v36, s18 dst_sel:DWORD dst_unused:UNUSED_PAD src0_sel:WORD_0 src1_sel:DWORD
	v_mul_u32_u24_sdwa v26, v36, s18 dst_sel:DWORD dst_unused:UNUSED_PAD src0_sel:WORD_1 src1_sel:DWORD
	v_pk_fma_f16 v19, v3, v16, v19
	v_pk_fma_f16 v27, v3, v26, v1
	;; [unrolled: 1-line block ×4, first 2 shown]
	ds_read2_b64 v[1:4], v25 offset0:128 offset1:160
	v_mul_u32_u24_sdwa v26, v37, s18 dst_sel:DWORD dst_unused:UNUSED_PAD src0_sel:WORD_0 src1_sel:DWORD
	v_mul_u32_u24_sdwa v28, v37, s18 dst_sel:DWORD dst_unused:UNUSED_PAD src0_sel:WORD_1 src1_sel:DWORD
	v_mov_b32_e32 v35, v17
	v_mov_b32_e32 v36, v14
	s_waitcnt lgkmcnt(0)
	v_pk_fma_f16 v19, v1, v26, v19
	v_pk_fma_f16 v1, v1, v28, v27
	;; [unrolled: 1-line block ×4, first 2 shown]
	v_mul_u32_u24_sdwa v18, v38, s18 dst_sel:DWORD dst_unused:UNUSED_PAD src0_sel:WORD_0 src1_sel:DWORD
	v_mul_u32_u24_sdwa v26, v38, s18 dst_sel:DWORD dst_unused:UNUSED_PAD src0_sel:WORD_1 src1_sel:DWORD
	v_pk_fma_f16 v19, v3, v18, v19
	v_pk_fma_f16 v27, v3, v26, v1
	;; [unrolled: 1-line block ×4, first 2 shown]
	ds_read2_b64 v[1:4], v25 offset0:192 offset1:224
	v_mul_u32_u24_sdwa v26, v39, s18 dst_sel:DWORD dst_unused:UNUSED_PAD src0_sel:WORD_0 src1_sel:DWORD
	v_mul_u32_u24_sdwa v28, v39, s18 dst_sel:DWORD dst_unused:UNUSED_PAD src0_sel:WORD_1 src1_sel:DWORD
	s_waitcnt lgkmcnt(0)
	v_pk_fma_f16 v19, v1, v26, v19
	v_pk_fma_f16 v1, v1, v28, v27
	;; [unrolled: 1-line block ×4, first 2 shown]
	v_mul_u32_u24_sdwa v18, v40, s18 dst_sel:DWORD dst_unused:UNUSED_PAD src0_sel:WORD_0 src1_sel:DWORD
	v_mul_u32_u24_sdwa v26, v40, s18 dst_sel:DWORD dst_unused:UNUSED_PAD src0_sel:WORD_1 src1_sel:DWORD
	v_pk_fma_f16 v19, v3, v18, v19
	v_pk_fma_f16 v27, v3, v26, v1
	;; [unrolled: 1-line block ×4, first 2 shown]
	v_add_u32_e32 v26, 0x800, v25
	ds_read2_b64 v[1:4], v26 offset1:32
	v_mul_u32_u24_sdwa v28, v41, s18 dst_sel:DWORD dst_unused:UNUSED_PAD src0_sel:WORD_0 src1_sel:DWORD
	s_waitcnt lgkmcnt(0)
	v_pk_fma_f16 v19, v1, v28, v19
	v_pk_fma_f16 v1, v1, v29, v27
	v_pk_fma_f16 v16, v2, v28, v16
	v_pk_fma_f16 v2, v2, v29, v18
	v_mul_u32_u24_sdwa v18, v42, s18 dst_sel:DWORD dst_unused:UNUSED_PAD src0_sel:WORD_0 src1_sel:DWORD
	v_mul_u32_u24_sdwa v27, v42, s18 dst_sel:DWORD dst_unused:UNUSED_PAD src0_sel:WORD_1 src1_sel:DWORD
	v_pk_fma_f16 v19, v3, v18, v19
	v_pk_fma_f16 v28, v3, v27, v1
	v_pk_fma_f16 v16, v4, v18, v16
	v_pk_fma_f16 v18, v4, v27, v2
	ds_read2_b64 v[1:4], v26 offset0:64 offset1:96
	v_mul_u32_u24_sdwa v27, v43, s18 dst_sel:DWORD dst_unused:UNUSED_PAD src0_sel:WORD_0 src1_sel:DWORD
	v_mul_u32_u24_sdwa v29, v43, s18 dst_sel:DWORD dst_unused:UNUSED_PAD src0_sel:WORD_1 src1_sel:DWORD
	s_waitcnt lgkmcnt(0)
	v_pk_fma_f16 v19, v1, v27, v19
	v_pk_fma_f16 v1, v1, v29, v28
	v_pk_fma_f16 v16, v2, v27, v16
	v_pk_fma_f16 v2, v2, v29, v18
	v_mul_u32_u24_sdwa v18, v44, s18 dst_sel:DWORD dst_unused:UNUSED_PAD src0_sel:WORD_0 src1_sel:DWORD
	v_mul_u32_u24_sdwa v27, v44, s18 dst_sel:DWORD dst_unused:UNUSED_PAD src0_sel:WORD_1 src1_sel:DWORD
	v_pk_fma_f16 v19, v3, v18, v19
	v_pk_fma_f16 v28, v3, v27, v1
	v_pk_fma_f16 v16, v4, v18, v16
	v_pk_fma_f16 v18, v4, v27, v2
	ds_read2_b64 v[1:4], v26 offset0:128 offset1:160
	v_mul_u32_u24_sdwa v27, v45, s18 dst_sel:DWORD dst_unused:UNUSED_PAD src0_sel:WORD_0 src1_sel:DWORD
	v_mul_u32_u24_sdwa v29, v45, s18 dst_sel:DWORD dst_unused:UNUSED_PAD src0_sel:WORD_1 src1_sel:DWORD
	s_waitcnt lgkmcnt(0)
	v_pk_fma_f16 v19, v1, v27, v19
	v_pk_fma_f16 v1, v1, v29, v28
	v_pk_fma_f16 v16, v2, v27, v16
	v_pk_fma_f16 v2, v2, v29, v18
	v_mul_u32_u24_sdwa v18, v46, s18 dst_sel:DWORD dst_unused:UNUSED_PAD src0_sel:WORD_0 src1_sel:DWORD
	v_mul_u32_u24_sdwa v27, v46, s18 dst_sel:DWORD dst_unused:UNUSED_PAD src0_sel:WORD_1 src1_sel:DWORD
	v_pk_fma_f16 v19, v3, v18, v19
	v_pk_fma_f16 v28, v3, v27, v1
	v_pk_fma_f16 v16, v4, v18, v16
	v_pk_fma_f16 v18, v4, v27, v2
	ds_read2_b64 v[1:4], v26 offset0:192 offset1:224
	v_mul_u32_u24_sdwa v26, v47, s18 dst_sel:DWORD dst_unused:UNUSED_PAD src0_sel:WORD_0 src1_sel:DWORD
	v_mul_u32_u24_sdwa v27, v47, s18 dst_sel:DWORD dst_unused:UNUSED_PAD src0_sel:WORD_1 src1_sel:DWORD
	s_waitcnt lgkmcnt(0)
	v_pk_fma_f16 v19, v1, v26, v19
	v_pk_fma_f16 v1, v1, v27, v28
	;; [unrolled: 1-line block ×4, first 2 shown]
	v_mul_u32_u24_sdwa v18, v48, s18 dst_sel:DWORD dst_unused:UNUSED_PAD src0_sel:WORD_0 src1_sel:DWORD
	v_mul_u32_u24_sdwa v26, v48, s18 dst_sel:DWORD dst_unused:UNUSED_PAD src0_sel:WORD_1 src1_sel:DWORD
	v_pk_fma_f16 v19, v3, v18, v19
	v_pk_fma_f16 v30, v3, v26, v1
	;; [unrolled: 1-line block ×4, first 2 shown]
	ds_read2_b64 v[1:4], v31 offset1:32
	ds_read_b128 v[26:29], v15 offset:21568
	s_waitcnt lgkmcnt(0)
	v_mul_u32_u24_sdwa v32, v26, s18 dst_sel:DWORD dst_unused:UNUSED_PAD src0_sel:WORD_0 src1_sel:DWORD
	v_mul_u32_u24_sdwa v26, v26, s18 dst_sel:DWORD dst_unused:UNUSED_PAD src0_sel:WORD_1 src1_sel:DWORD
	v_pk_fma_f16 v19, v1, v32, v19
	v_pk_fma_f16 v1, v1, v26, v30
	;; [unrolled: 1-line block ×4, first 2 shown]
	v_mul_u32_u24_sdwa v18, v27, s18 dst_sel:DWORD dst_unused:UNUSED_PAD src0_sel:WORD_0 src1_sel:DWORD
	v_mul_u32_u24_sdwa v26, v27, s18 dst_sel:DWORD dst_unused:UNUSED_PAD src0_sel:WORD_1 src1_sel:DWORD
	v_pk_fma_f16 v19, v3, v18, v19
	v_pk_fma_f16 v27, v3, v26, v1
	;; [unrolled: 1-line block ×4, first 2 shown]
	ds_read2_b64 v[1:4], v31 offset0:64 offset1:96
	v_mul_u32_u24_sdwa v26, v28, s18 dst_sel:DWORD dst_unused:UNUSED_PAD src0_sel:WORD_0 src1_sel:DWORD
	v_mul_u32_u24_sdwa v28, v28, s18 dst_sel:DWORD dst_unused:UNUSED_PAD src0_sel:WORD_1 src1_sel:DWORD
	s_waitcnt lgkmcnt(0)
	v_pk_fma_f16 v19, v1, v26, v19
	v_pk_fma_f16 v1, v1, v28, v27
	v_pk_fma_f16 v16, v2, v26, v16
	v_pk_fma_f16 v2, v2, v28, v18
	v_mul_u32_u24_sdwa v18, v29, s18 dst_sel:DWORD dst_unused:UNUSED_PAD src0_sel:WORD_0 src1_sel:DWORD
	v_mul_u32_u24_sdwa v26, v29, s18 dst_sel:DWORD dst_unused:UNUSED_PAD src0_sel:WORD_1 src1_sel:DWORD
	v_pk_fma_f16 v19, v3, v18, v19
	v_pk_fma_f16 v30, v3, v26, v1
	;; [unrolled: 1-line block ×4, first 2 shown]
	ds_read2_b64 v[1:4], v31 offset0:128 offset1:160
	ds_read_b128 v[26:29], v15 offset:21584
	s_waitcnt lgkmcnt(0)
	v_mul_u32_u24_sdwa v32, v26, s18 dst_sel:DWORD dst_unused:UNUSED_PAD src0_sel:WORD_0 src1_sel:DWORD
	v_mul_u32_u24_sdwa v26, v26, s18 dst_sel:DWORD dst_unused:UNUSED_PAD src0_sel:WORD_1 src1_sel:DWORD
	v_pk_fma_f16 v19, v1, v32, v19
	v_pk_fma_f16 v1, v1, v26, v30
	v_pk_fma_f16 v16, v2, v32, v16
	v_pk_fma_f16 v2, v2, v26, v18
	v_mul_u32_u24_sdwa v18, v27, s18 dst_sel:DWORD dst_unused:UNUSED_PAD src0_sel:WORD_0 src1_sel:DWORD
	v_mul_u32_u24_sdwa v26, v27, s18 dst_sel:DWORD dst_unused:UNUSED_PAD src0_sel:WORD_1 src1_sel:DWORD
	v_pk_fma_f16 v19, v3, v18, v19
	v_pk_fma_f16 v27, v3, v26, v1
	;; [unrolled: 1-line block ×4, first 2 shown]
	ds_read2_b64 v[1:4], v31 offset0:192 offset1:224
	v_mul_u32_u24_sdwa v26, v28, s18 dst_sel:DWORD dst_unused:UNUSED_PAD src0_sel:WORD_0 src1_sel:DWORD
	v_mul_u32_u24_sdwa v28, v28, s18 dst_sel:DWORD dst_unused:UNUSED_PAD src0_sel:WORD_1 src1_sel:DWORD
	s_waitcnt lgkmcnt(0)
	v_pk_fma_f16 v19, v1, v26, v19
	v_pk_fma_f16 v16, v2, v26, v16
	v_mul_u32_u24_sdwa v26, v29, s18 dst_sel:DWORD dst_unused:UNUSED_PAD src0_sel:WORD_0 src1_sel:DWORD
	v_pk_fma_f16 v1, v1, v28, v27
	v_pk_fma_f16 v2, v2, v28, v18
	v_mul_u32_u24_sdwa v27, v29, s18 dst_sel:DWORD dst_unused:UNUSED_PAD src0_sel:WORD_1 src1_sel:DWORD
	v_pk_fma_f16 v18, v3, v26, v19
	v_pk_fma_f16 v26, v4, v26, v16
	v_add_u32_e32 v16, 0x1800, v25
	v_pk_fma_f16 v19, v3, v27, v1
	v_pk_fma_f16 v27, v4, v27, v2
	ds_read2_b64 v[1:4], v16 offset1:32
	ds_read_b128 v[28:31], v15 offset:21600
	s_waitcnt lgkmcnt(0)
	v_mul_u32_u24_sdwa v32, v28, s18 dst_sel:DWORD dst_unused:UNUSED_PAD src0_sel:WORD_0 src1_sel:DWORD
	v_mul_u32_u24_sdwa v28, v28, s18 dst_sel:DWORD dst_unused:UNUSED_PAD src0_sel:WORD_1 src1_sel:DWORD
	v_pk_fma_f16 v18, v1, v32, v18
	v_pk_fma_f16 v1, v1, v28, v19
	v_pk_fma_f16 v19, v2, v32, v26
	v_pk_fma_f16 v2, v2, v28, v27
	v_mul_u32_u24_sdwa v26, v29, s18 dst_sel:DWORD dst_unused:UNUSED_PAD src0_sel:WORD_0 src1_sel:DWORD
	v_mul_u32_u24_sdwa v27, v29, s18 dst_sel:DWORD dst_unused:UNUSED_PAD src0_sel:WORD_1 src1_sel:DWORD
	v_pk_fma_f16 v18, v3, v26, v18
	v_pk_fma_f16 v28, v3, v27, v1
	v_pk_fma_f16 v19, v4, v26, v19
	v_pk_fma_f16 v26, v4, v27, v2
	ds_read2_b64 v[1:4], v16 offset0:64 offset1:96
	v_mul_u32_u24_sdwa v27, v30, s18 dst_sel:DWORD dst_unused:UNUSED_PAD src0_sel:WORD_0 src1_sel:DWORD
	v_mul_u32_u24_sdwa v29, v30, s18 dst_sel:DWORD dst_unused:UNUSED_PAD src0_sel:WORD_1 src1_sel:DWORD
	s_waitcnt lgkmcnt(0)
	v_pk_fma_f16 v18, v1, v27, v18
	v_pk_fma_f16 v1, v1, v29, v28
	v_pk_fma_f16 v19, v2, v27, v19
	v_pk_fma_f16 v2, v2, v29, v26
	v_mul_u32_u24_sdwa v26, v31, s18 dst_sel:DWORD dst_unused:UNUSED_PAD src0_sel:WORD_0 src1_sel:DWORD
	v_mul_u32_u24_sdwa v27, v31, s18 dst_sel:DWORD dst_unused:UNUSED_PAD src0_sel:WORD_1 src1_sel:DWORD
	v_pk_fma_f16 v18, v3, v26, v18
	v_pk_fma_f16 v30, v3, v27, v1
	v_pk_fma_f16 v19, v4, v26, v19
	v_pk_fma_f16 v31, v4, v27, v2
	ds_read2_b64 v[1:4], v16 offset0:128 offset1:160
	ds_read_b128 v[26:29], v15 offset:21616
	s_waitcnt lgkmcnt(0)
	v_mul_u32_u24_sdwa v32, v26, s18 dst_sel:DWORD dst_unused:UNUSED_PAD src0_sel:WORD_0 src1_sel:DWORD
	v_mul_u32_u24_sdwa v26, v26, s18 dst_sel:DWORD dst_unused:UNUSED_PAD src0_sel:WORD_1 src1_sel:DWORD
	v_pk_fma_f16 v18, v1, v32, v18
	v_pk_fma_f16 v1, v1, v26, v30
	v_pk_fma_f16 v19, v2, v32, v19
	v_pk_fma_f16 v2, v2, v26, v31
	v_mul_u32_u24_sdwa v26, v27, s18 dst_sel:DWORD dst_unused:UNUSED_PAD src0_sel:WORD_0 src1_sel:DWORD
	v_mul_u32_u24_sdwa v27, v27, s18 dst_sel:DWORD dst_unused:UNUSED_PAD src0_sel:WORD_1 src1_sel:DWORD
	v_pk_fma_f16 v18, v3, v26, v18
	v_pk_fma_f16 v30, v3, v27, v1
	v_pk_fma_f16 v19, v4, v26, v19
	v_pk_fma_f16 v26, v4, v27, v2
	ds_read2_b64 v[1:4], v16 offset0:192 offset1:224
	v_mul_u32_u24_sdwa v16, v28, s18 dst_sel:DWORD dst_unused:UNUSED_PAD src0_sel:WORD_0 src1_sel:DWORD
	v_mul_u32_u24_sdwa v27, v28, s18 dst_sel:DWORD dst_unused:UNUSED_PAD src0_sel:WORD_1 src1_sel:DWORD
	v_add_u32_e32 v31, 0x2000, v25
	s_waitcnt lgkmcnt(0)
	v_pk_fma_f16 v18, v1, v16, v18
	v_pk_fma_f16 v1, v1, v27, v30
	v_pk_fma_f16 v16, v2, v16, v19
	v_pk_fma_f16 v2, v2, v27, v26
	v_mul_u32_u24_sdwa v19, v29, s18 dst_sel:DWORD dst_unused:UNUSED_PAD src0_sel:WORD_0 src1_sel:DWORD
	v_mul_u32_u24_sdwa v26, v29, s18 dst_sel:DWORD dst_unused:UNUSED_PAD src0_sel:WORD_1 src1_sel:DWORD
	v_pk_fma_f16 v18, v3, v19, v18
	v_pk_fma_f16 v30, v3, v26, v1
	v_pk_fma_f16 v16, v4, v19, v16
	v_pk_fma_f16 v19, v4, v26, v2
	ds_read2_b64 v[1:4], v31 offset1:32
	ds_read_b128 v[26:29], v15 offset:21632
	s_waitcnt lgkmcnt(0)
	v_mul_u32_u24_sdwa v32, v26, s18 dst_sel:DWORD dst_unused:UNUSED_PAD src0_sel:WORD_0 src1_sel:DWORD
	v_mul_u32_u24_sdwa v26, v26, s18 dst_sel:DWORD dst_unused:UNUSED_PAD src0_sel:WORD_1 src1_sel:DWORD
	v_pk_fma_f16 v18, v1, v32, v18
	v_pk_fma_f16 v1, v1, v26, v30
	v_pk_fma_f16 v16, v2, v32, v16
	v_pk_fma_f16 v2, v2, v26, v19
	v_mul_u32_u24_sdwa v19, v27, s18 dst_sel:DWORD dst_unused:UNUSED_PAD src0_sel:WORD_0 src1_sel:DWORD
	v_mul_u32_u24_sdwa v26, v27, s18 dst_sel:DWORD dst_unused:UNUSED_PAD src0_sel:WORD_1 src1_sel:DWORD
	v_pk_fma_f16 v18, v3, v19, v18
	v_pk_fma_f16 v27, v3, v26, v1
	v_pk_fma_f16 v16, v4, v19, v16
	v_pk_fma_f16 v19, v4, v26, v2
	ds_read2_b64 v[1:4], v31 offset0:64 offset1:96
	v_mul_u32_u24_sdwa v26, v28, s18 dst_sel:DWORD dst_unused:UNUSED_PAD src0_sel:WORD_0 src1_sel:DWORD
	v_mul_u32_u24_sdwa v28, v28, s18 dst_sel:DWORD dst_unused:UNUSED_PAD src0_sel:WORD_1 src1_sel:DWORD
	s_waitcnt lgkmcnt(0)
	v_pk_fma_f16 v18, v1, v26, v18
	v_pk_fma_f16 v1, v1, v28, v27
	v_pk_fma_f16 v16, v2, v26, v16
	v_pk_fma_f16 v2, v2, v28, v19
	v_mul_u32_u24_sdwa v19, v29, s18 dst_sel:DWORD dst_unused:UNUSED_PAD src0_sel:WORD_0 src1_sel:DWORD
	v_mul_u32_u24_sdwa v26, v29, s18 dst_sel:DWORD dst_unused:UNUSED_PAD src0_sel:WORD_1 src1_sel:DWORD
	v_pk_fma_f16 v18, v3, v19, v18
	v_pk_fma_f16 v30, v3, v26, v1
	v_pk_fma_f16 v16, v4, v19, v16
	v_pk_fma_f16 v19, v4, v26, v2
	ds_read2_b64 v[1:4], v31 offset0:128 offset1:160
	ds_read_b128 v[26:29], v15 offset:21648
	s_waitcnt lgkmcnt(0)
	v_mul_u32_u24_sdwa v32, v26, s18 dst_sel:DWORD dst_unused:UNUSED_PAD src0_sel:WORD_0 src1_sel:DWORD
	v_mul_u32_u24_sdwa v26, v26, s18 dst_sel:DWORD dst_unused:UNUSED_PAD src0_sel:WORD_1 src1_sel:DWORD
	v_pk_fma_f16 v18, v1, v32, v18
	v_pk_fma_f16 v1, v1, v26, v30
	v_pk_fma_f16 v16, v2, v32, v16
	v_pk_fma_f16 v2, v2, v26, v19
	v_mul_u32_u24_sdwa v19, v27, s18 dst_sel:DWORD dst_unused:UNUSED_PAD src0_sel:WORD_0 src1_sel:DWORD
	v_mul_u32_u24_sdwa v26, v27, s18 dst_sel:DWORD dst_unused:UNUSED_PAD src0_sel:WORD_1 src1_sel:DWORD
	v_pk_fma_f16 v18, v3, v19, v18
	v_pk_fma_f16 v27, v3, v26, v1
	v_pk_fma_f16 v16, v4, v19, v16
	v_pk_fma_f16 v19, v4, v26, v2
	ds_read2_b64 v[1:4], v31 offset0:192 offset1:224
	v_mul_u32_u24_sdwa v26, v28, s18 dst_sel:DWORD dst_unused:UNUSED_PAD src0_sel:WORD_0 src1_sel:DWORD
	v_mul_u32_u24_sdwa v28, v28, s18 dst_sel:DWORD dst_unused:UNUSED_PAD src0_sel:WORD_1 src1_sel:DWORD
	v_add_u32_e32 v31, 0x2800, v25
	s_waitcnt lgkmcnt(0)
	v_pk_fma_f16 v18, v1, v26, v18
	v_pk_fma_f16 v1, v1, v28, v27
	v_pk_fma_f16 v16, v2, v26, v16
	v_pk_fma_f16 v2, v2, v28, v19
	v_mul_u32_u24_sdwa v19, v29, s18 dst_sel:DWORD dst_unused:UNUSED_PAD src0_sel:WORD_0 src1_sel:DWORD
	v_mul_u32_u24_sdwa v26, v29, s18 dst_sel:DWORD dst_unused:UNUSED_PAD src0_sel:WORD_1 src1_sel:DWORD
	v_pk_fma_f16 v18, v3, v19, v18
	v_pk_fma_f16 v30, v3, v26, v1
	;; [unrolled: 59-line block ×4, first 2 shown]
	v_pk_fma_f16 v16, v4, v19, v16
	v_pk_fma_f16 v19, v4, v26, v2
	ds_read2_b64 v[1:4], v30 offset1:32
	ds_read_b128 v[25:28], v15 offset:21728
	s_waitcnt lgkmcnt(0)
	v_mul_u32_u24_sdwa v31, v25, s18 dst_sel:DWORD dst_unused:UNUSED_PAD src0_sel:WORD_0 src1_sel:DWORD
	v_mul_u32_u24_sdwa v25, v25, s18 dst_sel:DWORD dst_unused:UNUSED_PAD src0_sel:WORD_1 src1_sel:DWORD
	v_pk_fma_f16 v18, v1, v31, v18
	v_pk_fma_f16 v1, v1, v25, v29
	v_pk_fma_f16 v16, v2, v31, v16
	v_pk_fma_f16 v2, v2, v25, v19
	v_mul_u32_u24_sdwa v19, v26, s18 dst_sel:DWORD dst_unused:UNUSED_PAD src0_sel:WORD_0 src1_sel:DWORD
	v_mul_u32_u24_sdwa v25, v26, s18 dst_sel:DWORD dst_unused:UNUSED_PAD src0_sel:WORD_1 src1_sel:DWORD
	v_pk_fma_f16 v18, v3, v19, v18
	v_pk_fma_f16 v26, v3, v25, v1
	;; [unrolled: 1-line block ×4, first 2 shown]
	ds_read2_b64 v[1:4], v30 offset0:64 offset1:96
	v_mul_u32_u24_sdwa v25, v27, s18 dst_sel:DWORD dst_unused:UNUSED_PAD src0_sel:WORD_0 src1_sel:DWORD
	v_mul_u32_u24_sdwa v27, v27, s18 dst_sel:DWORD dst_unused:UNUSED_PAD src0_sel:WORD_1 src1_sel:DWORD
	s_waitcnt lgkmcnt(0)
	v_pk_fma_f16 v18, v1, v25, v18
	v_pk_fma_f16 v1, v1, v27, v26
	;; [unrolled: 1-line block ×4, first 2 shown]
	v_mul_u32_u24_sdwa v19, v28, s18 dst_sel:DWORD dst_unused:UNUSED_PAD src0_sel:WORD_0 src1_sel:DWORD
	v_mul_u32_u24_sdwa v25, v28, s18 dst_sel:DWORD dst_unused:UNUSED_PAD src0_sel:WORD_1 src1_sel:DWORD
	v_pk_fma_f16 v18, v3, v19, v18
	v_pk_fma_f16 v29, v3, v25, v1
	;; [unrolled: 1-line block ×4, first 2 shown]
	ds_read2_b64 v[1:4], v30 offset0:128 offset1:160
	ds_read_b128 v[25:28], v15 offset:21744
	s_waitcnt lgkmcnt(0)
	v_mul_u32_u24_sdwa v15, v25, s18 dst_sel:DWORD dst_unused:UNUSED_PAD src0_sel:WORD_0 src1_sel:DWORD
	v_mul_u32_u24_sdwa v25, v25, s18 dst_sel:DWORD dst_unused:UNUSED_PAD src0_sel:WORD_1 src1_sel:DWORD
	v_pk_fma_f16 v18, v1, v15, v18
	v_pk_fma_f16 v1, v1, v25, v29
	;; [unrolled: 1-line block ×4, first 2 shown]
	v_mul_u32_u24_sdwa v16, v26, s18 dst_sel:DWORD dst_unused:UNUSED_PAD src0_sel:WORD_0 src1_sel:DWORD
	v_mul_u32_u24_sdwa v19, v26, s18 dst_sel:DWORD dst_unused:UNUSED_PAD src0_sel:WORD_1 src1_sel:DWORD
	v_pk_fma_f16 v18, v3, v16, v18
	v_pk_fma_f16 v25, v3, v19, v1
	v_pk_fma_f16 v15, v4, v16, v15
	v_pk_fma_f16 v16, v4, v19, v2
	ds_read2_b64 v[1:4], v30 offset0:192 offset1:224
	v_mul_u32_u24_sdwa v19, v27, s18 dst_sel:DWORD dst_unused:UNUSED_PAD src0_sel:WORD_0 src1_sel:DWORD
	v_mul_u32_u24_sdwa v26, v27, s18 dst_sel:DWORD dst_unused:UNUSED_PAD src0_sel:WORD_1 src1_sel:DWORD
	s_waitcnt lgkmcnt(0)
	s_barrier
	v_pk_fma_f16 v18, v1, v19, v18
	v_pk_fma_f16 v1, v1, v26, v25
	;; [unrolled: 1-line block ×4, first 2 shown]
	v_mul_u32_u24_sdwa v16, v28, s18 dst_sel:DWORD dst_unused:UNUSED_PAD src0_sel:WORD_0 src1_sel:DWORD
	v_mul_u32_u24_sdwa v19, v28, s18 dst_sel:DWORD dst_unused:UNUSED_PAD src0_sel:WORD_1 src1_sel:DWORD
	v_pk_fma_f16 v27, v3, v16, v18
	v_pk_fma_f16 v26, v3, v19, v1
	;; [unrolled: 1-line block ×3, first 2 shown]
	v_mov_b32_e32 v2, v5
	v_pk_fma_f16 v32, v4, v16, v15
	v_mov_b32_e32 v3, v6
.LBB88_77:
	v_cmp_lt_i32_e32 vcc, v10, v8
	v_cndmask_b32_e32 v1, v7, v10, vcc
	v_lshlrev_b32_e32 v1, 2, v1
	ds_bpermute_b32 v4, v1, v36
	ds_bpermute_b32 v1, v1, v35
	v_cmp_lt_i32_e32 vcc, v9, v8
	v_cndmask_b32_e32 v5, v7, v9, vcc
	v_lshlrev_b32_e32 v5, 2, v5
	s_waitcnt lgkmcnt(1)
	v_add_f32_e32 v4, v36, v4
	s_waitcnt lgkmcnt(0)
	v_add_f32_e32 v1, v35, v1
	ds_bpermute_b32 v6, v5, v4
	ds_bpermute_b32 v5, v5, v1
	v_cmp_lt_i32_e32 vcc, v11, v8
	v_cndmask_b32_e32 v9, v7, v11, vcc
	v_lshlrev_b32_e32 v9, 2, v9
	s_waitcnt lgkmcnt(1)
	v_add_f32_e32 v4, v4, v6
	s_waitcnt lgkmcnt(0)
	v_add_f32_e32 v1, v1, v5
	;; [unrolled: 9-line block ×4, first 2 shown]
	ds_bpermute_b32 v6, v7, v4
	ds_bpermute_b32 v5, v7, v1
	s_cmp_eq_u64 s[24:25], 0
	s_cselect_b64 s[6:7], -1, 0
	s_cmp_lg_u32 s9, 0
	s_cselect_b64 s[10:11], -1, 0
	s_or_b64 s[6:7], s[10:11], s[6:7]
	s_waitcnt lgkmcnt(1)
	v_add_f32_e32 v4, v4, v6
	s_waitcnt lgkmcnt(0)
	v_add_f32_e32 v5, v1, v5
	s_and_b64 vcc, exec, s[6:7]
	s_cbranch_vccnz .LBB88_79
; %bb.78:
	s_lshl_b64 s[6:7], s[34:35], 2
	s_add_u32 s6, s24, s6
	s_addc_u32 s7, s25, s7
	v_mov_b32_e32 v1, 0
	global_load_dword v1, v1, s[6:7]
	v_max_f32_e32 v6, v2, v2
	v_max_f32_e32 v9, v3, v3
	s_mov_b32 s6, 0x3fb8aa3b
	s_mov_b32 s7, 0xc2ce8ed0
	;; [unrolled: 1-line block ×3, first 2 shown]
	v_mov_b32_e32 v7, 0x7f800000
	s_waitcnt vmcnt(0)
	v_max_f32_e32 v10, v1, v1
	v_max_f32_e32 v8, v6, v10
	v_sub_f32_e32 v2, v2, v8
	v_max_f32_e32 v9, v9, v10
	v_sub_f32_e32 v6, v1, v8
	v_mul_f32_e32 v10, 0x3fb8aa3b, v2
	v_sub_f32_e32 v3, v3, v9
	v_mul_f32_e32 v11, 0x3fb8aa3b, v6
	v_fma_f32 v14, v2, s6, -v10
	v_rndne_f32_e32 v15, v10
	v_sub_f32_e32 v1, v1, v9
	v_mul_f32_e32 v12, 0x3fb8aa3b, v3
	v_fma_f32 v16, v6, s6, -v11
	v_rndne_f32_e32 v17, v11
	v_fmac_f32_e32 v14, 0x32a5705f, v2
	v_sub_f32_e32 v10, v10, v15
	v_mul_f32_e32 v13, 0x3fb8aa3b, v1
	v_fma_f32 v18, v3, s6, -v12
	v_rndne_f32_e32 v19, v12
	v_fmac_f32_e32 v16, 0x32a5705f, v6
	v_sub_f32_e32 v11, v11, v17
	v_add_f32_e32 v10, v10, v14
	v_fma_f32 v25, v1, s6, -v13
	v_rndne_f32_e32 v28, v13
	v_cvt_i32_f32_e32 v15, v15
	v_fmac_f32_e32 v18, 0x32a5705f, v3
	v_sub_f32_e32 v12, v12, v19
	v_add_f32_e32 v11, v11, v16
	v_exp_f32_e32 v10, v10
	v_cvt_i32_f32_e32 v17, v17
	v_fmac_f32_e32 v25, 0x32a5705f, v1
	v_sub_f32_e32 v13, v13, v28
	v_add_f32_e32 v12, v12, v18
	v_exp_f32_e32 v11, v11
	v_cvt_i32_f32_e32 v19, v19
	v_add_f32_e32 v13, v13, v25
	v_exp_f32_e32 v12, v12
	v_cvt_i32_f32_e32 v28, v28
	v_exp_f32_e32 v13, v13
	v_ldexp_f32 v10, v10, v15
	v_cmp_ngt_f32_e32 vcc, s7, v2
	v_ldexp_f32 v11, v11, v17
	v_cndmask_b32_e32 v10, 0, v10, vcc
	v_cmp_ngt_f32_e32 vcc, s7, v6
	v_ldexp_f32 v12, v12, v19
	v_cndmask_b32_e32 v11, 0, v11, vcc
	;; [unrolled: 3-line block ×3, first 2 shown]
	v_cmp_ngt_f32_e32 vcc, s7, v1
	v_cndmask_b32_e32 v13, 0, v13, vcc
	v_cmp_nlt_f32_e32 vcc, s8, v2
	v_cndmask_b32_e32 v2, v7, v10, vcc
	v_cmp_nlt_f32_e32 vcc, s8, v6
	;; [unrolled: 2-line block ×4, first 2 shown]
	v_fmac_f32_e32 v6, v4, v2
	v_cvt_f16_f32_e32 v1, v2
	v_cvt_f16_f32_e32 v2, v3
	v_cndmask_b32_e32 v7, v7, v13, vcc
	v_fmac_f32_e32 v7, v5, v3
	v_mov_b32_e32 v4, v6
	v_mul_u32_u24_e32 v2, 0x10001, v2
	v_mul_u32_u24_e32 v1, 0x10001, v1
	v_pk_mul_f16 v26, v26, v2
	v_pk_mul_f16 v29, v29, v2
	v_mov_b32_e32 v2, v8
	v_mov_b32_e32 v5, v7
	v_pk_mul_f16 v27, v27, v1
	v_pk_mul_f16 v32, v32, v1
	v_mov_b32_e32 v3, v9
	v_cmp_gt_i32_e32 vcc, s38, v24
	s_and_saveexec_b64 s[6:7], vcc
	s_cbranch_execnz .LBB88_80
	s_branch .LBB88_89
.LBB88_79:
	v_mov_b32_e32 v6, v4
	v_mov_b32_e32 v7, v5
	v_cmp_gt_i32_e32 vcc, s38, v24
	s_and_saveexec_b64 s[6:7], vcc
	s_cbranch_execz .LBB88_89
.LBB88_80:
	s_load_dword s8, s[4:5], 0xd4
	v_mov_b32_e32 v1, 1.0
	s_waitcnt lgkmcnt(0)
	s_cmp_lg_u32 s8, 1
	s_cselect_b64 s[10:11], -1, 0
	s_cmp_eq_u32 s8, 1
	s_cselect_b64 s[6:7], -1, 0
	s_and_b64 vcc, exec, s[10:11]
	s_cbranch_vccnz .LBB88_82
; %bb.81:
	v_div_scale_f32 v1, s[4:5], v6, v6, 1.0
	v_div_scale_f32 v8, vcc, 1.0, v6, 1.0
	v_rcp_f32_e32 v9, v1
	v_fma_f32 v10, -v1, v9, 1.0
	v_fmac_f32_e32 v9, v10, v9
	v_mul_f32_e32 v10, v8, v9
	v_fma_f32 v11, -v1, v10, v8
	v_fmac_f32_e32 v10, v11, v9
	v_fma_f32 v1, -v1, v10, v8
	v_div_fmas_f32 v1, v1, v9, v10
	v_div_fixup_f32 v1, v1, v6, 1.0
.LBB88_82:
	s_mul_i32 s12, s33, s38
	s_add_i32 s12, s12, s22
	v_add_u32_e32 v6, s12, v22
	v_mul_lo_u32 v6, v6, s39
	v_cmp_eq_u32_e32 vcc, 0, v0
	v_cvt_f32_f16_e32 v8, v27
	v_cvt_f32_f16_e32 v10, v32
	v_add_u32_e32 v0, s34, v6
	v_mul_lo_u32 v0, s8, v0
	v_cvt_f32_f16_sdwa v6, v27 dst_sel:DWORD dst_unused:UNUSED_PAD src0_sel:WORD_1
	v_cvt_f32_f16_sdwa v11, v32 dst_sel:DWORD dst_unused:UNUSED_PAD src0_sel:WORD_1
	v_mov_b32_e32 v13, 0
	v_add_u32_e32 v0, s9, v0
	v_lshl_add_u32 v12, v0, 7, v23
	v_lshlrev_b64 v[12:13], 2, v[12:13]
	v_mul_f32_e32 v8, v1, v8
	v_mul_f32_e32 v9, v1, v6
	;; [unrolled: 1-line block ×4, first 2 shown]
	v_mov_b32_e32 v1, s29
	v_add_co_u32_e64 v12, s[4:5], s28, v12
	v_addc_co_u32_e64 v13, s[4:5], v1, v13, s[4:5]
	s_and_b64 s[4:5], vcc, s[10:11]
	global_store_dwordx4 v[12:13], v[8:11], off
	s_and_saveexec_b64 s[10:11], s[4:5]
	s_cbranch_execz .LBB88_84
; %bb.83:
	v_ashrrev_i32_e32 v1, 31, v0
	v_lshlrev_b64 v[0:1], 3, v[0:1]
	v_mov_b32_e32 v6, s31
	v_add_co_u32_e32 v0, vcc, s30, v0
	v_addc_co_u32_e32 v1, vcc, v6, v1, vcc
	v_mov_b32_e32 v8, v2
	v_mov_b32_e32 v9, v4
	global_store_dwordx2 v[0:1], v[8:9], off
.LBB88_84:
	s_or_b64 exec, exec, s[10:11]
	v_cmp_gt_i32_e32 vcc, s38, v21
	s_and_b64 exec, exec, vcc
	s_cbranch_execz .LBB88_89
; %bb.85:
	s_andn2_b64 vcc, exec, s[6:7]
	v_mov_b32_e32 v1, 1.0
	s_cbranch_vccnz .LBB88_87
; %bb.86:
	v_div_scale_f32 v0, s[6:7], v7, v7, 1.0
	v_div_scale_f32 v1, vcc, 1.0, v7, 1.0
	v_rcp_f32_e32 v2, v0
	v_fma_f32 v4, -v0, v2, 1.0
	v_fmac_f32_e32 v2, v4, v2
	v_mul_f32_e32 v4, v1, v2
	v_fma_f32 v6, -v0, v4, v1
	v_fmac_f32_e32 v4, v6, v2
	v_fma_f32 v0, -v0, v4, v1
	v_div_fmas_f32 v0, v0, v2, v4
	v_div_fixup_f32 v1, v0, v7, 1.0
.LBB88_87:
	v_add_u32_e32 v0, s12, v20
	v_mul_lo_u32 v0, v0, s39
	v_cvt_f32_f16_e32 v2, v26
	v_cvt_f32_f16_sdwa v4, v26 dst_sel:DWORD dst_unused:UNUSED_PAD src0_sel:WORD_1
	v_cvt_f32_f16_e32 v8, v29
	v_add_u32_e32 v0, s34, v0
	v_mul_lo_u32 v0, s8, v0
	v_cvt_f32_f16_sdwa v9, v29 dst_sel:DWORD dst_unused:UNUSED_PAD src0_sel:WORD_1
	v_mov_b32_e32 v11, 0
	v_mul_f32_e32 v6, v1, v2
	v_add_u32_e32 v0, s9, v0
	v_lshl_add_u32 v10, v0, 7, v23
	v_mul_f32_e32 v7, v1, v4
	v_mul_f32_e32 v8, v1, v8
	;; [unrolled: 1-line block ×3, first 2 shown]
	v_lshlrev_b64 v[1:2], 2, v[10:11]
	v_mov_b32_e32 v4, s29
	v_add_co_u32_e32 v1, vcc, s28, v1
	v_addc_co_u32_e32 v2, vcc, v4, v2, vcc
	global_store_dwordx4 v[1:2], v[6:9], off
	s_and_b64 exec, exec, s[4:5]
	s_cbranch_execz .LBB88_89
; %bb.88:
	v_ashrrev_i32_e32 v1, 31, v0
	v_lshlrev_b64 v[0:1], 3, v[0:1]
	v_mov_b32_e32 v2, s31
	v_add_co_u32_e32 v0, vcc, s30, v0
	v_addc_co_u32_e32 v1, vcc, v2, v1, vcc
	v_mov_b32_e32 v4, v3
	global_store_dwordx2 v[0:1], v[4:5], off
	s_endpgm
.LBB88_89:
	s_endpgm
	.section	.rodata,"a",@progbits
	.p2align	6, 0x0
	.amdhsa_kernel _ZL15flash_attn_tileILi128ELi128ELi16ELi1ELb1EEvPKcS1_S1_S1_S1_PKiPfP15HIP_vector_typeIfLj2EEffffjfiS5_IjLj3EEiiiiiiiiiiiliiliiiiil
		.amdhsa_group_segment_fixed_size 23552
		.amdhsa_private_segment_fixed_size 32
		.amdhsa_kernarg_size 464
		.amdhsa_user_sgpr_count 8
		.amdhsa_user_sgpr_private_segment_buffer 1
		.amdhsa_user_sgpr_dispatch_ptr 0
		.amdhsa_user_sgpr_queue_ptr 0
		.amdhsa_user_sgpr_kernarg_segment_ptr 1
		.amdhsa_user_sgpr_dispatch_id 0
		.amdhsa_user_sgpr_flat_scratch_init 1
		.amdhsa_user_sgpr_private_segment_size 0
		.amdhsa_uses_dynamic_stack 0
		.amdhsa_system_sgpr_private_segment_wavefront_offset 1
		.amdhsa_system_sgpr_workgroup_id_x 1
		.amdhsa_system_sgpr_workgroup_id_y 1
		.amdhsa_system_sgpr_workgroup_id_z 1
		.amdhsa_system_sgpr_workgroup_info 0
		.amdhsa_system_vgpr_workitem_id 1
		.amdhsa_next_free_vgpr 85
		.amdhsa_next_free_sgpr 96
		.amdhsa_reserve_vcc 1
		.amdhsa_reserve_flat_scratch 1
		.amdhsa_float_round_mode_32 0
		.amdhsa_float_round_mode_16_64 0
		.amdhsa_float_denorm_mode_32 3
		.amdhsa_float_denorm_mode_16_64 3
		.amdhsa_dx10_clamp 1
		.amdhsa_ieee_mode 1
		.amdhsa_fp16_overflow 0
		.amdhsa_exception_fp_ieee_invalid_op 0
		.amdhsa_exception_fp_denorm_src 0
		.amdhsa_exception_fp_ieee_div_zero 0
		.amdhsa_exception_fp_ieee_overflow 0
		.amdhsa_exception_fp_ieee_underflow 0
		.amdhsa_exception_fp_ieee_inexact 0
		.amdhsa_exception_int_div_zero 0
	.end_amdhsa_kernel
	.section	.text._ZL15flash_attn_tileILi128ELi128ELi16ELi1ELb1EEvPKcS1_S1_S1_S1_PKiPfP15HIP_vector_typeIfLj2EEffffjfiS5_IjLj3EEiiiiiiiiiiiliiliiiiil,"axG",@progbits,_ZL15flash_attn_tileILi128ELi128ELi16ELi1ELb1EEvPKcS1_S1_S1_S1_PKiPfP15HIP_vector_typeIfLj2EEffffjfiS5_IjLj3EEiiiiiiiiiiiliiliiiiil,comdat
.Lfunc_end88:
	.size	_ZL15flash_attn_tileILi128ELi128ELi16ELi1ELb1EEvPKcS1_S1_S1_S1_PKiPfP15HIP_vector_typeIfLj2EEffffjfiS5_IjLj3EEiiiiiiiiiiiliiliiiiil, .Lfunc_end88-_ZL15flash_attn_tileILi128ELi128ELi16ELi1ELb1EEvPKcS1_S1_S1_S1_PKiPfP15HIP_vector_typeIfLj2EEffffjfiS5_IjLj3EEiiiiiiiiiiiliiliiiiil
                                        ; -- End function
	.set _ZL15flash_attn_tileILi128ELi128ELi16ELi1ELb1EEvPKcS1_S1_S1_S1_PKiPfP15HIP_vector_typeIfLj2EEffffjfiS5_IjLj3EEiiiiiiiiiiiliiliiiiil.num_vgpr, 84
	.set _ZL15flash_attn_tileILi128ELi128ELi16ELi1ELb1EEvPKcS1_S1_S1_S1_PKiPfP15HIP_vector_typeIfLj2EEffffjfiS5_IjLj3EEiiiiiiiiiiiliiliiiiil.num_agpr, 0
	.set _ZL15flash_attn_tileILi128ELi128ELi16ELi1ELb1EEvPKcS1_S1_S1_S1_PKiPfP15HIP_vector_typeIfLj2EEffffjfiS5_IjLj3EEiiiiiiiiiiiliiliiiiil.numbered_sgpr, 52
	.set _ZL15flash_attn_tileILi128ELi128ELi16ELi1ELb1EEvPKcS1_S1_S1_S1_PKiPfP15HIP_vector_typeIfLj2EEffffjfiS5_IjLj3EEiiiiiiiiiiiliiliiiiil.num_named_barrier, 0
	.set _ZL15flash_attn_tileILi128ELi128ELi16ELi1ELb1EEvPKcS1_S1_S1_S1_PKiPfP15HIP_vector_typeIfLj2EEffffjfiS5_IjLj3EEiiiiiiiiiiiliiliiiiil.private_seg_size, 32
	.set _ZL15flash_attn_tileILi128ELi128ELi16ELi1ELb1EEvPKcS1_S1_S1_S1_PKiPfP15HIP_vector_typeIfLj2EEffffjfiS5_IjLj3EEiiiiiiiiiiiliiliiiiil.uses_vcc, 1
	.set _ZL15flash_attn_tileILi128ELi128ELi16ELi1ELb1EEvPKcS1_S1_S1_S1_PKiPfP15HIP_vector_typeIfLj2EEffffjfiS5_IjLj3EEiiiiiiiiiiiliiliiiiil.uses_flat_scratch, 1
	.set _ZL15flash_attn_tileILi128ELi128ELi16ELi1ELb1EEvPKcS1_S1_S1_S1_PKiPfP15HIP_vector_typeIfLj2EEffffjfiS5_IjLj3EEiiiiiiiiiiiliiliiiiil.has_dyn_sized_stack, 0
	.set _ZL15flash_attn_tileILi128ELi128ELi16ELi1ELb1EEvPKcS1_S1_S1_S1_PKiPfP15HIP_vector_typeIfLj2EEffffjfiS5_IjLj3EEiiiiiiiiiiiliiliiiiil.has_recursion, 0
	.set _ZL15flash_attn_tileILi128ELi128ELi16ELi1ELb1EEvPKcS1_S1_S1_S1_PKiPfP15HIP_vector_typeIfLj2EEffffjfiS5_IjLj3EEiiiiiiiiiiiliiliiiiil.has_indirect_call, 0
	.section	.AMDGPU.csdata,"",@progbits
; Kernel info:
; codeLenInByte = 22716
; TotalNumSgprs: 58
; NumVgprs: 84
; ScratchSize: 32
; MemoryBound: 0
; FloatMode: 240
; IeeeMode: 1
; LDSByteSize: 23552 bytes/workgroup (compile time only)
; SGPRBlocks: 12
; VGPRBlocks: 21
; NumSGPRsForWavesPerEU: 102
; NumVGPRsForWavesPerEU: 85
; Occupancy: 2
; WaveLimiterHint : 1
; COMPUTE_PGM_RSRC2:SCRATCH_EN: 1
; COMPUTE_PGM_RSRC2:USER_SGPR: 8
; COMPUTE_PGM_RSRC2:TRAP_HANDLER: 0
; COMPUTE_PGM_RSRC2:TGID_X_EN: 1
; COMPUTE_PGM_RSRC2:TGID_Y_EN: 1
; COMPUTE_PGM_RSRC2:TGID_Z_EN: 1
; COMPUTE_PGM_RSRC2:TIDIG_COMP_CNT: 1
	.section	.text._ZL15flash_attn_tileILi128ELi128ELi8ELi1ELb1EEvPKcS1_S1_S1_S1_PKiPfP15HIP_vector_typeIfLj2EEffffjfiS5_IjLj3EEiiiiiiiiiiiliiliiiiil,"axG",@progbits,_ZL15flash_attn_tileILi128ELi128ELi8ELi1ELb1EEvPKcS1_S1_S1_S1_PKiPfP15HIP_vector_typeIfLj2EEffffjfiS5_IjLj3EEiiiiiiiiiiiliiliiiiil,comdat
	.globl	_ZL15flash_attn_tileILi128ELi128ELi8ELi1ELb1EEvPKcS1_S1_S1_S1_PKiPfP15HIP_vector_typeIfLj2EEffffjfiS5_IjLj3EEiiiiiiiiiiiliiliiiiil ; -- Begin function _ZL15flash_attn_tileILi128ELi128ELi8ELi1ELb1EEvPKcS1_S1_S1_S1_PKiPfP15HIP_vector_typeIfLj2EEffffjfiS5_IjLj3EEiiiiiiiiiiiliiliiiiil
	.p2align	8
	.type	_ZL15flash_attn_tileILi128ELi128ELi8ELi1ELb1EEvPKcS1_S1_S1_S1_PKiPfP15HIP_vector_typeIfLj2EEffffjfiS5_IjLj3EEiiiiiiiiiiiliiliiiiil,@function
_ZL15flash_attn_tileILi128ELi128ELi8ELi1ELb1EEvPKcS1_S1_S1_S1_PKiPfP15HIP_vector_typeIfLj2EEffffjfiS5_IjLj3EEiiiiiiiiiiiliiliiiiil: ; @_ZL15flash_attn_tileILi128ELi128ELi8ELi1ELb1EEvPKcS1_S1_S1_S1_PKiPfP15HIP_vector_typeIfLj2EEffffjfiS5_IjLj3EEiiiiiiiiiiiliiliiiiil
; %bb.0:
	s_load_dwordx4 s[28:31], s[4:5], 0x5c
	s_load_dwordx2 s[42:43], s[4:5], 0x80
	s_add_u32 flat_scratch_lo, s6, s11
	s_addc_u32 flat_scratch_hi, s7, 0
	s_add_u32 s0, s0, s11
	s_waitcnt lgkmcnt(0)
	v_cvt_f32_u32_e32 v2, s31
	s_addc_u32 s1, s1, 0
	s_sub_i32 s6, 0, s31
	s_load_dwordx2 s[44:45], s[4:5], 0xb8
	v_rcp_iflag_f32_e32 v2, v2
	s_mov_b64 s[40:41], 0
	v_mul_f32_e32 v2, 0x4f7ffffe, v2
	v_cvt_u32_f32_e32 v2, v2
	v_readfirstlane_b32 s7, v2
	s_mul_i32 s6, s6, s7
	s_mul_hi_u32 s6, s7, s6
	s_add_i32 s7, s7, s6
	s_mul_hi_u32 s6, s10, s7
	s_mul_i32 s7, s6, s31
	s_sub_i32 s7, s10, s7
	s_add_i32 s11, s6, 1
	s_sub_i32 s12, s7, s31
	s_cmp_ge_u32 s7, s31
	s_cselect_b32 s6, s11, s6
	s_cselect_b32 s7, s12, s7
	s_add_i32 s11, s6, 1
	s_cmp_ge_u32 s7, s31
	s_cselect_b32 s33, s11, s6
	s_abs_i32 s6, s43
	v_cvt_f32_u32_e32 v2, s6
	s_mul_i32 s12, s33, s31
	s_sub_i32 s13, 0, s6
	s_sub_i32 s34, s10, s12
	v_rcp_iflag_f32_e32 v2, v2
	s_abs_i32 s11, s31
	s_xor_b32 s7, s31, s43
	s_ashr_i32 s7, s7, 31
	v_mul_f32_e32 v2, 0x4f7ffffe, v2
	v_cvt_u32_f32_e32 v2, v2
	v_readfirstlane_b32 s10, v2
	s_mul_i32 s13, s13, s10
	s_mul_hi_u32 s12, s10, s13
	s_add_i32 s10, s10, s12
	s_mul_hi_u32 s10, s11, s10
	s_mul_i32 s12, s10, s6
	s_sub_i32 s11, s11, s12
	s_add_i32 s13, s10, 1
	s_sub_i32 s12, s11, s6
	s_cmp_ge_u32 s11, s6
	s_cselect_b32 s10, s13, s10
	s_cselect_b32 s11, s12, s11
	s_add_i32 s12, s10, 1
	s_cmp_ge_u32 s11, s6
	s_cselect_b32 s6, s12, s10
	s_xor_b32 s6, s6, s7
	s_sub_i32 s47, s6, s7
	s_abs_i32 s43, s47
	v_cvt_f32_u32_e32 v2, s43
	s_load_dwordx16 s[12:27], s[4:5], 0x0
	s_sub_i32 s6, 0, s43
	s_abs_i32 s46, s34
	v_rcp_iflag_f32_e32 v2, v2
	v_mul_f32_e32 v2, 0x4f7ffffe, v2
	v_cvt_u32_f32_e32 v2, v2
	v_readfirstlane_b32 s7, v2
	s_mul_i32 s6, s6, s7
	s_mul_hi_u32 s6, s7, s6
	s_add_i32 s6, s7, s6
	s_waitcnt lgkmcnt(0)
	s_cmp_eq_u64 s[18:19], 0
	s_cbranch_scc1 .LBB89_2
; %bb.1:
	s_abs_i32 s7, s44
	v_cvt_f32_u32_e32 v2, s7
	s_sub_i32 s37, 0, s7
	s_abs_i32 s36, s33
	s_ashr_i32 s35, s33, 31
	v_rcp_iflag_f32_e32 v2, v2
	s_load_dwordx2 s[10:11], s[4:5], 0xc8
	v_mul_f32_e32 v2, 0x4f7ffffe, v2
	v_cvt_u32_f32_e32 v2, v2
	v_readfirstlane_b32 s38, v2
	s_mul_i32 s37, s37, s38
	s_mul_hi_u32 s37, s38, s37
	s_add_i32 s38, s38, s37
	s_mul_hi_u32 s37, s36, s38
	s_mul_i32 s37, s37, s7
	s_sub_i32 s36, s36, s37
	s_sub_i32 s37, s36, s7
	s_cmp_ge_u32 s36, s7
	s_cselect_b32 s36, s37, s36
	s_sub_i32 s37, s36, s7
	s_cmp_ge_u32 s36, s7
	s_cselect_b32 s7, s37, s36
	s_xor_b32 s7, s7, s35
	s_sub_i32 s7, s7, s35
	s_ashr_i32 s35, s7, 31
	s_waitcnt lgkmcnt(0)
	s_mul_hi_u32 s36, s10, s7
	s_mul_i32 s35, s10, s35
	s_mul_i32 s11, s11, s7
	s_add_i32 s35, s36, s35
	s_add_i32 s35, s35, s11
	s_mul_i32 s7, s10, s7
	s_add_u32 s40, s18, s7
	s_addc_u32 s41, s19, s35
.LBB89_2:
	s_load_dwordx4 s[36:39], s[4:5], 0x40
	s_load_dwordx2 s[18:19], s[4:5], 0x50
	s_mul_hi_u32 s44, s46, s6
	v_mov_b32_e32 v27, 1.0
	s_waitcnt lgkmcnt(0)
	v_cmp_le_f32_e64 s[6:7], s37, 0
	s_and_b64 vcc, exec, s[6:7]
	s_cbranch_vccnz .LBB89_4
; %bb.3:
	v_mov_b32_e32 v2, s18
	v_sub_co_u32_e32 v2, vcc, s34, v2
	v_mov_b32_e32 v3, s39
	v_mov_b32_e32 v4, s38
	s_add_i32 s6, s34, 1
	v_lshlrev_b32_e32 v2, 1, v2
	v_cndmask_b32_e32 v3, v3, v4, vcc
	v_or_b32_e32 v2, 1, v2
	v_mov_b32_e32 v4, s6
	v_cndmask_b32_e32 v2, v2, v4, vcc
	v_cvt_f32_i32_e32 v2, v2
	v_cmp_neq_f32_e32 vcc, 1.0, v3
	s_mov_b32 s6, 0x3f2aaaab
	s_movk_i32 s10, 0x204
	v_cndmask_b32_e32 v4, 1.0, v2, vcc
	v_cmp_neq_f32_e32 vcc, 0, v4
	v_cndmask_b32_e32 v5, 1.0, v3, vcc
	v_frexp_mant_f32_e64 v2, |v5|
	v_cmp_gt_f32_e32 vcc, s6, v2
	v_cndmask_b32_e64 v3, 1.0, 2.0, vcc
	v_mul_f32_e32 v2, v2, v3
	v_add_f32_e32 v3, 1.0, v2
	v_rcp_f32_e32 v6, v3
	v_add_f32_e32 v7, -1.0, v2
	v_add_f32_e32 v8, -1.0, v3
	v_sub_f32_e32 v2, v2, v8
	v_mul_f32_e32 v8, v7, v6
	v_mul_f32_e32 v9, v3, v8
	v_fma_f32 v3, v8, v3, -v9
	v_fmac_f32_e32 v3, v8, v2
	v_add_f32_e32 v2, v9, v3
	v_sub_f32_e32 v10, v7, v2
	v_sub_f32_e32 v9, v2, v9
	;; [unrolled: 1-line block ×5, first 2 shown]
	v_add_f32_e32 v2, v3, v2
	v_add_f32_e32 v2, v10, v2
	v_mul_f32_e32 v2, v6, v2
	v_add_f32_e32 v6, v8, v2
	v_sub_f32_e32 v3, v6, v8
	v_sub_f32_e32 v7, v2, v3
	v_mul_f32_e32 v2, v6, v6
	v_fma_f32 v3, v6, v6, -v2
	v_add_f32_e32 v8, v7, v7
	v_fmac_f32_e32 v3, v6, v8
	v_add_f32_e32 v8, v2, v3
	v_mov_b32_e32 v9, 0x3e91f4c4
	v_sub_f32_e32 v2, v8, v2
	v_fmac_f32_e32 v9, 0x3e76c4e1, v8
	v_mov_b32_e32 v10, 0x3ecccdef
	v_sub_f32_e32 v2, v3, v2
	v_mul_f32_e32 v3, v6, v8
	v_fmac_f32_e32 v10, v8, v9
	v_fma_f32 v9, v8, v6, -v3
	v_fmac_f32_e32 v9, v8, v7
	v_fmac_f32_e32 v9, v2, v6
	v_add_f32_e32 v11, v3, v9
	v_sub_f32_e32 v3, v11, v3
	v_sub_f32_e32 v9, v9, v3
	v_mul_f32_e32 v3, v8, v10
	v_fma_f32 v8, v8, v10, -v3
	v_fmac_f32_e32 v8, v2, v10
	v_add_f32_e32 v10, v3, v8
	v_sub_f32_e32 v2, v10, v3
	v_sub_f32_e32 v8, v8, v2
	v_cvt_f64_f32_e64 v[2:3], |v5|
	v_add_f32_e32 v12, 0x3f2aaaaa, v10
	v_add_f32_e32 v13, 0xbf2aaaaa, v12
	;; [unrolled: 1-line block ×3, first 2 shown]
	v_frexp_exp_i32_f64_e32 v2, v[2:3]
	v_sub_f32_e32 v10, v10, v13
	v_add_f32_e32 v3, v8, v10
	v_add_f32_e32 v8, v12, v3
	v_sub_f32_e32 v10, v12, v8
	v_add_f32_e32 v3, v3, v10
	v_mul_f32_e32 v10, v11, v8
	v_fma_f32 v12, v11, v8, -v10
	v_subbrev_co_u32_e32 v2, vcc, 0, v2, vcc
	v_cvt_f32_i32_e32 v2, v2
	v_fmac_f32_e32 v12, v11, v3
	s_mov_b32 s6, 0x3f317218
	v_fmac_f32_e32 v12, v9, v8
	v_mul_f32_e32 v3, 0x3f317218, v2
	v_fma_f32 v8, v2, s6, -v3
	v_fmac_f32_e32 v8, 0xb102e308, v2
	v_ldexp_f32 v2, v7, 1
	v_add_f32_e32 v7, v3, v8
	v_sub_f32_e32 v3, v7, v3
	v_ldexp_f32 v6, v6, 1
	v_sub_f32_e32 v3, v8, v3
	v_add_f32_e32 v8, v10, v12
	v_sub_f32_e32 v9, v8, v10
	v_add_f32_e32 v10, v6, v8
	v_sub_f32_e32 v9, v12, v9
	v_sub_f32_e32 v6, v10, v6
	;; [unrolled: 1-line block ×3, first 2 shown]
	v_add_f32_e32 v2, v2, v9
	v_add_f32_e32 v2, v2, v6
	;; [unrolled: 1-line block ×3, first 2 shown]
	v_sub_f32_e32 v8, v6, v10
	v_sub_f32_e32 v2, v2, v8
	v_add_f32_e32 v8, v7, v6
	v_sub_f32_e32 v9, v8, v7
	v_sub_f32_e32 v10, v8, v9
	;; [unrolled: 1-line block ×4, first 2 shown]
	v_add_f32_e32 v6, v6, v7
	v_add_f32_e32 v7, v3, v2
	v_sub_f32_e32 v9, v7, v3
	v_sub_f32_e32 v10, v7, v9
	;; [unrolled: 1-line block ×4, first 2 shown]
	v_add_f32_e32 v2, v2, v3
	v_add_f32_e32 v3, v7, v6
	;; [unrolled: 1-line block ×3, first 2 shown]
	v_sub_f32_e32 v7, v6, v8
	v_sub_f32_e32 v3, v3, v7
	v_add_f32_e32 v2, v2, v3
	v_add_f32_e32 v3, v6, v2
	v_sub_f32_e32 v6, v3, v6
	v_sub_f32_e32 v2, v2, v6
	v_mul_f32_e32 v6, v4, v3
	v_fma_f32 v3, v4, v3, -v6
	v_fmac_f32_e32 v3, v4, v2
	v_add_f32_e32 v2, v6, v3
	v_cmp_class_f32_e64 vcc, v6, s10
	v_sub_f32_e32 v7, v2, v6
	v_cndmask_b32_e32 v2, v2, v6, vcc
	s_mov_b32 s7, 0x42b17218
	v_mov_b32_e32 v6, 0x37000000
	v_cmp_eq_f32_e32 vcc, s7, v2
	v_cndmask_b32_e32 v6, 0, v6, vcc
	v_sub_f32_e32 v3, v3, v7
	v_sub_f32_e32 v7, v2, v6
	s_mov_b32 s11, 0x3fb8aa3b
	v_mul_f32_e32 v8, 0x3fb8aa3b, v7
	v_fma_f32 v9, v7, s11, -v8
	v_rndne_f32_e32 v10, v8
	v_fmac_f32_e32 v9, 0x32a5705f, v7
	v_sub_f32_e32 v8, v8, v10
	v_add_f32_e32 v8, v8, v9
	v_exp_f32_e32 v8, v8
	v_cvt_i32_f32_e32 v9, v10
	s_mov_b32 s6, 0x7f800000
	v_cmp_neq_f32_e64 vcc, |v2|, s6
	s_mov_b32 s6, 0xc2ce8ed0
	v_cndmask_b32_e32 v2, 0, v3, vcc
	v_ldexp_f32 v3, v8, v9
	v_cmp_ngt_f32_e32 vcc, s6, v7
	v_add_f32_e32 v2, v6, v2
	v_cndmask_b32_e32 v3, 0, v3, vcc
	v_mov_b32_e32 v6, 0x7f800000
	v_cmp_nlt_f32_e32 vcc, s7, v7
	v_cndmask_b32_e32 v3, v6, v3, vcc
	v_fma_f32 v2, v3, v2, v3
	v_cmp_class_f32_e64 vcc, v3, s10
	v_cndmask_b32_e32 v2, v2, v3, vcc
	v_trunc_f32_e32 v3, v4
	v_cmp_eq_f32_e32 vcc, v3, v4
	v_mul_f32_e32 v3, 0.5, v4
	v_trunc_f32_e32 v8, v3
	v_cmp_neq_f32_e64 s[6:7], v8, v3
	s_and_b64 s[6:7], vcc, s[6:7]
	v_cndmask_b32_e64 v3, 1.0, v5, s[6:7]
	s_brev_b32 s18, -2
	v_mov_b32_e32 v7, 0x7fc00000
	v_bfi_b32 v2, s18, v2, v3
	v_cndmask_b32_e32 v3, v7, v2, vcc
	v_cmp_gt_f32_e32 vcc, 0, v5
	v_cndmask_b32_e32 v2, v2, v3, vcc
	v_cmp_class_f32_e64 s[38:39], v5, s10
	v_cmp_eq_f32_e32 vcc, 0, v5
	v_cmp_gt_f32_e64 s[10:11], 0, v4
	s_xor_b64 s[10:11], s[10:11], vcc
	v_cndmask_b32_e64 v3, v6, 0, s[10:11]
	v_cndmask_b32_e64 v4, 0, v5, s[6:7]
	v_bfi_b32 v3, s18, v3, v4
	s_or_b64 vcc, vcc, s[38:39]
	v_cndmask_b32_e32 v2, v2, v3, vcc
	v_cmp_o_f32_e32 vcc, v5, v5
	v_cndmask_b32_e32 v27, v7, v2, vcc
.LBB89_4:
	s_load_dwordx4 s[48:51], s[4:5], 0x70
	v_lshl_add_u32 v22, s8, 3, v1
	v_mul_hi_u32 v2, s28, v22
	s_ashr_i32 s35, s34, 31
	s_ashr_i32 s6, s47, 31
	s_waitcnt lgkmcnt(0)
	s_mul_i32 s7, s33, s50
	v_add_u32_e32 v2, v22, v2
	s_ashr_i32 s10, s7, 31
	v_lshrrev_b32_e32 v2, s29, v2
	s_add_u32 s7, s12, s7
	s_mul_i32 s11, s34, s49
	v_mul_lo_u32 v2, v2, s30
	s_addc_u32 s10, s13, s10
	s_ashr_i32 s12, s11, 31
	s_add_u32 s7, s7, s11
	s_addc_u32 s12, s10, s12
	s_ashr_i32 s49, s48, 31
	v_sub_u32_e32 v29, v22, v2
	s_lshr_b64 s[10:11], s[48:49], 2
	v_mad_u64_u32 v[2:3], s[10:11], s10, v29, 0
	s_lshr_b32 s10, s49, 2
	v_mov_b32_e32 v6, 0x4400
	v_mad_u64_u32 v[3:4], s[10:11], s10, v29, v[3:4]
	v_mov_b32_e32 v4, s12
	v_lshlrev_b32_e32 v24, 3, v0
	v_lshlrev_b64 v[2:3], 2, v[2:3]
	v_lshl_add_u32 v30, v1, 8, v6
	v_add_co_u32_e32 v2, vcc, s7, v2
	v_addc_co_u32_e32 v3, vcc, v4, v3, vcc
	v_lshlrev_b32_e32 v4, 4, v0
	v_add_co_u32_e32 v2, vcc, v2, v4
	v_addc_co_u32_e32 v3, vcc, 0, v3, vcc
	global_load_dwordx4 v[2:5], v[2:3], off
	v_mov_b32_e32 v20, 0
	v_add_u32_e32 v6, v30, v24
	s_cmp_eq_u64 s[22:23], 0
	s_waitcnt vmcnt(0)
	v_fma_mixlo_f16 v2, s36, v2, 0
	v_fma_mixlo_f16 v3, s36, v3, 0
	v_fma_mixlo_f16 v4, s36, v4, 0
	v_fma_mixlo_f16 v5, s36, v5, 0
	v_lshlrev_b32_e32 v3, 16, v3
	v_and_b32_e32 v2, 0xffff, v2
	v_lshlrev_b32_e32 v5, 16, v5
	v_and_b32_e32 v4, 0xffff, v4
	v_or_b32_e32 v2, v3, v2
	v_or3_b32 v3, v5, v4, 0
	v_or3_b32 v2, 0, 0, v2
	ds_write_b64 v6, v[2:3]
	s_waitcnt lgkmcnt(0)
	s_barrier
	s_cbranch_scc1 .LBB89_6
; %bb.5:
	s_load_dword s7, s[4:5], 0xd0
	s_mov_b32 s11, 0
	s_waitcnt lgkmcnt(0)
	s_mul_i32 s7, s7, s33
	s_add_i32 s10, s7, s8
	s_lshl_b64 s[10:11], s[10:11], 2
	s_add_u32 s10, s22, s10
	s_addc_u32 s11, s23, s11
	s_load_dword s42, s[10:11], 0x0
.LBB89_6:
	s_nop 0
	s_load_dwordx2 s[10:11], s[4:5], 0x8c
	s_load_dwordx4 s[36:39], s[4:5], 0x98
	s_ashr_i32 s7, s33, 31
	s_ashr_i32 s18, s45, 1
	s_load_dwordx2 s[12:13], s[4:5], 0xa8
	s_waitcnt lgkmcnt(0)
	s_ashr_i32 s22, s10, 2
	s_mul_hi_u32 s10, s36, s33
	s_mul_i32 s23, s36, s7
	s_add_i32 s10, s10, s23
	s_mul_i32 s23, s37, s33
	s_ashr_i32 s8, s38, 2
	s_add_i32 s10, s10, s23
	s_mul_i32 s23, s36, s33
	s_add_u32 s14, s14, s23
	s_addc_u32 s10, s15, s10
	s_mul_i32 s15, s44, s43
	s_sub_i32 s15, s46, s15
	s_xor_b32 s6, s35, s6
	s_add_i32 s23, s44, 1
	s_sub_i32 s28, s15, s43
	s_cmp_ge_u32 s15, s43
	s_cselect_b32 s23, s23, s44
	s_cselect_b32 s15, s28, s15
	s_add_i32 s28, s23, 1
	s_cmp_ge_u32 s15, s43
	s_cselect_b32 s15, s28, s23
	s_xor_b32 s15, s15, s6
	s_sub_i32 s6, s15, s6
	s_mul_i32 s11, s6, s11
	s_ashr_i32 s15, s11, 31
	s_add_u32 s37, s14, s11
	s_addc_u32 s23, s10, s15
	s_mul_hi_u32 s10, s12, s33
	s_mul_i32 s7, s12, s7
	s_add_i32 s7, s10, s7
	s_mul_i32 s10, s13, s33
	s_add_i32 s7, s7, s10
	s_mul_i32 s10, s12, s33
	s_add_u32 s10, s16, s10
	s_mul_i32 s6, s6, s39
	s_addc_u32 s7, s17, s7
	s_ashr_i32 s11, s6, 31
	s_add_u32 s28, s10, s6
	v_lshlrev_b32_e32 v23, 2, v0
	s_addc_u32 s29, s7, s11
	s_lshl_b32 s36, s9, 6
	s_sub_i32 s16, s42, 64
	s_cmp_ge_i32 s36, s16
	v_lshrrev_b32_e32 v32, 4, v0
	v_and_b32_e32 v31, 60, v23
	v_mbcnt_lo_u32_b32 v28, -1, 0
	s_cbranch_scc1 .LBB89_23
; %bb.7:
	v_lshl_add_u32 v13, v1, 1, v32
	v_mul_lo_u32 v4, s22, v13
	v_lshlrev_b32_e32 v14, 2, v31
	s_movk_i32 s6, 0x110
	v_mad_u32_u24 v33, v13, s6, v14
	s_lshl_b32 s6, s22, 4
	v_add_u32_e32 v6, s6, v4
	v_mul_lo_u32 v12, s8, v13
	v_add_u32_e32 v8, s6, v6
	v_add_u32_e32 v10, s6, v8
	s_cmp_lg_u64 s[40:41], 0
	v_mad_u64_u32 v[2:3], s[6:7], v29, s18, v[0:1]
	s_cselect_b64 s[10:11], -1, 0
	s_lshl_b32 s6, s8, 4
	v_lshl_or_b32 v40, v13, 8, v14
	v_add_u32_e32 v14, s6, v12
	v_add_u32_e32 v16, s6, v14
	;; [unrolled: 1-line block ×3, first 2 shown]
	v_ashrrev_i32_e32 v5, 31, v4
	v_ashrrev_i32_e32 v7, 31, v6
	;; [unrolled: 1-line block ×4, first 2 shown]
	v_mov_b32_e32 v3, 0x4c00
	v_ashrrev_i32_e32 v13, 31, v12
	v_ashrrev_i32_e32 v15, 31, v14
	;; [unrolled: 1-line block ×4, first 2 shown]
	v_lshl_add_u32 v38, v1, 7, v3
	s_add_u32 s12, s4, 0xd0
	v_lshlrev_b64 v[3:4], 2, v[4:5]
	v_lshlrev_b64 v[6:7], 2, v[6:7]
	;; [unrolled: 1-line block ×8, first 2 shown]
	v_mov_b32_e32 v25, 0
	v_add_u32_e32 v34, 0x1100, v33
	v_add_u32_e32 v35, 0x2200, v33
	;; [unrolled: 1-line block ×3, first 2 shown]
	v_mul_u32_u24_e32 v37, 0x110, v0
	v_lshl_add_u32 v39, v0, 1, v38
	v_add_u32_e32 v41, 0x1000, v40
	v_add_u32_e32 v42, 0x2000, v40
	;; [unrolled: 1-line block ×3, first 2 shown]
	s_addc_u32 s13, s5, 0
	v_mov_b32_e32 v51, 0xfeffffff
	v_lshlrev_b32_e32 v44, 2, v31
	s_mov_b32 s17, 0x3f200000
	s_mov_b32 s38, 0x3fb8aa3b
	;; [unrolled: 1-line block ×4, first 2 shown]
	v_mov_b32_e32 v45, 0xbd5c1c4e
	v_mov_b32_e32 v46, 0x3e088382
	v_mov_b32_e32 v47, 0xbeaaaa99
	s_brev_b32 s44, -2
	s_mov_b32 s45, 0x10001
	v_mov_b32_e32 v48, 0x7f800000
	v_mbcnt_hi_u32_b32 v49, -1, v28
	v_mov_b32_e32 v26, 0
	v_mov_b32_e32 v50, 0
.LBB89_8:                               ; =>This Inner Loop Header: Depth=1
	s_mul_hi_i32 s7, s36, s22
	s_mul_i32 s6, s36, s22
	s_lshl_b64 s[6:7], s[6:7], 2
	s_add_u32 s6, s37, s6
	s_addc_u32 s7, s23, s7
	v_mov_b32_e32 v5, s7
	v_add_co_u32_e32 v20, vcc, s6, v3
	v_addc_co_u32_e32 v5, vcc, v5, v4, vcc
	v_add_co_u32_e32 v20, vcc, v20, v44
	v_addc_co_u32_e32 v21, vcc, 0, v5, vcc
	v_mov_b32_e32 v5, s7
	v_add_co_u32_e32 v52, vcc, s6, v6
	v_addc_co_u32_e32 v5, vcc, v5, v7, vcc
	v_add_co_u32_e32 v60, vcc, v52, v44
	v_addc_co_u32_e32 v61, vcc, 0, v5, vcc
	global_load_dwordx4 v[52:55], v[20:21], off
	global_load_dwordx4 v[56:59], v[60:61], off
	v_mov_b32_e32 v5, s7
	v_add_co_u32_e32 v20, vcc, s6, v8
	v_addc_co_u32_e32 v5, vcc, v5, v9, vcc
	v_add_co_u32_e32 v20, vcc, v20, v44
	v_addc_co_u32_e32 v21, vcc, 0, v5, vcc
	v_mov_b32_e32 v5, s7
	v_add_co_u32_e32 v60, vcc, s6, v10
	v_addc_co_u32_e32 v5, vcc, v5, v11, vcc
	v_add_co_u32_e32 v64, vcc, v60, v44
	v_addc_co_u32_e32 v65, vcc, 0, v5, vcc
	global_load_dwordx4 v[60:63], v[20:21], off
	s_nop 0
	global_load_dwordx4 v[64:67], v[64:65], off
	v_mov_b32_e32 v5, 0
	s_waitcnt vmcnt(3)
	ds_write_b128 v33, v[52:55]
	s_waitcnt vmcnt(2)
	ds_write_b128 v34, v[56:59]
	;; [unrolled: 2-line block ×4, first 2 shown]
	s_waitcnt lgkmcnt(0)
	s_barrier
	ds_read_b128 v[53:56], v37
	ds_read_b128 v[57:60], v30
	ds_read_b128 v[61:64], v37 offset:8704
	s_waitcnt lgkmcnt(1)
	;;#ASMSTART
	v_dot2_f32_f16 v5, v53, v57, v5
	;;#ASMEND
	;;#ASMSTART
	v_dot2_f32_f16 v5, v54, v58, v5
	;;#ASMEND
	v_mov_b32_e32 v52, 0
	;;#ASMSTART
	v_dot2_f32_f16 v5, v55, v59, v5
	;;#ASMEND
	;;#ASMSTART
	v_dot2_f32_f16 v5, v56, v60, v5
	;;#ASMEND
	s_waitcnt lgkmcnt(0)
	;;#ASMSTART
	v_dot2_f32_f16 v52, v61, v57, v52
	;;#ASMEND
	;;#ASMSTART
	v_dot2_f32_f16 v52, v62, v58, v52
	;;#ASMEND
	;;#ASMSTART
	v_dot2_f32_f16 v52, v63, v59, v52
	;;#ASMEND
	;;#ASMSTART
	v_dot2_f32_f16 v52, v64, v60, v52
	;;#ASMEND
	ds_read_b128 v[53:56], v37 offset:16
	ds_read_b128 v[57:60], v30 offset:16
	ds_read_b128 v[61:64], v37 offset:8720
	s_waitcnt lgkmcnt(1)
	;;#ASMSTART
	v_dot2_f32_f16 v5, v53, v57, v5
	;;#ASMEND
	;;#ASMSTART
	v_dot2_f32_f16 v5, v54, v58, v5
	;;#ASMEND
	;;#ASMSTART
	v_dot2_f32_f16 v5, v55, v59, v5
	;;#ASMEND
	;;#ASMSTART
	v_dot2_f32_f16 v5, v56, v60, v5
	;;#ASMEND
	s_waitcnt lgkmcnt(0)
	;;#ASMSTART
	v_dot2_f32_f16 v52, v61, v57, v52
	;;#ASMEND
	;;#ASMSTART
	v_dot2_f32_f16 v52, v62, v58, v52
	;;#ASMEND
	;;#ASMSTART
	v_dot2_f32_f16 v52, v63, v59, v52
	;;#ASMEND
	;;#ASMSTART
	v_dot2_f32_f16 v52, v64, v60, v52
	;;#ASMEND
	ds_read_b128 v[53:56], v37 offset:32
	ds_read_b128 v[57:60], v30 offset:32
	ds_read_b128 v[61:64], v37 offset:8736
	s_waitcnt lgkmcnt(1)
	;;#ASMSTART
	v_dot2_f32_f16 v5, v53, v57, v5
	;;#ASMEND
	;;#ASMSTART
	v_dot2_f32_f16 v5, v54, v58, v5
	;;#ASMEND
	;; [unrolled: 29-line block ×15, first 2 shown]
	;;#ASMSTART
	v_dot2_f32_f16 v5, v55, v59, v5
	;;#ASMEND
	;;#ASMSTART
	v_dot2_f32_f16 v5, v56, v60, v5
	;;#ASMEND
	s_waitcnt lgkmcnt(0)
	;;#ASMSTART
	v_dot2_f32_f16 v52, v61, v57, v52
	;;#ASMEND
	;;#ASMSTART
	v_dot2_f32_f16 v52, v62, v58, v52
	;;#ASMEND
	;; [unrolled: 3-line block ×3, first 2 shown]
	v_cmp_nlt_f32_e64 s[6:7], |v5|, s17
	;;#ASMSTART
	v_dot2_f32_f16 v52, v64, v60, v52
	;;#ASMEND
                                        ; implicit-def: $vgpr54
	s_and_saveexec_b64 s[14:15], s[6:7]
	s_xor_b64 s[6:7], exec, s[14:15]
	s_cbranch_execz .LBB89_10
; %bb.9:                                ;   in Loop: Header=BB89_8 Depth=1
	v_add_f32_e64 v20, |v5|, |v5|
	v_mul_f32_e32 v21, 0x3fb8aa3b, v20
	v_rndne_f32_e32 v53, v21
	v_sub_f32_e32 v54, v21, v53
	v_fma_f32 v21, v20, s38, -v21
	v_fmac_f32_e32 v21, 0x32a5705f, v20
	v_add_f32_e32 v21, v54, v21
	v_cvt_i32_f32_e32 v53, v53
	v_exp_f32_e32 v21, v21
	v_cmp_ngt_f32_e32 vcc, s39, v20
	v_ldexp_f32 v21, v21, v53
	v_cndmask_b32_e32 v21, 0, v21, vcc
	v_cmp_nlt_f32_e32 vcc, s43, v20
	v_cndmask_b32_e32 v20, v48, v21, vcc
	v_add_f32_e32 v20, 1.0, v20
	v_rcp_f32_e32 v20, v20
	v_fma_f32 v54, v20, -2.0, 1.0
.LBB89_10:                              ;   in Loop: Header=BB89_8 Depth=1
	s_andn2_saveexec_b64 s[6:7], s[6:7]
; %bb.11:                               ;   in Loop: Header=BB89_8 Depth=1
	v_mul_f32_e32 v20, v5, v5
	v_mov_b32_e32 v21, 0x3ca908c9
	v_fmac_f32_e32 v21, 0xbbbac73d, v20
	v_fma_f32 v21, v20, v21, v45
	v_fma_f32 v21, v20, v21, v46
	v_fma_f32 v21, v20, v21, v47
	v_mul_f32_e64 v21, |v5|, v21
	v_fma_f32 v54, v20, v21, |v5|
; %bb.12:                               ;   in Loop: Header=BB89_8 Depth=1
	s_or_b64 exec, exec, s[6:7]
	v_add_u32_e32 v20, s36, v2
	v_cndmask_b32_e64 v21, 0, 1, s[10:11]
	v_cmp_ne_u32_e64 s[6:7], 1, v21
	s_andn2_b64 vcc, exec, s[10:11]
	v_ashrrev_i32_e32 v21, 31, v20
	s_cbranch_vccnz .LBB89_22
; %bb.13:                               ;   in Loop: Header=BB89_8 Depth=1
	v_lshlrev_b64 v[55:56], 1, v[20:21]
	v_mov_b32_e32 v53, s41
	v_add_co_u32_e32 v55, vcc, s40, v55
	v_addc_co_u32_e32 v56, vcc, v53, v56, vcc
	global_load_ushort v53, v[55:56], off
	s_waitcnt vmcnt(0)
	v_cvt_f32_f16_e32 v53, v53
	v_mul_f32_e32 v53, v27, v53
	v_cmp_nlt_f32_e64 s[14:15], |v52|, s17
                                        ; implicit-def: $vgpr55
	s_and_saveexec_b64 s[46:47], s[14:15]
	s_xor_b64 s[14:15], exec, s[46:47]
	s_cbranch_execz .LBB89_15
.LBB89_14:                              ;   in Loop: Header=BB89_8 Depth=1
	v_add_f32_e64 v55, |v52|, |v52|
	v_mul_f32_e32 v56, 0x3fb8aa3b, v55
	v_rndne_f32_e32 v57, v56
	v_sub_f32_e32 v58, v56, v57
	v_fma_f32 v56, v55, s38, -v56
	v_fmac_f32_e32 v56, 0x32a5705f, v55
	v_add_f32_e32 v56, v58, v56
	v_cvt_i32_f32_e32 v57, v57
	v_exp_f32_e32 v56, v56
	v_cmp_ngt_f32_e32 vcc, s39, v55
	v_ldexp_f32 v56, v56, v57
	v_cndmask_b32_e32 v56, 0, v56, vcc
	v_cmp_nlt_f32_e32 vcc, s43, v55
	v_cndmask_b32_e32 v55, v48, v56, vcc
	v_add_f32_e32 v55, 1.0, v55
	v_rcp_f32_e32 v55, v55
	v_fma_f32 v55, v55, -2.0, 1.0
.LBB89_15:                              ;   in Loop: Header=BB89_8 Depth=1
	s_andn2_saveexec_b64 s[14:15], s[14:15]
	s_cbranch_execz .LBB89_18
; %bb.16:                               ;   in Loop: Header=BB89_8 Depth=1
	v_mul_f32_e32 v55, v52, v52
	v_mov_b32_e32 v56, 0x3ca908c9
	v_fmac_f32_e32 v56, 0xbbbac73d, v55
	v_fma_f32 v56, v55, v56, v45
	v_fma_f32 v56, v55, v56, v46
	;; [unrolled: 1-line block ×3, first 2 shown]
	v_mul_f32_e64 v56, |v52|, v56
	v_fma_f32 v55, v55, v56, |v52|
	s_or_b64 exec, exec, s[14:15]
	s_and_b64 vcc, exec, s[6:7]
	s_cbranch_vccz .LBB89_19
.LBB89_17:                              ;   in Loop: Header=BB89_8 Depth=1
	v_mov_b32_e32 v20, 0
	s_branch .LBB89_20
.LBB89_18:                              ;   in Loop: Header=BB89_8 Depth=1
	s_or_b64 exec, exec, s[14:15]
	s_and_b64 vcc, exec, s[6:7]
	s_cbranch_vccnz .LBB89_17
.LBB89_19:                              ;   in Loop: Header=BB89_8 Depth=1
	v_lshlrev_b64 v[20:21], 1, v[20:21]
	v_mov_b32_e32 v56, s41
	v_add_co_u32_e32 v20, vcc, s40, v20
	v_addc_co_u32_e32 v21, vcc, v56, v21, vcc
	global_load_ushort v20, v[20:21], off offset:64
	s_waitcnt vmcnt(0)
	v_cvt_f32_f16_e32 v20, v20
	v_mul_f32_e32 v20, v27, v20
.LBB89_20:                              ;   in Loop: Header=BB89_8 Depth=1
	v_bfi_b32 v21, s44, v55, v52
	v_and_b32_e32 v52, 0x60, v49
	v_bfi_b32 v5, s44, v54, v5
	v_add_u32_e32 v52, 32, v52
	v_xor_b32_e32 v54, 4, v49
	v_cmp_lt_i32_e32 vcc, v54, v52
	v_cndmask_b32_e32 v70, v49, v54, vcc
	v_xor_b32_e32 v54, 16, v49
	v_fmac_f32_e32 v53, s19, v5
	v_cmp_lt_i32_e32 vcc, v54, v52
	v_fmac_f32_e32 v20, s19, v21
	v_add_f32_e32 v5, 0x40051340, v53
	v_cndmask_b32_e32 v54, v49, v54, vcc
	v_add_f32_e32 v21, 0x40051340, v20
	v_max3_f32 v5, v51, v5, v21
	v_lshlrev_b32_e32 v21, 2, v54
	ds_bpermute_b32 v21, v21, v5
	v_xor_b32_e32 v54, 8, v49
	s_mul_hi_i32 s7, s36, s8
	s_mul_i32 s6, s36, s8
	v_cmp_lt_i32_e32 vcc, v54, v52
	s_lshl_b64 s[6:7], s[6:7], 2
	v_cndmask_b32_e32 v54, v49, v54, vcc
	s_waitcnt lgkmcnt(0)
	v_max_f32_e32 v21, v21, v21
	s_add_u32 s6, s28, s6
	v_lshlrev_b32_e32 v54, 2, v54
	v_max_f32_e32 v5, v5, v21
	s_addc_u32 s7, s29, s7
	ds_bpermute_b32 v21, v54, v5
	v_mov_b32_e32 v54, s7
	v_add_co_u32_e32 v55, vcc, s6, v12
	v_addc_co_u32_e32 v56, vcc, v54, v13, vcc
	v_add_co_u32_e32 v54, vcc, v55, v44
	v_addc_co_u32_e32 v55, vcc, 0, v56, vcc
	v_mov_b32_e32 v56, s7
	v_add_co_u32_e32 v57, vcc, s6, v14
	v_addc_co_u32_e32 v56, vcc, v56, v15, vcc
	v_add_co_u32_e32 v58, vcc, v57, v44
	v_addc_co_u32_e32 v59, vcc, 0, v56, vcc
	;; [unrolled: 5-line block ×4, first 2 shown]
	s_waitcnt lgkmcnt(0)
	s_barrier
	global_load_dwordx4 v[54:57], v[54:55], off
	s_nop 0
	global_load_dwordx4 v[58:61], v[58:59], off
	s_nop 0
	;; [unrolled: 2-line block ×3, first 2 shown]
	global_load_dwordx4 v[66:69], v[66:67], off
	v_max_f32_e32 v21, v21, v21
	v_lshlrev_b32_e32 v70, 2, v70
	v_max_f32_e32 v5, v5, v21
	ds_bpermute_b32 v21, v70, v5
	v_xor_b32_e32 v70, 2, v49
	v_cmp_lt_i32_e32 vcc, v70, v52
	v_cndmask_b32_e32 v70, v49, v70, vcc
	v_lshlrev_b32_e32 v70, 2, v70
	s_waitcnt lgkmcnt(0)
	v_max_f32_e32 v21, v21, v21
	v_max_f32_e32 v5, v5, v21
	ds_bpermute_b32 v21, v70, v5
	v_xor_b32_e32 v70, 1, v49
	v_cmp_lt_i32_e32 vcc, v70, v52
	v_cndmask_b32_e32 v52, v49, v70, vcc
	v_lshlrev_b32_e32 v52, 2, v52
	s_waitcnt lgkmcnt(0)
	v_max_f32_e32 v21, v21, v21
	v_max_f32_e32 v5, v5, v21
	ds_bpermute_b32 v21, v52, v5
	s_waitcnt lgkmcnt(0)
	v_max_f32_e32 v21, v21, v21
	v_max_f32_e32 v5, v5, v21
	v_sub_f32_e32 v21, v53, v5
	v_mul_f32_e32 v52, 0x3fb8aa3b, v21
	v_fma_f32 v53, v21, s38, -v52
	v_rndne_f32_e32 v70, v52
	v_fmac_f32_e32 v53, 0x32a5705f, v21
	v_sub_f32_e32 v52, v52, v70
	v_add_f32_e32 v52, v52, v53
	v_exp_f32_e32 v52, v52
	v_cvt_i32_f32_e32 v53, v70
	v_sub_f32_e32 v20, v20, v5
	v_sub_f32_e32 v51, v51, v5
	v_cmp_ngt_f32_e32 vcc, s39, v21
	v_ldexp_f32 v52, v52, v53
	v_mul_f32_e32 v53, 0x3fb8aa3b, v20
	v_fma_f32 v70, v20, s38, -v53
	v_rndne_f32_e32 v71, v53
	v_fmac_f32_e32 v70, 0x32a5705f, v20
	v_sub_f32_e32 v53, v53, v71
	v_add_f32_e32 v53, v53, v70
	v_exp_f32_e32 v53, v53
	v_cvt_i32_f32_e32 v70, v71
	v_cndmask_b32_e32 v52, 0, v52, vcc
	v_cmp_nlt_f32_e32 vcc, s43, v21
	v_cndmask_b32_e32 v21, v48, v52, vcc
	v_ldexp_f32 v53, v53, v70
	v_mul_f32_e32 v70, 0x3fb8aa3b, v51
	v_fma_f32 v71, v51, s38, -v70
	v_rndne_f32_e32 v72, v70
	v_fmac_f32_e32 v71, 0x32a5705f, v51
	v_sub_f32_e32 v70, v70, v72
	v_add_f32_e32 v70, v70, v71
	v_exp_f32_e32 v70, v70
	v_cvt_i32_f32_e32 v71, v72
	v_cmp_ngt_f32_e32 vcc, s39, v20
	v_cndmask_b32_e32 v53, 0, v53, vcc
	v_cmp_nlt_f32_e32 vcc, s43, v20
	v_cndmask_b32_e32 v53, v48, v53, vcc
	v_ldexp_f32 v20, v70, v71
	v_cmp_ngt_f32_e32 vcc, s39, v51
	v_cvt_f16_f32_e32 v52, v21
	v_cndmask_b32_e32 v20, 0, v20, vcc
	v_cmp_nlt_f32_e32 vcc, s43, v51
	v_cndmask_b32_e32 v51, v48, v20, vcc
	v_add_f32_e32 v20, v21, v53
	v_cvt_f16_f32_e32 v21, v53
	v_cvt_f16_f32_e32 v70, v51
	v_fmac_f32_e32 v20, v50, v51
	ds_write_b16 v39, v52
	ds_write_b16 v39, v21 offset:64
	s_waitcnt vmcnt(3)
	ds_write_b128 v40, v[54:57]
	s_waitcnt vmcnt(2)
	ds_write_b128 v41, v[58:61]
	;; [unrolled: 2-line block ×4, first 2 shown]
	s_waitcnt lgkmcnt(0)
	s_barrier
	ds_read_b128 v[50:53], v38
	ds_read2_b64 v[54:57], v24 offset1:32
	ds_read_b128 v[58:61], v38 offset:16
	ds_read_b128 v[62:65], v38 offset:32
	;; [unrolled: 1-line block ×3, first 2 shown]
	s_waitcnt lgkmcnt(4)
	v_mul_u32_u24_sdwa v21, v50, s45 dst_sel:DWORD dst_unused:UNUSED_PAD src0_sel:WORD_0 src1_sel:DWORD
	v_mul_u32_u24_e32 v70, 0x10001, v70
	s_waitcnt lgkmcnt(3)
	v_pk_mul_f16 v54, v54, v21
	v_pk_mul_f16 v21, v55, v21
	v_pk_fma_f16 v25, v25, v70, v54
	v_pk_fma_f16 v21, v26, v70, v21
	ds_read2_b64 v[70:73], v24 offset0:64 offset1:96
	v_mul_u32_u24_sdwa v26, v50, s45 dst_sel:DWORD dst_unused:UNUSED_PAD src0_sel:WORD_1 src1_sel:DWORD
	v_pk_fma_f16 v25, v56, v26, v25
	v_pk_fma_f16 v21, v57, v26, v21
	v_mul_u32_u24_sdwa v26, v51, s45 dst_sel:DWORD dst_unused:UNUSED_PAD src0_sel:WORD_0 src1_sel:DWORD
	ds_read2_b64 v[54:57], v24 offset0:128 offset1:160
	s_waitcnt lgkmcnt(1)
	v_pk_fma_f16 v25, v70, v26, v25
	v_pk_fma_f16 v21, v71, v26, v21
	v_mul_u32_u24_sdwa v26, v51, s45 dst_sel:DWORD dst_unused:UNUSED_PAD src0_sel:WORD_1 src1_sel:DWORD
	v_pk_fma_f16 v25, v72, v26, v25
	v_pk_fma_f16 v21, v73, v26, v21
	ds_read2_b64 v[70:73], v24 offset0:192 offset1:224
	v_mul_u32_u24_sdwa v26, v52, s45 dst_sel:DWORD dst_unused:UNUSED_PAD src0_sel:WORD_0 src1_sel:DWORD
	s_waitcnt lgkmcnt(1)
	v_pk_fma_f16 v25, v54, v26, v25
	v_pk_fma_f16 v21, v55, v26, v21
	v_mul_u32_u24_sdwa v26, v52, s45 dst_sel:DWORD dst_unused:UNUSED_PAD src0_sel:WORD_1 src1_sel:DWORD
	v_pk_fma_f16 v25, v56, v26, v25
	v_pk_fma_f16 v21, v57, v26, v21
	v_mul_u32_u24_sdwa v26, v53, s45 dst_sel:DWORD dst_unused:UNUSED_PAD src0_sel:WORD_0 src1_sel:DWORD
	s_waitcnt lgkmcnt(0)
	v_pk_fma_f16 v25, v70, v26, v25
	v_pk_fma_f16 v21, v71, v26, v21
	v_add_u32_e32 v26, 0x800, v24
	ds_read2_b64 v[54:57], v26 offset1:32
	v_mul_u32_u24_sdwa v50, v53, s45 dst_sel:DWORD dst_unused:UNUSED_PAD src0_sel:WORD_1 src1_sel:DWORD
	v_pk_fma_f16 v25, v72, v50, v25
	v_pk_fma_f16 v21, v73, v50, v21
	v_mul_u32_u24_sdwa v50, v58, s45 dst_sel:DWORD dst_unused:UNUSED_PAD src0_sel:WORD_0 src1_sel:DWORD
	s_waitcnt lgkmcnt(0)
	v_pk_fma_f16 v25, v54, v50, v25
	v_pk_fma_f16 v21, v55, v50, v21
	ds_read2_b64 v[50:53], v26 offset0:64 offset1:96
	v_mul_u32_u24_sdwa v54, v58, s45 dst_sel:DWORD dst_unused:UNUSED_PAD src0_sel:WORD_1 src1_sel:DWORD
	v_pk_fma_f16 v25, v56, v54, v25
	v_pk_fma_f16 v21, v57, v54, v21
	v_mul_u32_u24_sdwa v54, v59, s45 dst_sel:DWORD dst_unused:UNUSED_PAD src0_sel:WORD_0 src1_sel:DWORD
	s_waitcnt lgkmcnt(0)
	v_pk_fma_f16 v25, v50, v54, v25
	v_pk_fma_f16 v21, v51, v54, v21
	ds_read2_b64 v[54:57], v26 offset0:128 offset1:160
	v_mul_u32_u24_sdwa v50, v59, s45 dst_sel:DWORD dst_unused:UNUSED_PAD src0_sel:WORD_1 src1_sel:DWORD
	v_pk_fma_f16 v25, v52, v50, v25
	v_pk_fma_f16 v21, v53, v50, v21
	v_mul_u32_u24_sdwa v50, v60, s45 dst_sel:DWORD dst_unused:UNUSED_PAD src0_sel:WORD_0 src1_sel:DWORD
	s_waitcnt lgkmcnt(0)
	v_pk_fma_f16 v25, v54, v50, v25
	v_pk_fma_f16 v21, v55, v50, v21
	ds_read2_b64 v[50:53], v26 offset0:192 offset1:224
	v_mul_u32_u24_sdwa v26, v60, s45 dst_sel:DWORD dst_unused:UNUSED_PAD src0_sel:WORD_1 src1_sel:DWORD
	v_pk_fma_f16 v25, v56, v26, v25
	v_pk_fma_f16 v21, v57, v26, v21
	v_mul_u32_u24_sdwa v26, v61, s45 dst_sel:DWORD dst_unused:UNUSED_PAD src0_sel:WORD_0 src1_sel:DWORD
	s_waitcnt lgkmcnt(0)
	v_pk_fma_f16 v25, v50, v26, v25
	v_pk_fma_f16 v21, v51, v26, v21
	v_add_u32_e32 v26, 0x1000, v24
	ds_read2_b64 v[54:57], v26 offset1:32
	v_mul_u32_u24_sdwa v50, v61, s45 dst_sel:DWORD dst_unused:UNUSED_PAD src0_sel:WORD_1 src1_sel:DWORD
	v_pk_fma_f16 v25, v52, v50, v25
	v_pk_fma_f16 v21, v53, v50, v21
	v_mul_u32_u24_sdwa v50, v62, s45 dst_sel:DWORD dst_unused:UNUSED_PAD src0_sel:WORD_0 src1_sel:DWORD
	s_waitcnt lgkmcnt(0)
	v_pk_fma_f16 v25, v54, v50, v25
	v_pk_fma_f16 v21, v55, v50, v21
	ds_read2_b64 v[50:53], v26 offset0:64 offset1:96
	v_mul_u32_u24_sdwa v54, v62, s45 dst_sel:DWORD dst_unused:UNUSED_PAD src0_sel:WORD_1 src1_sel:DWORD
	v_pk_fma_f16 v25, v56, v54, v25
	v_pk_fma_f16 v21, v57, v54, v21
	v_mul_u32_u24_sdwa v54, v63, s45 dst_sel:DWORD dst_unused:UNUSED_PAD src0_sel:WORD_0 src1_sel:DWORD
	s_waitcnt lgkmcnt(0)
	v_pk_fma_f16 v25, v50, v54, v25
	v_pk_fma_f16 v21, v51, v54, v21
	ds_read2_b64 v[54:57], v26 offset0:128 offset1:160
	v_mul_u32_u24_sdwa v50, v63, s45 dst_sel:DWORD dst_unused:UNUSED_PAD src0_sel:WORD_1 src1_sel:DWORD
	v_pk_fma_f16 v25, v52, v50, v25
	v_pk_fma_f16 v21, v53, v50, v21
	v_mul_u32_u24_sdwa v50, v64, s45 dst_sel:DWORD dst_unused:UNUSED_PAD src0_sel:WORD_0 src1_sel:DWORD
	s_waitcnt lgkmcnt(0)
	v_pk_fma_f16 v25, v54, v50, v25
	v_pk_fma_f16 v21, v55, v50, v21
	ds_read2_b64 v[50:53], v26 offset0:192 offset1:224
	;; [unrolled: 33-line block ×3, first 2 shown]
	v_mul_u32_u24_sdwa v26, v68, s45 dst_sel:DWORD dst_unused:UNUSED_PAD src0_sel:WORD_1 src1_sel:DWORD
	v_pk_fma_f16 v25, v56, v26, v25
	v_pk_fma_f16 v21, v57, v26, v21
	v_add_u32_e32 v66, 0x2000, v24
	ds_read_b128 v[54:57], v38 offset:64
	ds_read2_b64 v[58:61], v66 offset1:32
	v_mul_u32_u24_sdwa v26, v69, s45 dst_sel:DWORD dst_unused:UNUSED_PAD src0_sel:WORD_0 src1_sel:DWORD
	ds_read2_b64 v[62:65], v66 offset0:64 offset1:96
	s_waitcnt lgkmcnt(3)
	v_pk_fma_f16 v25, v50, v26, v25
	v_pk_fma_f16 v21, v51, v26, v21
	v_mul_u32_u24_sdwa v26, v69, s45 dst_sel:DWORD dst_unused:UNUSED_PAD src0_sel:WORD_1 src1_sel:DWORD
	v_pk_fma_f16 v25, v52, v26, v25
	v_pk_fma_f16 v21, v53, v26, v21
	s_waitcnt lgkmcnt(2)
	v_mul_u32_u24_sdwa v26, v54, s45 dst_sel:DWORD dst_unused:UNUSED_PAD src0_sel:WORD_0 src1_sel:DWORD
	s_waitcnt lgkmcnt(1)
	v_pk_fma_f16 v25, v58, v26, v25
	v_pk_fma_f16 v21, v59, v26, v21
	v_mul_u32_u24_sdwa v26, v54, s45 dst_sel:DWORD dst_unused:UNUSED_PAD src0_sel:WORD_1 src1_sel:DWORD
	v_pk_fma_f16 v25, v60, v26, v25
	v_pk_fma_f16 v21, v61, v26, v21
	v_mul_u32_u24_sdwa v26, v55, s45 dst_sel:DWORD dst_unused:UNUSED_PAD src0_sel:WORD_0 src1_sel:DWORD
	ds_read2_b64 v[58:61], v66 offset0:128 offset1:160
	s_waitcnt lgkmcnt(1)
	v_pk_fma_f16 v25, v62, v26, v25
	v_pk_fma_f16 v21, v63, v26, v21
	v_mul_u32_u24_sdwa v26, v55, s45 dst_sel:DWORD dst_unused:UNUSED_PAD src0_sel:WORD_1 src1_sel:DWORD
	v_pk_fma_f16 v25, v64, v26, v25
	v_pk_fma_f16 v21, v65, v26, v21
	ds_read2_b64 v[62:65], v66 offset0:192 offset1:224
	v_mul_u32_u24_sdwa v26, v56, s45 dst_sel:DWORD dst_unused:UNUSED_PAD src0_sel:WORD_0 src1_sel:DWORD
	s_waitcnt lgkmcnt(1)
	v_pk_fma_f16 v25, v58, v26, v25
	v_pk_fma_f16 v21, v59, v26, v21
	v_mul_u32_u24_sdwa v26, v56, s45 dst_sel:DWORD dst_unused:UNUSED_PAD src0_sel:WORD_1 src1_sel:DWORD
	v_pk_fma_f16 v25, v60, v26, v25
	v_pk_fma_f16 v21, v61, v26, v21
	v_mul_u32_u24_sdwa v26, v57, s45 dst_sel:DWORD dst_unused:UNUSED_PAD src0_sel:WORD_0 src1_sel:DWORD
	ds_read_b128 v[50:53], v38 offset:80
	s_waitcnt lgkmcnt(1)
	v_pk_fma_f16 v25, v62, v26, v25
	v_pk_fma_f16 v21, v63, v26, v21
	v_add_u32_e32 v26, 0x2800, v24
	ds_read2_b64 v[58:61], v26 offset1:32
	v_mul_u32_u24_sdwa v54, v57, s45 dst_sel:DWORD dst_unused:UNUSED_PAD src0_sel:WORD_1 src1_sel:DWORD
	v_pk_fma_f16 v25, v64, v54, v25
	v_pk_fma_f16 v21, v65, v54, v21
	s_waitcnt lgkmcnt(1)
	v_mul_u32_u24_sdwa v54, v50, s45 dst_sel:DWORD dst_unused:UNUSED_PAD src0_sel:WORD_0 src1_sel:DWORD
	s_waitcnt lgkmcnt(0)
	v_pk_fma_f16 v25, v58, v54, v25
	v_pk_fma_f16 v21, v59, v54, v21
	ds_read2_b64 v[54:57], v26 offset0:64 offset1:96
	v_mul_u32_u24_sdwa v50, v50, s45 dst_sel:DWORD dst_unused:UNUSED_PAD src0_sel:WORD_1 src1_sel:DWORD
	v_pk_fma_f16 v25, v60, v50, v25
	v_pk_fma_f16 v21, v61, v50, v21
	v_mul_u32_u24_sdwa v50, v51, s45 dst_sel:DWORD dst_unused:UNUSED_PAD src0_sel:WORD_0 src1_sel:DWORD
	ds_read2_b64 v[58:61], v26 offset0:128 offset1:160
	s_waitcnt lgkmcnt(1)
	v_pk_fma_f16 v25, v54, v50, v25
	v_pk_fma_f16 v21, v55, v50, v21
	v_mul_u32_u24_sdwa v50, v51, s45 dst_sel:DWORD dst_unused:UNUSED_PAD src0_sel:WORD_1 src1_sel:DWORD
	v_pk_fma_f16 v25, v56, v50, v25
	v_pk_fma_f16 v21, v57, v50, v21
	ds_read2_b64 v[54:57], v26 offset0:192 offset1:224
	v_mul_u32_u24_sdwa v50, v52, s45 dst_sel:DWORD dst_unused:UNUSED_PAD src0_sel:WORD_0 src1_sel:DWORD
	s_waitcnt lgkmcnt(1)
	v_pk_fma_f16 v25, v58, v50, v25
	v_pk_fma_f16 v21, v59, v50, v21
	v_mul_u32_u24_sdwa v26, v52, s45 dst_sel:DWORD dst_unused:UNUSED_PAD src0_sel:WORD_1 src1_sel:DWORD
	v_pk_fma_f16 v25, v60, v26, v25
	v_pk_fma_f16 v21, v61, v26, v21
	v_mul_u32_u24_sdwa v26, v53, s45 dst_sel:DWORD dst_unused:UNUSED_PAD src0_sel:WORD_0 src1_sel:DWORD
	s_waitcnt lgkmcnt(0)
	v_pk_fma_f16 v25, v54, v26, v25
	v_pk_fma_f16 v21, v55, v26, v21
	v_mul_u32_u24_sdwa v26, v53, s45 dst_sel:DWORD dst_unused:UNUSED_PAD src0_sel:WORD_1 src1_sel:DWORD
	v_add_u32_e32 v66, 0x3000, v24
	ds_read_b128 v[50:53], v38 offset:96
	ds_read2_b64 v[58:61], v66 offset1:32
	ds_read2_b64 v[62:65], v66 offset0:64 offset1:96
	v_pk_fma_f16 v25, v56, v26, v25
	v_pk_fma_f16 v21, v57, v26, v21
	s_waitcnt lgkmcnt(2)
	v_mul_u32_u24_sdwa v26, v50, s45 dst_sel:DWORD dst_unused:UNUSED_PAD src0_sel:WORD_0 src1_sel:DWORD
	s_waitcnt lgkmcnt(1)
	v_pk_fma_f16 v25, v58, v26, v25
	v_pk_fma_f16 v21, v59, v26, v21
	v_mul_u32_u24_sdwa v26, v50, s45 dst_sel:DWORD dst_unused:UNUSED_PAD src0_sel:WORD_1 src1_sel:DWORD
	v_pk_fma_f16 v25, v60, v26, v25
	v_pk_fma_f16 v21, v61, v26, v21
	v_mul_u32_u24_sdwa v26, v51, s45 dst_sel:DWORD dst_unused:UNUSED_PAD src0_sel:WORD_0 src1_sel:DWORD
	ds_read2_b64 v[58:61], v66 offset0:128 offset1:160
	s_waitcnt lgkmcnt(1)
	v_pk_fma_f16 v25, v62, v26, v25
	v_pk_fma_f16 v21, v63, v26, v21
	v_mul_u32_u24_sdwa v26, v51, s45 dst_sel:DWORD dst_unused:UNUSED_PAD src0_sel:WORD_1 src1_sel:DWORD
	v_pk_fma_f16 v25, v64, v26, v25
	v_pk_fma_f16 v21, v65, v26, v21
	ds_read2_b64 v[62:65], v66 offset0:192 offset1:224
	v_mul_u32_u24_sdwa v26, v52, s45 dst_sel:DWORD dst_unused:UNUSED_PAD src0_sel:WORD_0 src1_sel:DWORD
	s_waitcnt lgkmcnt(1)
	v_pk_fma_f16 v25, v58, v26, v25
	v_pk_fma_f16 v21, v59, v26, v21
	v_mul_u32_u24_sdwa v26, v52, s45 dst_sel:DWORD dst_unused:UNUSED_PAD src0_sel:WORD_1 src1_sel:DWORD
	v_pk_fma_f16 v25, v60, v26, v25
	v_pk_fma_f16 v21, v61, v26, v21
	v_mul_u32_u24_sdwa v26, v53, s45 dst_sel:DWORD dst_unused:UNUSED_PAD src0_sel:WORD_0 src1_sel:DWORD
	ds_read_b128 v[54:57], v38 offset:112
	s_waitcnt lgkmcnt(1)
	v_pk_fma_f16 v25, v62, v26, v25
	v_pk_fma_f16 v21, v63, v26, v21
	v_add_u32_e32 v26, 0x3800, v24
	ds_read2_b64 v[58:61], v26 offset1:32
	v_mul_u32_u24_sdwa v50, v53, s45 dst_sel:DWORD dst_unused:UNUSED_PAD src0_sel:WORD_1 src1_sel:DWORD
	v_pk_fma_f16 v25, v64, v50, v25
	v_pk_fma_f16 v21, v65, v50, v21
	s_waitcnt lgkmcnt(1)
	v_mul_u32_u24_sdwa v50, v54, s45 dst_sel:DWORD dst_unused:UNUSED_PAD src0_sel:WORD_0 src1_sel:DWORD
	s_waitcnt lgkmcnt(0)
	v_pk_fma_f16 v25, v58, v50, v25
	v_pk_fma_f16 v21, v59, v50, v21
	ds_read2_b64 v[50:53], v26 offset0:64 offset1:96
	v_mul_u32_u24_sdwa v54, v54, s45 dst_sel:DWORD dst_unused:UNUSED_PAD src0_sel:WORD_1 src1_sel:DWORD
	v_pk_fma_f16 v25, v60, v54, v25
	v_pk_fma_f16 v21, v61, v54, v21
	ds_read2_b64 v[58:61], v26 offset0:128 offset1:160
	v_mul_u32_u24_sdwa v54, v55, s45 dst_sel:DWORD dst_unused:UNUSED_PAD src0_sel:WORD_0 src1_sel:DWORD
	s_waitcnt lgkmcnt(1)
	v_pk_fma_f16 v25, v50, v54, v25
	v_pk_fma_f16 v21, v51, v54, v21
	v_mul_u32_u24_sdwa v50, v55, s45 dst_sel:DWORD dst_unused:UNUSED_PAD src0_sel:WORD_1 src1_sel:DWORD
	v_pk_fma_f16 v25, v52, v50, v25
	v_pk_fma_f16 v21, v53, v50, v21
	v_mul_u32_u24_sdwa v50, v56, s45 dst_sel:DWORD dst_unused:UNUSED_PAD src0_sel:WORD_0 src1_sel:DWORD
	s_waitcnt lgkmcnt(0)
	v_pk_fma_f16 v25, v58, v50, v25
	v_pk_fma_f16 v21, v59, v50, v21
	v_mul_u32_u24_sdwa v50, v56, s45 dst_sel:DWORD dst_unused:UNUSED_PAD src0_sel:WORD_1 src1_sel:DWORD
	v_pk_fma_f16 v25, v60, v50, v25
	v_pk_fma_f16 v21, v61, v50, v21
	ds_read2_b64 v[50:53], v26 offset0:192 offset1:224
	s_waitcnt lgkmcnt(0)
	s_barrier
	s_load_dword s6, s[12:13], 0x4
	v_mul_u32_u24_sdwa v26, v57, s45 dst_sel:DWORD dst_unused:UNUSED_PAD src0_sel:WORD_0 src1_sel:DWORD
	v_pk_fma_f16 v25, v50, v26, v25
	v_pk_fma_f16 v21, v51, v26, v21
	v_mul_u32_u24_sdwa v26, v57, s45 dst_sel:DWORD dst_unused:UNUSED_PAD src0_sel:WORD_1 src1_sel:DWORD
	s_waitcnt lgkmcnt(0)
	s_lshl_b32 s6, s6, 6
	s_add_i32 s36, s6, s36
	v_pk_fma_f16 v25, v52, v26, v25
	s_cmp_lt_i32 s36, s16
	v_pk_fma_f16 v26, v53, v26, v21
	s_cbranch_scc0 .LBB89_24
; %bb.21:                               ;   in Loop: Header=BB89_8 Depth=1
	v_mov_b32_e32 v51, v5
	v_mov_b32_e32 v50, v20
	s_branch .LBB89_8
.LBB89_22:                              ;   in Loop: Header=BB89_8 Depth=1
	v_mov_b32_e32 v53, 0
	v_cmp_nlt_f32_e64 s[14:15], |v52|, s17
                                        ; implicit-def: $vgpr55
	s_and_saveexec_b64 s[46:47], s[14:15]
	s_xor_b64 s[14:15], exec, s[46:47]
	s_cbranch_execz .LBB89_15
	s_branch .LBB89_14
.LBB89_23:
	v_mov_b32_e32 v26, 0
	v_mov_b32_e32 v5, 0xfeffffff
	;; [unrolled: 1-line block ×3, first 2 shown]
.LBB89_24:
	s_cmp_gt_i32 s42, s36
	s_cbranch_scc1 .LBB89_26
; %bb.25:
	v_mbcnt_hi_u32_b32 v8, -1, v28
	v_and_b32_e32 v2, 0x60, v8
	v_add_u32_e32 v9, 32, v2
	v_xor_b32_e32 v11, 16, v8
	v_xor_b32_e32 v10, 8, v8
	v_xor_b32_e32 v12, 4, v8
	v_xor_b32_e32 v13, 2, v8
	v_xor_b32_e32 v14, 1, v8
	s_cbranch_execz .LBB89_27
	s_branch .LBB89_46
.LBB89_26:
                                        ; implicit-def: $vgpr8
                                        ; implicit-def: $vgpr9
                                        ; implicit-def: $vgpr11
                                        ; implicit-def: $vgpr10
                                        ; implicit-def: $vgpr12
                                        ; implicit-def: $vgpr13
                                        ; implicit-def: $vgpr14
.LBB89_27:
	v_lshl_add_u32 v2, v1, 1, v32
	v_mul_lo_u32 v13, s22, v2
	s_mul_hi_i32 s11, s36, s22
	s_mul_i32 s10, s36, s22
	s_sub_i32 s38, s42, s36
	s_lshl_b64 s[10:11], s[10:11], 2
	v_ashrrev_i32_e32 v14, 31, v13
	s_add_u32 s12, s37, s10
	v_lshlrev_b64 v[3:4], 2, v[13:14]
	s_addc_u32 s13, s23, s11
	v_mov_b32_e32 v7, s13
	v_add_co_u32_e32 v3, vcc, s12, v3
	v_lshlrev_b32_e32 v6, 2, v31
	v_addc_co_u32_e32 v4, vcc, v7, v4, vcc
	s_mov_b64 s[6:7], src_private_base
	v_add_co_u32_e32 v3, vcc, v3, v6
	v_mov_b32_e32 v8, 0
	v_addc_co_u32_e32 v4, vcc, 0, v4, vcc
	v_mov_b32_e32 v16, s7
	v_cmp_gt_i32_e64 s[6:7], s38, v2
	v_mov_b32_e32 v17, 0
	buffer_store_dword v8, off, s[0:3], 0
	buffer_store_dword v8, off, s[0:3], 0 offset:4
	buffer_store_dword v8, off, s[0:3], 0 offset:8
	;; [unrolled: 1-line block ×3, first 2 shown]
	v_cndmask_b32_e64 v4, v16, v4, s[6:7]
	v_cndmask_b32_e64 v3, v17, v3, s[6:7]
	flat_load_dwordx4 v[9:12], v[3:4]
	s_lshl_b32 s14, s22, 4
	v_add_u32_e32 v13, s14, v13
	v_ashrrev_i32_e32 v14, 31, v13
	v_lshlrev_b64 v[14:15], 2, v[13:14]
	v_mov_b32_e32 v4, s13
	v_add_co_u32_e32 v7, vcc, s12, v14
	v_addc_co_u32_e32 v4, vcc, v4, v15, vcc
	s_movk_i32 s10, 0x110
	v_add_u32_e32 v3, 16, v2
	v_add_co_u32_e32 v7, vcc, v7, v6
	v_mad_u32_u24 v18, v2, s10, v6
	v_addc_co_u32_e32 v4, vcc, 0, v4, vcc
	v_cmp_gt_i32_e64 s[10:11], s38, v3
	buffer_store_dword v8, off, s[0:3], 0
	buffer_store_dword v8, off, s[0:3], 0 offset:4
	buffer_store_dword v8, off, s[0:3], 0 offset:8
	;; [unrolled: 1-line block ×3, first 2 shown]
	v_cndmask_b32_e64 v15, v16, v4, s[10:11]
	v_cndmask_b32_e64 v14, v17, v7, s[10:11]
	v_add_u32_e32 v13, s14, v13
	v_mov_b32_e32 v7, s13
	v_add_u32_e32 v4, 32, v2
	v_cmp_gt_i32_e64 s[16:17], s38, v4
	s_waitcnt vmcnt(0) lgkmcnt(0)
	ds_write_b128 v18, v[9:12]
	flat_load_dwordx4 v[9:12], v[14:15]
	v_ashrrev_i32_e32 v14, 31, v13
	v_lshlrev_b64 v[14:15], 2, v[13:14]
	buffer_store_dword v8, off, s[0:3], 0
	buffer_store_dword v8, off, s[0:3], 0 offset:4
	buffer_store_dword v8, off, s[0:3], 0 offset:8
	;; [unrolled: 1-line block ×3, first 2 shown]
	v_add_co_u32_e32 v14, vcc, s12, v14
	v_addc_co_u32_e32 v7, vcc, v7, v15, vcc
	v_add_co_u32_e32 v14, vcc, v14, v6
	v_addc_co_u32_e32 v7, vcc, 0, v7, vcc
	v_cndmask_b32_e64 v15, v16, v7, s[16:17]
	v_cndmask_b32_e64 v14, v17, v14, s[16:17]
	v_add_u32_e32 v13, s14, v13
	v_add_u32_e32 v7, 48, v2
	s_mov_b32 s14, 0x3f200000
	s_waitcnt vmcnt(0) lgkmcnt(0)
	ds_write_b128 v18, v[9:12] offset:4352
	flat_load_dwordx4 v[9:12], v[14:15]
	v_ashrrev_i32_e32 v14, 31, v13
	v_lshlrev_b64 v[13:14], 2, v[13:14]
	v_mov_b32_e32 v15, s13
	v_add_co_u32_e32 v13, vcc, s12, v13
	v_addc_co_u32_e32 v14, vcc, v15, v14, vcc
	v_add_co_u32_e32 v13, vcc, v13, v6
	v_addc_co_u32_e32 v14, vcc, 0, v14, vcc
	v_cmp_gt_i32_e64 s[12:13], s38, v7
	v_cndmask_b32_e64 v14, v16, v14, s[12:13]
	v_cndmask_b32_e64 v13, v17, v13, s[12:13]
	buffer_store_dword v8, off, s[0:3], 0
	buffer_store_dword v8, off, s[0:3], 0 offset:4
	buffer_store_dword v8, off, s[0:3], 0 offset:8
	;; [unrolled: 1-line block ×3, first 2 shown]
	s_waitcnt vmcnt(0) lgkmcnt(0)
	ds_write_b128 v18, v[9:12] offset:8704
	flat_load_dwordx4 v[11:14], v[13:14]
	v_mul_u32_u24_e32 v10, 0x110, v0
	v_mov_b32_e32 v9, 0
	s_waitcnt vmcnt(0) lgkmcnt(0)
	ds_write_b128 v18, v[11:14] offset:13056
	s_waitcnt lgkmcnt(0)
	s_barrier
	ds_read_b128 v[11:14], v10
	ds_read_b128 v[15:18], v30
	ds_read_b128 v[31:34], v10 offset:8704
	s_waitcnt lgkmcnt(1)
	;;#ASMSTART
	v_dot2_f32_f16 v9, v11, v15, v9
	;;#ASMEND
	;;#ASMSTART
	v_dot2_f32_f16 v9, v12, v16, v9
	;;#ASMEND
	;;#ASMSTART
	v_dot2_f32_f16 v9, v13, v17, v9
	;;#ASMEND
	;;#ASMSTART
	v_dot2_f32_f16 v9, v14, v18, v9
	;;#ASMEND
	s_waitcnt lgkmcnt(0)
	;;#ASMSTART
	v_dot2_f32_f16 v8, v31, v15, v8
	;;#ASMEND
	;;#ASMSTART
	v_dot2_f32_f16 v8, v32, v16, v8
	;;#ASMEND
	;;#ASMSTART
	v_dot2_f32_f16 v8, v33, v17, v8
	;;#ASMEND
	;;#ASMSTART
	v_dot2_f32_f16 v8, v34, v18, v8
	;;#ASMEND
	ds_read_b128 v[11:14], v10 offset:16
	ds_read_b128 v[15:18], v30 offset:16
	ds_read_b128 v[31:34], v10 offset:8720
	s_waitcnt lgkmcnt(1)
	;;#ASMSTART
	v_dot2_f32_f16 v9, v11, v15, v9
	;;#ASMEND
	;;#ASMSTART
	v_dot2_f32_f16 v9, v12, v16, v9
	;;#ASMEND
	;;#ASMSTART
	v_dot2_f32_f16 v9, v13, v17, v9
	;;#ASMEND
	;;#ASMSTART
	v_dot2_f32_f16 v9, v14, v18, v9
	;;#ASMEND
	s_waitcnt lgkmcnt(0)
	;;#ASMSTART
	v_dot2_f32_f16 v8, v31, v15, v8
	;;#ASMEND
	;;#ASMSTART
	v_dot2_f32_f16 v8, v32, v16, v8
	;;#ASMEND
	;;#ASMSTART
	v_dot2_f32_f16 v8, v33, v17, v8
	;;#ASMEND
	;;#ASMSTART
	v_dot2_f32_f16 v8, v34, v18, v8
	;;#ASMEND
	ds_read_b128 v[11:14], v10 offset:32
	ds_read_b128 v[15:18], v30 offset:32
	;; [unrolled: 29-line block ×15, first 2 shown]
	ds_read_b128 v[30:33], v10 offset:8944
	s_waitcnt lgkmcnt(1)
	;;#ASMSTART
	v_dot2_f32_f16 v9, v11, v15, v9
	;;#ASMEND
	;;#ASMSTART
	v_dot2_f32_f16 v9, v12, v16, v9
	;;#ASMEND
	;; [unrolled: 3-line block ×4, first 2 shown]
	s_waitcnt lgkmcnt(0)
	;;#ASMSTART
	v_dot2_f32_f16 v8, v30, v15, v8
	;;#ASMEND
	;;#ASMSTART
	v_dot2_f32_f16 v8, v31, v16, v8
	;;#ASMEND
	;; [unrolled: 3-line block ×3, first 2 shown]
	v_cmp_nlt_f32_e64 s[14:15], |v9|, s14
	;;#ASMSTART
	v_dot2_f32_f16 v8, v33, v18, v8
	;;#ASMEND
                                        ; implicit-def: $vgpr10
	s_and_saveexec_b64 s[22:23], s[14:15]
	s_xor_b64 s[14:15], exec, s[22:23]
	s_cbranch_execz .LBB89_29
; %bb.28:
	v_add_f32_e64 v10, |v9|, |v9|
	v_mul_f32_e32 v11, 0x3fb8aa3b, v10
	s_mov_b32 s22, 0x3fb8aa3b
	v_rndne_f32_e32 v12, v11
	v_sub_f32_e32 v13, v11, v12
	v_fma_f32 v11, v10, s22, -v11
	v_fmac_f32_e32 v11, 0x32a5705f, v10
	v_add_f32_e32 v11, v13, v11
	v_exp_f32_e32 v11, v11
	v_cvt_i32_f32_e32 v12, v12
	s_mov_b32 s22, 0xc2ce8ed0
	v_cmp_ngt_f32_e32 vcc, s22, v10
	s_mov_b32 s22, 0x42b17218
	v_ldexp_f32 v11, v11, v12
	v_cndmask_b32_e32 v11, 0, v11, vcc
	v_mov_b32_e32 v12, 0x7f800000
	v_cmp_nlt_f32_e32 vcc, s22, v10
	v_cndmask_b32_e32 v10, v12, v11, vcc
	v_add_f32_e32 v10, 1.0, v10
	v_rcp_f32_e32 v10, v10
	v_fma_f32 v10, v10, -2.0, 1.0
.LBB89_29:
	s_andn2_saveexec_b64 s[14:15], s[14:15]
	s_cbranch_execz .LBB89_31
; %bb.30:
	v_mul_f32_e32 v10, v9, v9
	v_mov_b32_e32 v11, 0x3ca908c9
	v_fmac_f32_e32 v11, 0xbbbac73d, v10
	v_mov_b32_e32 v12, 0xbd5c1c4e
	v_fmac_f32_e32 v12, v10, v11
	;; [unrolled: 2-line block ×4, first 2 shown]
	v_mul_f32_e64 v11, |v9|, v12
	v_fma_f32 v10, v10, v11, |v9|
.LBB89_31:
	s_or_b64 exec, exec, s[14:15]
	v_mul_lo_u32 v11, v29, s18
	s_cmp_lg_u64 s[40:41], 0
	s_brev_b32 s14, -2
	v_bfi_b32 v10, s14, v10, v9
	s_cselect_b64 s[14:15], -1, 0
	v_mul_f32_e32 v15, s19, v10
	v_cndmask_b32_e64 v10, 0, 1, s[14:15]
	v_add_u32_e32 v9, s36, v11
	v_cmp_gt_i32_e32 vcc, s38, v0
	v_cmp_ne_u32_e64 s[14:15], 1, v10
	v_mov_b32_e32 v12, v5
	s_and_saveexec_b64 s[22:23], vcc
	s_cbranch_execz .LBB89_36
; %bb.32:
	s_and_b64 vcc, exec, s[14:15]
	s_cbranch_vccnz .LBB89_34
; %bb.33:
	v_add_u32_e32 v10, v9, v0
	v_ashrrev_i32_e32 v11, 31, v10
	v_lshlrev_b64 v[10:11], 1, v[10:11]
	v_mov_b32_e32 v12, s41
	v_add_co_u32_e32 v10, vcc, s40, v10
	v_addc_co_u32_e32 v11, vcc, v12, v11, vcc
	global_load_ushort v10, v[10:11], off
	s_waitcnt vmcnt(0)
	v_cvt_f32_f16_e32 v10, v10
	v_mul_f32_e32 v10, v27, v10
	s_branch .LBB89_35
.LBB89_34:
	v_mov_b32_e32 v10, 0
.LBB89_35:
	v_add_f32_e32 v15, v15, v10
	v_add_f32_e32 v10, 0x40051340, v15
	v_max_f32_e32 v11, v5, v5
	v_max_f32_e32 v12, v11, v10
.LBB89_36:
	s_or_b64 exec, exec, s[22:23]
	s_mov_b32 s18, 0x3f200000
	v_cmp_nlt_f32_e64 s[22:23], |v8|, s18
                                        ; implicit-def: $vgpr10
	s_and_saveexec_b64 s[42:43], s[22:23]
	s_xor_b64 s[22:23], exec, s[42:43]
	s_cbranch_execz .LBB89_38
; %bb.37:
	v_add_f32_e64 v10, |v8|, |v8|
	v_mul_f32_e32 v11, 0x3fb8aa3b, v10
	s_mov_b32 s18, 0x3fb8aa3b
	v_rndne_f32_e32 v13, v11
	v_sub_f32_e32 v14, v11, v13
	v_fma_f32 v11, v10, s18, -v11
	v_fmac_f32_e32 v11, 0x32a5705f, v10
	v_add_f32_e32 v11, v14, v11
	v_exp_f32_e32 v11, v11
	v_cvt_i32_f32_e32 v13, v13
	s_mov_b32 s18, 0xc2ce8ed0
	v_cmp_ngt_f32_e32 vcc, s18, v10
	s_mov_b32 s18, 0x42b17218
	v_ldexp_f32 v11, v11, v13
	v_cndmask_b32_e32 v11, 0, v11, vcc
	v_mov_b32_e32 v13, 0x7f800000
	v_cmp_nlt_f32_e32 vcc, s18, v10
	v_cndmask_b32_e32 v10, v13, v11, vcc
	v_add_f32_e32 v10, 1.0, v10
	v_rcp_f32_e32 v10, v10
	v_fma_f32 v10, v10, -2.0, 1.0
.LBB89_38:
	s_andn2_saveexec_b64 s[22:23], s[22:23]
	s_cbranch_execz .LBB89_40
; %bb.39:
	v_mul_f32_e32 v10, v8, v8
	v_mov_b32_e32 v11, 0x3ca908c9
	v_fmac_f32_e32 v11, 0xbbbac73d, v10
	v_mov_b32_e32 v13, 0xbd5c1c4e
	v_fmac_f32_e32 v13, v10, v11
	;; [unrolled: 2-line block ×4, first 2 shown]
	v_mul_f32_e64 v11, |v8|, v13
	v_fma_f32 v10, v10, v11, |v8|
.LBB89_40:
	s_or_b64 exec, exec, s[22:23]
	s_brev_b32 s18, -2
	v_add_u32_e32 v18, 32, v0
	v_bfi_b32 v8, s18, v10, v8
	v_mul_f32_e32 v17, s19, v8
	v_cmp_gt_i32_e32 vcc, s38, v18
	s_and_saveexec_b64 s[18:19], vcc
	s_cbranch_execz .LBB89_45
; %bb.41:
	s_and_b64 vcc, exec, s[14:15]
	s_cbranch_vccnz .LBB89_43
; %bb.42:
	v_ashrrev_i32_e32 v10, 31, v9
	v_add_co_u32_e32 v8, vcc, v9, v0
	v_addc_co_u32_e32 v9, vcc, 0, v10, vcc
	v_lshlrev_b64 v[8:9], 1, v[8:9]
	v_mov_b32_e32 v10, s41
	v_add_co_u32_e32 v8, vcc, s40, v8
	v_addc_co_u32_e32 v9, vcc, v10, v9, vcc
	global_load_ushort v8, v[8:9], off offset:64
	s_waitcnt vmcnt(0)
	v_cvt_f32_f16_e32 v8, v8
	v_mul_f32_e32 v8, v27, v8
	s_branch .LBB89_44
.LBB89_43:
	v_mov_b32_e32 v8, 0
.LBB89_44:
	v_add_f32_e32 v17, v17, v8
	v_add_f32_e32 v8, 0x40051340, v17
	v_max_f32_e32 v9, v12, v12
	v_max_f32_e32 v12, v9, v8
.LBB89_45:
	s_or_b64 exec, exec, s[18:19]
	v_mbcnt_hi_u32_b32 v8, -1, v28
	v_and_b32_e32 v9, 0x60, v8
	v_add_u32_e32 v9, 32, v9
	v_xor_b32_e32 v11, 16, v8
	v_cmp_lt_i32_e32 vcc, v11, v9
	v_cndmask_b32_e32 v10, v8, v11, vcc
	v_lshlrev_b32_e32 v10, 2, v10
	ds_bpermute_b32 v13, v10, v12
	v_xor_b32_e32 v10, 8, v8
	v_cmp_lt_i32_e32 vcc, v10, v9
	v_cndmask_b32_e32 v14, v8, v10, vcc
	v_max_f32_e32 v12, v12, v12
	s_waitcnt lgkmcnt(0)
	v_max_f32_e32 v13, v13, v13
	v_lshlrev_b32_e32 v14, 2, v14
	v_max_f32_e32 v13, v12, v13
	ds_bpermute_b32 v14, v14, v13
	v_xor_b32_e32 v12, 4, v8
	v_cmp_lt_i32_e32 vcc, v12, v9
	v_cndmask_b32_e32 v16, v8, v12, vcc
	v_lshlrev_b32_e32 v16, 2, v16
	s_waitcnt lgkmcnt(0)
	v_max_f32_e32 v14, v14, v14
	v_max_f32_e32 v14, v13, v14
	ds_bpermute_b32 v16, v16, v14
	v_xor_b32_e32 v13, 2, v8
	v_cmp_lt_i32_e32 vcc, v13, v9
	v_cndmask_b32_e32 v19, v8, v13, vcc
	v_lshlrev_b32_e32 v19, 2, v19
	s_waitcnt lgkmcnt(0)
	v_max_f32_e32 v16, v16, v16
	;; [unrolled: 8-line block ×3, first 2 shown]
	v_max_f32_e32 v16, v16, v19
	ds_bpermute_b32 v19, v21, v16
	s_mov_b32 s19, 0x3fb8aa3b
	s_mov_b64 s[14:15], src_private_base
	s_mov_b32 s14, 0xc2ce8ed0
	s_mov_b32 s18, 0x42b17218
	s_waitcnt lgkmcnt(0)
	v_max_f32_e32 v19, v19, v19
	v_max_f32_e32 v16, v16, v19
	v_sub_f32_e32 v27, v15, v16
	v_mul_f32_e32 v15, 0x3fb8aa3b, v27
	v_fma_f32 v19, v27, s19, -v15
	v_rndne_f32_e32 v28, v15
	v_fmac_f32_e32 v19, 0x32a5705f, v27
	v_sub_f32_e32 v15, v15, v28
	v_add_f32_e32 v15, v15, v19
	v_exp_f32_e32 v19, v15
	v_cvt_i32_f32_e32 v28, v28
	v_lshlrev_b32_e32 v15, 7, v1
	v_cmp_ngt_f32_e32 vcc, s14, v27
	v_mul_lo_u32 v31, s8, v2
	v_ldexp_f32 v1, v19, v28
	v_cndmask_b32_e32 v1, 0, v1, vcc
	v_cmp_nlt_f32_e32 vcc, s18, v27
	v_sub_f32_e32 v27, v17, v16
	v_mul_f32_e32 v17, 0x3fb8aa3b, v27
	v_fma_f32 v28, v27, s19, -v17
	v_rndne_f32_e32 v29, v17
	v_fmac_f32_e32 v28, 0x32a5705f, v27
	v_sub_f32_e32 v17, v17, v29
	v_add_f32_e32 v17, v17, v28
	v_exp_f32_e32 v28, v17
	v_cvt_i32_f32_e32 v29, v29
	v_mov_b32_e32 v19, 0x7f800000
	v_cndmask_b32_e32 v1, v19, v1, vcc
	v_cmp_gt_u32_e32 vcc, s38, v0
	v_cndmask_b32_e32 v17, 0, v1, vcc
	v_ldexp_f32 v28, v28, v29
	v_cmp_ngt_f32_e32 vcc, s14, v27
	v_cndmask_b32_e32 v28, 0, v28, vcc
	v_cmp_nlt_f32_e32 vcc, s18, v27
	v_cndmask_b32_e32 v27, v19, v28, vcc
	v_cmp_gt_u32_e32 vcc, s38, v18
	v_cvt_f16_f32_e32 v1, v17
	v_cndmask_b32_e32 v18, 0, v27, vcc
	v_cvt_f16_f32_e32 v27, v18
	v_lshlrev_b32_e32 v28, 1, v0
	s_movk_i32 s22, 0x4c00
	v_add3_u32 v28, v15, s22, v28
	s_mul_hi_i32 s23, s36, s8
	s_mul_i32 s22, s36, s8
	s_lshl_b64 s[22:23], s[22:23], 2
	v_ashrrev_i32_e32 v32, 31, v31
	s_barrier
	ds_write_b16 v28, v1
	ds_write_b16 v28, v27 offset:64
	s_add_u32 s22, s28, s22
	v_lshlrev_b64 v[27:28], 2, v[31:32]
	s_addc_u32 s23, s29, s23
	v_mov_b32_e32 v1, s23
	v_add_co_u32_e32 v27, vcc, s22, v27
	v_addc_co_u32_e32 v1, vcc, v1, v28, vcc
	v_add_co_u32_e32 v27, vcc, v27, v6
	v_mov_b32_e32 v21, 0
	v_addc_co_u32_e32 v1, vcc, 0, v1, vcc
	v_mov_b32_e32 v33, s15
	v_mov_b32_e32 v34, 0
	buffer_store_dword v21, off, s[0:3], 0
	buffer_store_dword v21, off, s[0:3], 0 offset:4
	buffer_store_dword v21, off, s[0:3], 0 offset:8
	;; [unrolled: 1-line block ×3, first 2 shown]
	v_cndmask_b32_e64 v28, v33, v1, s[6:7]
	v_cndmask_b32_e64 v27, v34, v27, s[6:7]
	flat_load_dwordx4 v[27:30], v[27:28]
	s_lshl_b32 s6, s8, 4
	v_add_u32_e32 v1, s6, v31
	v_lshl_or_b32 v35, v2, 8, v6
	v_ashrrev_i32_e32 v2, 31, v1
	v_lshlrev_b64 v[31:32], 2, v[1:2]
	v_mov_b32_e32 v36, s23
	v_add_co_u32_e32 v2, vcc, s22, v31
	v_addc_co_u32_e32 v31, vcc, v36, v32, vcc
	v_add_co_u32_e32 v2, vcc, v2, v6
	v_addc_co_u32_e32 v31, vcc, 0, v31, vcc
	v_cndmask_b32_e64 v32, v33, v31, s[10:11]
	v_cndmask_b32_e64 v31, v34, v2, s[10:11]
	buffer_store_dword v21, off, s[0:3], 0
	buffer_store_dword v21, off, s[0:3], 0 offset:4
	buffer_store_dword v21, off, s[0:3], 0 offset:8
	;; [unrolled: 1-line block ×3, first 2 shown]
	v_add_u32_e32 v1, s6, v1
	v_ashrrev_i32_e32 v2, 31, v1
	v_sub_f32_e32 v5, v5, v16
	v_add_f32_e32 v80, v17, v18
	v_add_u32_e32 v76, 0x2000, v24
	v_add_u32_e32 v77, 0x2800, v24
	v_add_u32_e32 v78, 0x3000, v24
	v_add_u32_e32 v79, 0x3800, v24
	s_waitcnt vmcnt(0) lgkmcnt(0)
	ds_write_b128 v35, v[27:30]
	flat_load_dwordx4 v[27:30], v[31:32]
	v_lshl_or_b32 v31, v3, 8, v6
	v_lshlrev_b64 v[2:3], 2, v[1:2]
	v_mov_b32_e32 v32, s23
	v_add_co_u32_e32 v2, vcc, s22, v2
	v_addc_co_u32_e32 v3, vcc, v32, v3, vcc
	v_add_co_u32_e32 v2, vcc, v2, v6
	v_addc_co_u32_e32 v3, vcc, 0, v3, vcc
	v_cndmask_b32_e64 v3, v33, v3, s[16:17]
	v_cndmask_b32_e64 v2, v34, v2, s[16:17]
	buffer_store_dword v21, off, s[0:3], 0
	buffer_store_dword v21, off, s[0:3], 0 offset:4
	buffer_store_dword v21, off, s[0:3], 0 offset:8
	;; [unrolled: 1-line block ×3, first 2 shown]
	v_add_u32_e32 v1, s6, v1
	s_mov_b32 s6, 0x10001
	s_waitcnt vmcnt(0) lgkmcnt(0)
	ds_write_b128 v31, v[27:30]
	flat_load_dwordx4 v[27:30], v[2:3]
	v_ashrrev_i32_e32 v2, 31, v1
	v_lshlrev_b64 v[1:2], 2, v[1:2]
	v_lshl_or_b32 v3, v4, 8, v6
	v_mov_b32_e32 v4, s23
	v_add_co_u32_e32 v1, vcc, s22, v1
	v_addc_co_u32_e32 v2, vcc, v4, v2, vcc
	v_add_co_u32_e32 v1, vcc, v1, v6
	v_addc_co_u32_e32 v2, vcc, 0, v2, vcc
	v_cndmask_b32_e64 v2, v33, v2, s[12:13]
	v_cndmask_b32_e64 v1, v34, v1, s[12:13]
	buffer_store_dword v21, off, s[0:3], 0
	buffer_store_dword v21, off, s[0:3], 0 offset:4
	buffer_store_dword v21, off, s[0:3], 0 offset:8
	;; [unrolled: 1-line block ×3, first 2 shown]
	v_cmp_ngt_f32_e32 vcc, s14, v5
	v_lshl_or_b32 v6, v7, 8, v6
	v_add_u32_e32 v7, 0x800, v24
	v_add_u32_e32 v21, 0x1000, v24
	s_waitcnt vmcnt(0) lgkmcnt(0)
	ds_write_b128 v3, v[27:30]
	flat_load_dwordx4 v[1:4], v[1:2]
	v_mul_f32_e32 v28, 0x3fb8aa3b, v5
	v_fma_f32 v29, v5, s19, -v28
	v_rndne_f32_e32 v30, v28
	v_fmac_f32_e32 v29, 0x32a5705f, v5
	v_sub_f32_e32 v28, v28, v30
	v_add_f32_e32 v28, v28, v29
	v_cvt_i32_f32_e32 v30, v30
	v_exp_f32_e32 v28, v28
	v_add_u32_e32 v27, 0x1800, v24
	v_ldexp_f32 v28, v28, v30
	v_cndmask_b32_e32 v28, 0, v28, vcc
	v_cmp_nlt_f32_e32 vcc, s18, v5
	v_cndmask_b32_e32 v19, v19, v28, vcc
	v_cvt_f16_f32_e32 v28, v19
	v_mov_b32_e32 v5, v16
	v_fmac_f32_e32 v80, v20, v19
	v_mul_u32_u24_e32 v20, 0x10001, v28
	s_waitcnt vmcnt(0) lgkmcnt(0)
	ds_write_b128 v6, v[1:4]
	s_waitcnt lgkmcnt(0)
	s_barrier
	ds_read2_b64 v[1:4], v24 offset1:32
	ds_read_b128 v[16:19], v15 offset:19456
	ds_read_b128 v[28:31], v15 offset:19472
	;; [unrolled: 1-line block ×4, first 2 shown]
	ds_read2_b64 v[40:43], v24 offset0:64 offset1:96
	ds_read2_b64 v[44:47], v24 offset0:128 offset1:160
	ds_read2_b64 v[48:51], v24 offset0:192 offset1:224
	ds_read2_b64 v[52:55], v7 offset1:32
	ds_read2_b64 v[56:59], v7 offset0:64 offset1:96
	ds_read2_b64 v[60:63], v7 offset0:128 offset1:160
	;; [unrolled: 1-line block ×3, first 2 shown]
	ds_read2_b64 v[68:71], v21 offset1:32
	ds_read2_b64 v[72:75], v21 offset0:64 offset1:96
	s_waitcnt lgkmcnt(12)
	v_mul_u32_u24_sdwa v6, v16, s6 dst_sel:DWORD dst_unused:UNUSED_PAD src0_sel:WORD_0 src1_sel:DWORD
	v_pk_mul_f16 v1, v1, v6
	v_pk_mul_f16 v2, v2, v6
	v_pk_fma_f16 v1, v25, v20, v1
	v_mul_u32_u24_sdwa v7, v16, s6 dst_sel:DWORD dst_unused:UNUSED_PAD src0_sel:WORD_1 src1_sel:DWORD
	v_pk_fma_f16 v2, v26, v20, v2
	v_pk_fma_f16 v6, v3, v7, v1
	;; [unrolled: 1-line block ×3, first 2 shown]
	v_mul_u32_u24_sdwa v16, v17, s6 dst_sel:DWORD dst_unused:UNUSED_PAD src0_sel:WORD_0 src1_sel:DWORD
	v_mul_u32_u24_sdwa v17, v17, s6 dst_sel:DWORD dst_unused:UNUSED_PAD src0_sel:WORD_1 src1_sel:DWORD
	s_waitcnt lgkmcnt(8)
	v_pk_fma_f16 v6, v40, v16, v6
	v_pk_fma_f16 v7, v41, v16, v7
	v_pk_fma_f16 v6, v42, v17, v6
	v_pk_fma_f16 v7, v43, v17, v7
	v_mul_u32_u24_sdwa v20, v18, s6 dst_sel:DWORD dst_unused:UNUSED_PAD src0_sel:WORD_0 src1_sel:DWORD
	ds_read2_b64 v[1:4], v21 offset0:128 offset1:160
	ds_read2_b64 v[40:43], v21 offset0:192 offset1:224
	v_mul_u32_u24_sdwa v21, v18, s6 dst_sel:DWORD dst_unused:UNUSED_PAD src0_sel:WORD_1 src1_sel:DWORD
	s_waitcnt lgkmcnt(9)
	v_pk_fma_f16 v6, v44, v20, v6
	v_pk_fma_f16 v7, v45, v20, v7
	v_mul_u32_u24_sdwa v24, v19, s6 dst_sel:DWORD dst_unused:UNUSED_PAD src0_sel:WORD_0 src1_sel:DWORD
	v_pk_fma_f16 v6, v46, v21, v6
	v_pk_fma_f16 v7, v47, v21, v7
	v_mul_u32_u24_sdwa v25, v19, s6 dst_sel:DWORD dst_unused:UNUSED_PAD src0_sel:WORD_1 src1_sel:DWORD
	s_waitcnt lgkmcnt(8)
	v_pk_fma_f16 v6, v48, v24, v6
	v_pk_fma_f16 v7, v49, v24, v7
	;; [unrolled: 1-line block ×4, first 2 shown]
	v_mul_u32_u24_sdwa v20, v28, s6 dst_sel:DWORD dst_unused:UNUSED_PAD src0_sel:WORD_0 src1_sel:DWORD
	s_waitcnt lgkmcnt(7)
	v_pk_fma_f16 v6, v52, v20, v6
	v_pk_fma_f16 v7, v53, v20, v7
	v_mul_u32_u24_sdwa v20, v28, s6 dst_sel:DWORD dst_unused:UNUSED_PAD src0_sel:WORD_1 src1_sel:DWORD
	v_pk_fma_f16 v6, v54, v20, v6
	v_pk_fma_f16 v7, v55, v20, v7
	v_mul_u32_u24_sdwa v20, v29, s6 dst_sel:DWORD dst_unused:UNUSED_PAD src0_sel:WORD_0 src1_sel:DWORD
	s_waitcnt lgkmcnt(6)
	v_pk_fma_f16 v6, v56, v20, v6
	v_pk_fma_f16 v7, v57, v20, v7
	v_mul_u32_u24_sdwa v20, v29, s6 dst_sel:DWORD dst_unused:UNUSED_PAD src0_sel:WORD_1 src1_sel:DWORD
	v_pk_fma_f16 v6, v58, v20, v6
	v_pk_fma_f16 v7, v59, v20, v7
	;; [unrolled: 7-line block ×3, first 2 shown]
	v_mul_u32_u24_sdwa v20, v31, s6 dst_sel:DWORD dst_unused:UNUSED_PAD src0_sel:WORD_0 src1_sel:DWORD
	v_mul_u32_u24_sdwa v21, v31, s6 dst_sel:DWORD dst_unused:UNUSED_PAD src0_sel:WORD_1 src1_sel:DWORD
	s_waitcnt lgkmcnt(4)
	v_pk_fma_f16 v6, v64, v20, v6
	v_pk_fma_f16 v7, v65, v20, v7
	;; [unrolled: 1-line block ×4, first 2 shown]
	v_mul_u32_u24_sdwa v20, v32, s6 dst_sel:DWORD dst_unused:UNUSED_PAD src0_sel:WORD_0 src1_sel:DWORD
	v_mul_u32_u24_sdwa v21, v32, s6 dst_sel:DWORD dst_unused:UNUSED_PAD src0_sel:WORD_1 src1_sel:DWORD
	s_waitcnt lgkmcnt(3)
	v_pk_fma_f16 v6, v68, v20, v6
	v_pk_fma_f16 v7, v69, v20, v7
	v_mul_u32_u24_sdwa v20, v33, s6 dst_sel:DWORD dst_unused:UNUSED_PAD src0_sel:WORD_0 src1_sel:DWORD
	v_pk_fma_f16 v6, v70, v21, v6
	v_pk_fma_f16 v7, v71, v21, v7
	v_mul_u32_u24_sdwa v21, v33, s6 dst_sel:DWORD dst_unused:UNUSED_PAD src0_sel:WORD_1 src1_sel:DWORD
	s_waitcnt lgkmcnt(2)
	v_pk_fma_f16 v6, v72, v20, v6
	v_pk_fma_f16 v7, v73, v20, v7
	ds_read2_b64 v[16:19], v27 offset1:32
	v_pk_fma_f16 v6, v74, v21, v6
	v_pk_fma_f16 v7, v75, v21, v7
	v_mul_u32_u24_sdwa v20, v34, s6 dst_sel:DWORD dst_unused:UNUSED_PAD src0_sel:WORD_0 src1_sel:DWORD
	v_mul_u32_u24_sdwa v21, v34, s6 dst_sel:DWORD dst_unused:UNUSED_PAD src0_sel:WORD_1 src1_sel:DWORD
	s_waitcnt lgkmcnt(2)
	v_pk_fma_f16 v1, v1, v20, v6
	v_pk_fma_f16 v2, v2, v20, v7
	ds_read2_b64 v[44:47], v27 offset0:64 offset1:96
	v_pk_fma_f16 v6, v3, v21, v1
	v_pk_fma_f16 v7, v4, v21, v2
	v_mul_u32_u24_sdwa v20, v35, s6 dst_sel:DWORD dst_unused:UNUSED_PAD src0_sel:WORD_0 src1_sel:DWORD
	v_mul_u32_u24_sdwa v21, v35, s6 dst_sel:DWORD dst_unused:UNUSED_PAD src0_sel:WORD_1 src1_sel:DWORD
	s_waitcnt lgkmcnt(2)
	v_pk_fma_f16 v6, v40, v20, v6
	v_pk_fma_f16 v7, v41, v20, v7
	;; [unrolled: 1-line block ×4, first 2 shown]
	v_mul_u32_u24_sdwa v20, v36, s6 dst_sel:DWORD dst_unused:UNUSED_PAD src0_sel:WORD_0 src1_sel:DWORD
	ds_read2_b64 v[48:51], v27 offset0:128 offset1:160
	ds_read2_b64 v[24:27], v27 offset0:192 offset1:224
	v_mul_u32_u24_sdwa v21, v36, s6 dst_sel:DWORD dst_unused:UNUSED_PAD src0_sel:WORD_1 src1_sel:DWORD
	s_waitcnt lgkmcnt(3)
	v_pk_fma_f16 v6, v16, v20, v6
	v_pk_fma_f16 v7, v17, v20, v7
	;; [unrolled: 1-line block ×4, first 2 shown]
	v_mul_u32_u24_sdwa v20, v37, s6 dst_sel:DWORD dst_unused:UNUSED_PAD src0_sel:WORD_0 src1_sel:DWORD
	v_mul_u32_u24_sdwa v21, v37, s6 dst_sel:DWORD dst_unused:UNUSED_PAD src0_sel:WORD_1 src1_sel:DWORD
	s_waitcnt lgkmcnt(2)
	v_pk_fma_f16 v6, v44, v20, v6
	v_pk_fma_f16 v7, v45, v20, v7
	ds_read2_b64 v[52:55], v76 offset1:32
	ds_read2_b64 v[56:59], v76 offset0:64 offset1:96
	ds_read2_b64 v[60:63], v76 offset0:128 offset1:160
	;; [unrolled: 1-line block ×3, first 2 shown]
	ds_read2_b64 v[64:67], v77 offset1:32
	ds_read_b128 v[68:71], v15 offset:19520
	ds_read_b128 v[72:75], v15 offset:19536
	v_pk_fma_f16 v6, v46, v21, v6
	v_pk_fma_f16 v7, v47, v21, v7
	v_mul_u32_u24_sdwa v20, v38, s6 dst_sel:DWORD dst_unused:UNUSED_PAD src0_sel:WORD_0 src1_sel:DWORD
	v_mul_u32_u24_sdwa v21, v38, s6 dst_sel:DWORD dst_unused:UNUSED_PAD src0_sel:WORD_1 src1_sel:DWORD
	s_waitcnt lgkmcnt(8)
	v_pk_fma_f16 v6, v48, v20, v6
	v_pk_fma_f16 v7, v49, v20, v7
	v_mul_u32_u24_sdwa v76, v39, s6 dst_sel:DWORD dst_unused:UNUSED_PAD src0_sel:WORD_0 src1_sel:DWORD
	v_pk_fma_f16 v6, v50, v21, v6
	v_pk_fma_f16 v7, v51, v21, v7
	ds_read2_b64 v[1:4], v77 offset0:64 offset1:96
	ds_read2_b64 v[32:35], v77 offset0:128 offset1:160
	;; [unrolled: 1-line block ×3, first 2 shown]
	v_mul_u32_u24_sdwa v77, v39, s6 dst_sel:DWORD dst_unused:UNUSED_PAD src0_sel:WORD_1 src1_sel:DWORD
	s_waitcnt lgkmcnt(10)
	v_pk_fma_f16 v6, v24, v76, v6
	v_pk_fma_f16 v7, v25, v76, v7
	s_waitcnt lgkmcnt(4)
	v_mul_u32_u24_sdwa v20, v68, s6 dst_sel:DWORD dst_unused:UNUSED_PAD src0_sel:WORD_0 src1_sel:DWORD
	v_pk_fma_f16 v6, v26, v77, v6
	v_pk_fma_f16 v7, v27, v77, v7
	v_mul_u32_u24_sdwa v21, v68, s6 dst_sel:DWORD dst_unused:UNUSED_PAD src0_sel:WORD_1 src1_sel:DWORD
	v_pk_fma_f16 v6, v52, v20, v6
	v_pk_fma_f16 v7, v53, v20, v7
	v_mul_u32_u24_sdwa v68, v69, s6 dst_sel:DWORD dst_unused:UNUSED_PAD src0_sel:WORD_0 src1_sel:DWORD
	v_pk_fma_f16 v6, v54, v21, v6
	v_pk_fma_f16 v7, v55, v21, v7
	v_mul_u32_u24_sdwa v69, v69, s6 dst_sel:DWORD dst_unused:UNUSED_PAD src0_sel:WORD_1 src1_sel:DWORD
	v_pk_fma_f16 v6, v56, v68, v6
	v_pk_fma_f16 v7, v57, v68, v7
	;; [unrolled: 6-line block ×4, first 2 shown]
	s_waitcnt lgkmcnt(3)
	v_mul_u32_u24_sdwa v20, v72, s6 dst_sel:DWORD dst_unused:UNUSED_PAD src0_sel:WORD_0 src1_sel:DWORD
	v_pk_fma_f16 v6, v30, v71, v6
	v_pk_fma_f16 v7, v31, v71, v7
	v_mul_u32_u24_sdwa v21, v72, s6 dst_sel:DWORD dst_unused:UNUSED_PAD src0_sel:WORD_1 src1_sel:DWORD
	v_pk_fma_f16 v6, v64, v20, v6
	v_pk_fma_f16 v7, v65, v20, v7
	v_mul_u32_u24_sdwa v68, v73, s6 dst_sel:DWORD dst_unused:UNUSED_PAD src0_sel:WORD_0 src1_sel:DWORD
	v_pk_fma_f16 v6, v66, v21, v6
	v_pk_fma_f16 v7, v67, v21, v7
	ds_read_b128 v[44:47], v15 offset:19552
	ds_read_b128 v[56:59], v15 offset:19568
	v_mul_u32_u24_sdwa v69, v73, s6 dst_sel:DWORD dst_unused:UNUSED_PAD src0_sel:WORD_1 src1_sel:DWORD
	s_waitcnt lgkmcnt(4)
	v_pk_fma_f16 v1, v1, v68, v6
	v_pk_fma_f16 v2, v2, v68, v7
	ds_read2_b64 v[16:19], v78 offset1:32
	v_mul_u32_u24_sdwa v72, v74, s6 dst_sel:DWORD dst_unused:UNUSED_PAD src0_sel:WORD_0 src1_sel:DWORD
	v_pk_fma_f16 v1, v3, v69, v1
	v_pk_fma_f16 v2, v4, v69, v2
	v_mul_u32_u24_sdwa v73, v74, s6 dst_sel:DWORD dst_unused:UNUSED_PAD src0_sel:WORD_1 src1_sel:DWORD
	s_waitcnt lgkmcnt(4)
	v_pk_fma_f16 v1, v32, v72, v1
	v_pk_fma_f16 v2, v33, v72, v2
	ds_read2_b64 v[36:39], v78 offset0:64 offset1:96
	v_mul_u32_u24_sdwa v74, v75, s6 dst_sel:DWORD dst_unused:UNUSED_PAD src0_sel:WORD_0 src1_sel:DWORD
	v_pk_fma_f16 v1, v34, v73, v1
	v_pk_fma_f16 v2, v35, v73, v2
	v_mul_u32_u24_sdwa v75, v75, s6 dst_sel:DWORD dst_unused:UNUSED_PAD src0_sel:WORD_1 src1_sel:DWORD
	s_waitcnt lgkmcnt(4)
	v_pk_fma_f16 v1, v40, v74, v1
	v_pk_fma_f16 v2, v41, v74, v2
	ds_read2_b64 v[48:51], v78 offset0:128 offset1:160
	s_waitcnt lgkmcnt(4)
	v_mul_u32_u24_sdwa v15, v44, s6 dst_sel:DWORD dst_unused:UNUSED_PAD src0_sel:WORD_0 src1_sel:DWORD
	v_pk_fma_f16 v1, v42, v75, v1
	v_pk_fma_f16 v2, v43, v75, v2
	v_mul_u32_u24_sdwa v60, v44, s6 dst_sel:DWORD dst_unused:UNUSED_PAD src0_sel:WORD_1 src1_sel:DWORD
	s_waitcnt lgkmcnt(2)
	v_pk_fma_f16 v1, v16, v15, v1
	v_pk_fma_f16 v2, v17, v15, v2
	ds_read2_b64 v[24:27], v78 offset0:192 offset1:224
	v_mul_u32_u24_sdwa v61, v45, s6 dst_sel:DWORD dst_unused:UNUSED_PAD src0_sel:WORD_0 src1_sel:DWORD
	v_pk_fma_f16 v1, v18, v60, v1
	v_pk_fma_f16 v2, v19, v60, v2
	v_mul_u32_u24_sdwa v62, v45, s6 dst_sel:DWORD dst_unused:UNUSED_PAD src0_sel:WORD_1 src1_sel:DWORD
	s_waitcnt lgkmcnt(2)
	v_pk_fma_f16 v1, v36, v61, v1
	v_pk_fma_f16 v2, v37, v61, v2
	ds_read2_b64 v[52:55], v79 offset1:32
	v_mul_u32_u24_sdwa v63, v46, s6 dst_sel:DWORD dst_unused:UNUSED_PAD src0_sel:WORD_0 src1_sel:DWORD
	v_pk_fma_f16 v1, v38, v62, v1
	v_pk_fma_f16 v2, v39, v62, v2
	v_mul_u32_u24_sdwa v70, v46, s6 dst_sel:DWORD dst_unused:UNUSED_PAD src0_sel:WORD_1 src1_sel:DWORD
	s_waitcnt lgkmcnt(2)
	v_pk_fma_f16 v1, v48, v63, v1
	v_pk_fma_f16 v2, v49, v63, v2
	v_mul_u32_u24_sdwa v76, v47, s6 dst_sel:DWORD dst_unused:UNUSED_PAD src0_sel:WORD_0 src1_sel:DWORD
	v_mul_u32_u24_sdwa v78, v47, s6 dst_sel:DWORD dst_unused:UNUSED_PAD src0_sel:WORD_1 src1_sel:DWORD
	ds_read2_b64 v[44:47], v79 offset0:64 offset1:96
	v_pk_fma_f16 v1, v50, v70, v1
	v_pk_fma_f16 v2, v51, v70, v2
	s_waitcnt lgkmcnt(2)
	v_pk_fma_f16 v1, v24, v76, v1
	v_pk_fma_f16 v2, v25, v76, v2
	ds_read2_b64 v[28:31], v79 offset0:128 offset1:160
	v_mul_u32_u24_sdwa v71, v56, s6 dst_sel:DWORD dst_unused:UNUSED_PAD src0_sel:WORD_0 src1_sel:DWORD
	v_pk_fma_f16 v1, v26, v78, v1
	v_pk_fma_f16 v2, v27, v78, v2
	v_mul_u32_u24_sdwa v20, v56, s6 dst_sel:DWORD dst_unused:UNUSED_PAD src0_sel:WORD_1 src1_sel:DWORD
	s_waitcnt lgkmcnt(2)
	v_pk_fma_f16 v1, v52, v71, v1
	v_pk_fma_f16 v2, v53, v71, v2
	v_mul_u32_u24_sdwa v21, v57, s6 dst_sel:DWORD dst_unused:UNUSED_PAD src0_sel:WORD_0 src1_sel:DWORD
	v_mul_u32_u24_sdwa v64, v57, s6 dst_sel:DWORD dst_unused:UNUSED_PAD src0_sel:WORD_1 src1_sel:DWORD
	v_mul_u32_u24_sdwa v65, v58, s6 dst_sel:DWORD dst_unused:UNUSED_PAD src0_sel:WORD_0 src1_sel:DWORD
	v_mul_u32_u24_sdwa v66, v58, s6 dst_sel:DWORD dst_unused:UNUSED_PAD src0_sel:WORD_1 src1_sel:DWORD
	;; [unrolled: 2-line block ×3, first 2 shown]
	ds_read2_b64 v[56:59], v79 offset0:192 offset1:224
	v_pk_fma_f16 v1, v54, v20, v1
	v_pk_fma_f16 v2, v55, v20, v2
	s_waitcnt lgkmcnt(2)
	v_pk_fma_f16 v1, v44, v21, v1
	v_pk_fma_f16 v2, v45, v21, v2
	v_pk_fma_f16 v1, v46, v64, v1
	v_pk_fma_f16 v2, v47, v64, v2
	s_waitcnt lgkmcnt(1)
	v_pk_fma_f16 v1, v28, v65, v1
	v_pk_fma_f16 v2, v29, v65, v2
	;; [unrolled: 5-line block ×3, first 2 shown]
	v_pk_fma_f16 v25, v58, v77, v1
	v_pk_fma_f16 v26, v59, v77, v2
	v_mov_b32_e32 v20, v80
	s_barrier
.LBB89_46:
	v_cmp_lt_i32_e32 vcc, v11, v9
	v_cndmask_b32_e32 v1, v8, v11, vcc
	v_lshlrev_b32_e32 v1, 2, v1
	ds_bpermute_b32 v1, v1, v20
	v_cmp_lt_i32_e32 vcc, v10, v9
	v_cndmask_b32_e32 v2, v8, v10, vcc
	v_lshlrev_b32_e32 v2, 2, v2
	v_cmp_lt_i32_e32 vcc, v12, v9
	s_waitcnt lgkmcnt(0)
	v_add_f32_e32 v1, v20, v1
	ds_bpermute_b32 v2, v2, v1
	v_cndmask_b32_e32 v3, v8, v12, vcc
	v_lshlrev_b32_e32 v3, 2, v3
	v_cmp_lt_i32_e32 vcc, v13, v9
	s_cmp_eq_u64 s[20:21], 0
	s_waitcnt lgkmcnt(0)
	v_add_f32_e32 v1, v1, v2
	ds_bpermute_b32 v2, v3, v1
	v_cndmask_b32_e32 v3, v8, v13, vcc
	v_lshlrev_b32_e32 v3, 2, v3
	v_cmp_lt_i32_e32 vcc, v14, v9
	s_cselect_b64 s[6:7], -1, 0
	s_waitcnt lgkmcnt(0)
	v_add_f32_e32 v1, v1, v2
	ds_bpermute_b32 v2, v3, v1
	v_cndmask_b32_e32 v3, v8, v14, vcc
	v_lshlrev_b32_e32 v3, 2, v3
	s_cmp_lg_u32 s9, 0
	s_cselect_b64 s[10:11], -1, 0
	s_waitcnt lgkmcnt(0)
	v_add_f32_e32 v1, v1, v2
	ds_bpermute_b32 v2, v3, v1
	s_or_b64 s[6:7], s[10:11], s[6:7]
	s_and_b64 vcc, exec, s[6:7]
	s_waitcnt lgkmcnt(0)
	v_add_f32_e32 v6, v1, v2
	s_cbranch_vccnz .LBB89_48
; %bb.47:
	s_lshl_b64 s[6:7], s[34:35], 2
	s_add_u32 s6, s20, s6
	s_addc_u32 s7, s21, s7
	v_mov_b32_e32 v1, 0
	global_load_dword v1, v1, s[6:7]
	v_max_f32_e32 v2, v5, v5
	s_mov_b32 s6, 0x3fb8aa3b
	s_mov_b32 s7, 0xc2ce8ed0
	s_waitcnt vmcnt(0)
	v_max_f32_e32 v3, v1, v1
	v_max_f32_e32 v2, v2, v3
	v_sub_f32_e32 v3, v5, v2
	v_sub_f32_e32 v1, v1, v2
	v_mul_f32_e32 v4, 0x3fb8aa3b, v3
	v_mul_f32_e32 v5, 0x3fb8aa3b, v1
	v_fma_f32 v7, v3, s6, -v4
	v_rndne_f32_e32 v8, v4
	v_fma_f32 v9, v1, s6, -v5
	v_rndne_f32_e32 v10, v5
	v_fmac_f32_e32 v7, 0x32a5705f, v3
	v_sub_f32_e32 v4, v4, v8
	v_fmac_f32_e32 v9, 0x32a5705f, v1
	v_sub_f32_e32 v5, v5, v10
	v_add_f32_e32 v4, v4, v7
	v_cvt_i32_f32_e32 v8, v8
	v_add_f32_e32 v5, v5, v9
	v_exp_f32_e32 v4, v4
	v_cvt_i32_f32_e32 v10, v10
	v_exp_f32_e32 v5, v5
	v_cmp_ngt_f32_e32 vcc, s7, v3
	v_ldexp_f32 v4, v4, v8
	s_mov_b32 s6, 0x42b17218
	v_ldexp_f32 v5, v5, v10
	v_cndmask_b32_e32 v4, 0, v4, vcc
	v_cmp_ngt_f32_e32 vcc, s7, v1
	v_mov_b32_e32 v7, 0x7f800000
	v_cndmask_b32_e32 v5, 0, v5, vcc
	v_cmp_nlt_f32_e32 vcc, s6, v3
	v_cndmask_b32_e32 v3, v7, v4, vcc
	v_cvt_f16_f32_e32 v4, v3
	v_cmp_nlt_f32_e32 vcc, s6, v1
	v_cndmask_b32_e32 v1, v7, v5, vcc
	v_fmac_f32_e32 v1, v6, v3
	v_mov_b32_e32 v6, v1
	v_mul_u32_u24_e32 v1, 0x10001, v4
	v_pk_mul_f16 v25, v25, v1
	v_pk_mul_f16 v26, v26, v1
	v_mov_b32_e32 v5, v2
.LBB89_48:
	v_cmp_gt_i32_e32 vcc, s30, v22
	s_and_saveexec_b64 s[6:7], vcc
	s_cbranch_execz .LBB89_51
; %bb.49:
	v_div_scale_f32 v1, s[6:7], v6, v6, 1.0
	v_div_scale_f32 v3, vcc, 1.0, v6, 1.0
	s_mul_i32 s33, s33, s30
	v_add_u32_e32 v7, s33, v22
	s_load_dword s4, s[4:5], 0xd4
	v_mul_lo_u32 v7, v7, s31
	v_mov_b32_e32 v2, 0
	v_mov_b32_e32 v8, s25
	v_cvt_f32_f16_sdwa v11, v26 dst_sel:DWORD dst_unused:UNUSED_PAD src0_sel:WORD_1
	s_waitcnt lgkmcnt(0)
	s_cmp_lg_u32 s4, 1
	v_rcp_f32_e32 v4, v1
	v_fma_f32 v9, -v1, v4, 1.0
	v_fmac_f32_e32 v4, v9, v4
	v_mul_f32_e32 v9, v3, v4
	v_fma_f32 v10, -v1, v9, v3
	v_fmac_f32_e32 v9, v10, v4
	v_fma_f32 v1, -v1, v9, v3
	v_div_fmas_f32 v3, v1, v4, v9
	v_cmp_eq_u32_e32 vcc, 0, v0
	v_add_u32_e32 v0, s34, v7
	v_mul_lo_u32 v0, s4, v0
	v_cvt_f32_f16_e32 v4, v25
	v_cvt_f32_f16_sdwa v9, v25 dst_sel:DWORD dst_unused:UNUSED_PAD src0_sel:WORD_1
	v_cvt_f32_f16_e32 v10, v26
	v_add_u32_e32 v0, s9, v0
	v_lshl_add_u32 v1, v0, 7, v23
	v_lshlrev_b64 v[1:2], 2, v[1:2]
	v_add_co_u32_e64 v7, s[4:5], s24, v1
	v_addc_co_u32_e64 v8, s[4:5], v8, v2, s[4:5]
	s_cselect_b64 s[4:5], -1, 0
	v_div_fixup_f32 v1, v3, v6, 1.0
	v_cndmask_b32_e64 v12, v1, 1.0, s[4:5]
	s_and_b64 s[4:5], vcc, s[4:5]
	v_mul_f32_e32 v1, v12, v4
	v_mul_f32_e32 v2, v12, v9
	;; [unrolled: 1-line block ×4, first 2 shown]
	global_store_dwordx4 v[7:8], v[1:4], off
	s_and_b64 exec, exec, s[4:5]
	s_cbranch_execz .LBB89_51
; %bb.50:
	v_ashrrev_i32_e32 v1, 31, v0
	v_lshlrev_b64 v[0:1], 3, v[0:1]
	v_mov_b32_e32 v2, s27
	v_add_co_u32_e32 v0, vcc, s26, v0
	v_addc_co_u32_e32 v1, vcc, v2, v1, vcc
	global_store_dwordx2 v[0:1], v[5:6], off
.LBB89_51:
	s_endpgm
	.section	.rodata,"a",@progbits
	.p2align	6, 0x0
	.amdhsa_kernel _ZL15flash_attn_tileILi128ELi128ELi8ELi1ELb1EEvPKcS1_S1_S1_S1_PKiPfP15HIP_vector_typeIfLj2EEffffjfiS5_IjLj3EEiiiiiiiiiiiliiliiiiil
		.amdhsa_group_segment_fixed_size 20480
		.amdhsa_private_segment_fixed_size 32
		.amdhsa_kernarg_size 464
		.amdhsa_user_sgpr_count 8
		.amdhsa_user_sgpr_private_segment_buffer 1
		.amdhsa_user_sgpr_dispatch_ptr 0
		.amdhsa_user_sgpr_queue_ptr 0
		.amdhsa_user_sgpr_kernarg_segment_ptr 1
		.amdhsa_user_sgpr_dispatch_id 0
		.amdhsa_user_sgpr_flat_scratch_init 1
		.amdhsa_user_sgpr_private_segment_size 0
		.amdhsa_uses_dynamic_stack 0
		.amdhsa_system_sgpr_private_segment_wavefront_offset 1
		.amdhsa_system_sgpr_workgroup_id_x 1
		.amdhsa_system_sgpr_workgroup_id_y 1
		.amdhsa_system_sgpr_workgroup_id_z 1
		.amdhsa_system_sgpr_workgroup_info 0
		.amdhsa_system_vgpr_workitem_id 1
		.amdhsa_next_free_vgpr 81
		.amdhsa_next_free_sgpr 96
		.amdhsa_reserve_vcc 1
		.amdhsa_reserve_flat_scratch 1
		.amdhsa_float_round_mode_32 0
		.amdhsa_float_round_mode_16_64 0
		.amdhsa_float_denorm_mode_32 3
		.amdhsa_float_denorm_mode_16_64 3
		.amdhsa_dx10_clamp 1
		.amdhsa_ieee_mode 1
		.amdhsa_fp16_overflow 0
		.amdhsa_exception_fp_ieee_invalid_op 0
		.amdhsa_exception_fp_denorm_src 0
		.amdhsa_exception_fp_ieee_div_zero 0
		.amdhsa_exception_fp_ieee_overflow 0
		.amdhsa_exception_fp_ieee_underflow 0
		.amdhsa_exception_fp_ieee_inexact 0
		.amdhsa_exception_int_div_zero 0
	.end_amdhsa_kernel
	.section	.text._ZL15flash_attn_tileILi128ELi128ELi8ELi1ELb1EEvPKcS1_S1_S1_S1_PKiPfP15HIP_vector_typeIfLj2EEffffjfiS5_IjLj3EEiiiiiiiiiiiliiliiiiil,"axG",@progbits,_ZL15flash_attn_tileILi128ELi128ELi8ELi1ELb1EEvPKcS1_S1_S1_S1_PKiPfP15HIP_vector_typeIfLj2EEffffjfiS5_IjLj3EEiiiiiiiiiiiliiliiiiil,comdat
.Lfunc_end89:
	.size	_ZL15flash_attn_tileILi128ELi128ELi8ELi1ELb1EEvPKcS1_S1_S1_S1_PKiPfP15HIP_vector_typeIfLj2EEffffjfiS5_IjLj3EEiiiiiiiiiiiliiliiiiil, .Lfunc_end89-_ZL15flash_attn_tileILi128ELi128ELi8ELi1ELb1EEvPKcS1_S1_S1_S1_PKiPfP15HIP_vector_typeIfLj2EEffffjfiS5_IjLj3EEiiiiiiiiiiiliiliiiiil
                                        ; -- End function
	.set _ZL15flash_attn_tileILi128ELi128ELi8ELi1ELb1EEvPKcS1_S1_S1_S1_PKiPfP15HIP_vector_typeIfLj2EEffffjfiS5_IjLj3EEiiiiiiiiiiiliiliiiiil.num_vgpr, 81
	.set _ZL15flash_attn_tileILi128ELi128ELi8ELi1ELb1EEvPKcS1_S1_S1_S1_PKiPfP15HIP_vector_typeIfLj2EEffffjfiS5_IjLj3EEiiiiiiiiiiiliiliiiiil.num_agpr, 0
	.set _ZL15flash_attn_tileILi128ELi128ELi8ELi1ELb1EEvPKcS1_S1_S1_S1_PKiPfP15HIP_vector_typeIfLj2EEffffjfiS5_IjLj3EEiiiiiiiiiiiliiliiiiil.numbered_sgpr, 52
	.set _ZL15flash_attn_tileILi128ELi128ELi8ELi1ELb1EEvPKcS1_S1_S1_S1_PKiPfP15HIP_vector_typeIfLj2EEffffjfiS5_IjLj3EEiiiiiiiiiiiliiliiiiil.num_named_barrier, 0
	.set _ZL15flash_attn_tileILi128ELi128ELi8ELi1ELb1EEvPKcS1_S1_S1_S1_PKiPfP15HIP_vector_typeIfLj2EEffffjfiS5_IjLj3EEiiiiiiiiiiiliiliiiiil.private_seg_size, 32
	.set _ZL15flash_attn_tileILi128ELi128ELi8ELi1ELb1EEvPKcS1_S1_S1_S1_PKiPfP15HIP_vector_typeIfLj2EEffffjfiS5_IjLj3EEiiiiiiiiiiiliiliiiiil.uses_vcc, 1
	.set _ZL15flash_attn_tileILi128ELi128ELi8ELi1ELb1EEvPKcS1_S1_S1_S1_PKiPfP15HIP_vector_typeIfLj2EEffffjfiS5_IjLj3EEiiiiiiiiiiiliiliiiiil.uses_flat_scratch, 1
	.set _ZL15flash_attn_tileILi128ELi128ELi8ELi1ELb1EEvPKcS1_S1_S1_S1_PKiPfP15HIP_vector_typeIfLj2EEffffjfiS5_IjLj3EEiiiiiiiiiiiliiliiiiil.has_dyn_sized_stack, 0
	.set _ZL15flash_attn_tileILi128ELi128ELi8ELi1ELb1EEvPKcS1_S1_S1_S1_PKiPfP15HIP_vector_typeIfLj2EEffffjfiS5_IjLj3EEiiiiiiiiiiiliiliiiiil.has_recursion, 0
	.set _ZL15flash_attn_tileILi128ELi128ELi8ELi1ELb1EEvPKcS1_S1_S1_S1_PKiPfP15HIP_vector_typeIfLj2EEffffjfiS5_IjLj3EEiiiiiiiiiiiliiliiiiil.has_indirect_call, 0
	.section	.AMDGPU.csdata,"",@progbits
; Kernel info:
; codeLenInByte = 14184
; TotalNumSgprs: 58
; NumVgprs: 81
; ScratchSize: 32
; MemoryBound: 0
; FloatMode: 240
; IeeeMode: 1
; LDSByteSize: 20480 bytes/workgroup (compile time only)
; SGPRBlocks: 12
; VGPRBlocks: 20
; NumSGPRsForWavesPerEU: 102
; NumVGPRsForWavesPerEU: 81
; Occupancy: 3
; WaveLimiterHint : 1
; COMPUTE_PGM_RSRC2:SCRATCH_EN: 1
; COMPUTE_PGM_RSRC2:USER_SGPR: 8
; COMPUTE_PGM_RSRC2:TRAP_HANDLER: 0
; COMPUTE_PGM_RSRC2:TGID_X_EN: 1
; COMPUTE_PGM_RSRC2:TGID_Y_EN: 1
; COMPUTE_PGM_RSRC2:TGID_Z_EN: 1
; COMPUTE_PGM_RSRC2:TIDIG_COMP_CNT: 1
	.section	.text._ZL15flash_attn_tileILi128ELi128ELi4ELi1ELb1EEvPKcS1_S1_S1_S1_PKiPfP15HIP_vector_typeIfLj2EEffffjfiS5_IjLj3EEiiiiiiiiiiiliiliiiiil,"axG",@progbits,_ZL15flash_attn_tileILi128ELi128ELi4ELi1ELb1EEvPKcS1_S1_S1_S1_PKiPfP15HIP_vector_typeIfLj2EEffffjfiS5_IjLj3EEiiiiiiiiiiiliiliiiiil,comdat
	.globl	_ZL15flash_attn_tileILi128ELi128ELi4ELi1ELb1EEvPKcS1_S1_S1_S1_PKiPfP15HIP_vector_typeIfLj2EEffffjfiS5_IjLj3EEiiiiiiiiiiiliiliiiiil ; -- Begin function _ZL15flash_attn_tileILi128ELi128ELi4ELi1ELb1EEvPKcS1_S1_S1_S1_PKiPfP15HIP_vector_typeIfLj2EEffffjfiS5_IjLj3EEiiiiiiiiiiiliiliiiiil
	.p2align	8
	.type	_ZL15flash_attn_tileILi128ELi128ELi4ELi1ELb1EEvPKcS1_S1_S1_S1_PKiPfP15HIP_vector_typeIfLj2EEffffjfiS5_IjLj3EEiiiiiiiiiiiliiliiiiil,@function
_ZL15flash_attn_tileILi128ELi128ELi4ELi1ELb1EEvPKcS1_S1_S1_S1_PKiPfP15HIP_vector_typeIfLj2EEffffjfiS5_IjLj3EEiiiiiiiiiiiliiliiiiil: ; @_ZL15flash_attn_tileILi128ELi128ELi4ELi1ELb1EEvPKcS1_S1_S1_S1_PKiPfP15HIP_vector_typeIfLj2EEffffjfiS5_IjLj3EEiiiiiiiiiiiliiliiiiil
; %bb.0:
	s_load_dwordx4 s[24:27], s[4:5], 0x5c
	s_load_dwordx2 s[16:17], s[4:5], 0x80
	s_add_u32 flat_scratch_lo, s6, s11
	s_addc_u32 flat_scratch_hi, s7, 0
	s_add_u32 s0, s0, s11
	s_waitcnt lgkmcnt(0)
	v_cvt_f32_u32_e32 v2, s27
	s_addc_u32 s1, s1, 0
	s_sub_i32 s6, 0, s27
	s_load_dwordx16 s[36:51], s[4:5], 0x0
	v_rcp_iflag_f32_e32 v2, v2
	s_load_dwordx2 s[18:19], s[4:5], 0xb8
	v_mov_b32_e32 v38, v0
	s_mov_b64 s[30:31], 0
	v_mul_f32_e32 v2, 0x4f7ffffe, v2
	v_cvt_u32_f32_e32 v2, v2
	v_readfirstlane_b32 s7, v2
	s_mul_i32 s6, s6, s7
	s_mul_hi_u32 s6, s7, s6
	s_add_i32 s7, s7, s6
	s_mul_hi_u32 s6, s10, s7
	s_mul_i32 s7, s6, s27
	s_sub_i32 s7, s10, s7
	s_add_i32 s11, s6, 1
	s_sub_i32 s12, s7, s27
	s_cmp_ge_u32 s7, s27
	s_cselect_b32 s6, s11, s6
	s_cselect_b32 s7, s12, s7
	s_add_i32 s11, s6, 1
	s_cmp_ge_u32 s7, s27
	s_cselect_b32 s33, s11, s6
	s_abs_i32 s6, s17
	v_cvt_f32_u32_e32 v2, s6
	s_mul_i32 s12, s33, s27
	s_sub_i32 s13, 0, s6
	s_sub_i32 s28, s10, s12
	v_rcp_iflag_f32_e32 v2, v2
	s_abs_i32 s11, s27
	s_xor_b32 s7, s27, s17
	s_ashr_i32 s7, s7, 31
	v_mul_f32_e32 v2, 0x4f7ffffe, v2
	v_cvt_u32_f32_e32 v2, v2
	v_readfirstlane_b32 s10, v2
	s_mul_i32 s13, s13, s10
	s_mul_hi_u32 s12, s10, s13
	s_add_i32 s10, s10, s12
	s_mul_hi_u32 s10, s11, s10
	s_mul_i32 s12, s10, s6
	s_sub_i32 s11, s11, s12
	s_add_i32 s13, s10, 1
	s_sub_i32 s12, s11, s6
	s_cmp_ge_u32 s11, s6
	s_cselect_b32 s10, s13, s10
	s_cselect_b32 s11, s12, s11
	s_add_i32 s12, s10, 1
	s_cmp_ge_u32 s11, s6
	s_cselect_b32 s6, s12, s10
	s_xor_b32 s6, s6, s7
	s_sub_i32 s17, s6, s7
	s_abs_i32 s20, s17
	v_cvt_f32_u32_e32 v2, s20
	s_sub_i32 s6, 0, s20
	s_abs_i32 s21, s28
	v_rcp_iflag_f32_e32 v2, v2
	v_mul_f32_e32 v2, 0x4f7ffffe, v2
	v_cvt_u32_f32_e32 v2, v2
	v_readfirstlane_b32 s7, v2
	s_mul_i32 s6, s6, s7
	s_mul_hi_u32 s6, s7, s6
	s_add_i32 s6, s7, s6
	s_waitcnt lgkmcnt(0)
	s_cmp_eq_u64 s[42:43], 0
	s_cbranch_scc1 .LBB90_2
; %bb.1:
	s_abs_i32 s7, s18
	v_cvt_f32_u32_e32 v2, s7
	s_sub_i32 s14, 0, s7
	s_abs_i32 s13, s33
	s_ashr_i32 s12, s33, 31
	v_rcp_iflag_f32_e32 v2, v2
	s_load_dwordx2 s[10:11], s[4:5], 0xc8
	v_mul_f32_e32 v2, 0x4f7ffffe, v2
	v_cvt_u32_f32_e32 v2, v2
	v_readfirstlane_b32 s15, v2
	s_mul_i32 s14, s14, s15
	s_mul_hi_u32 s14, s15, s14
	s_add_i32 s15, s15, s14
	s_mul_hi_u32 s14, s13, s15
	s_mul_i32 s14, s14, s7
	s_sub_i32 s13, s13, s14
	s_sub_i32 s14, s13, s7
	s_cmp_ge_u32 s13, s7
	s_cselect_b32 s13, s14, s13
	s_sub_i32 s14, s13, s7
	s_cmp_ge_u32 s13, s7
	s_cselect_b32 s7, s14, s13
	s_xor_b32 s7, s7, s12
	s_sub_i32 s7, s7, s12
	s_ashr_i32 s12, s7, 31
	s_waitcnt lgkmcnt(0)
	s_mul_hi_u32 s13, s10, s7
	s_mul_i32 s12, s10, s12
	s_mul_i32 s11, s11, s7
	s_add_i32 s12, s13, s12
	s_add_i32 s12, s12, s11
	s_mul_i32 s7, s10, s7
	s_add_u32 s30, s42, s7
	s_addc_u32 s31, s43, s12
.LBB90_2:
	s_load_dwordx4 s[12:15], s[4:5], 0x40
	s_load_dwordx2 s[34:35], s[4:5], 0x50
	s_mul_hi_u32 s18, s21, s6
	v_mov_b32_e32 v43, 1.0
	s_waitcnt lgkmcnt(0)
	v_cmp_le_f32_e64 s[6:7], s13, 0
	s_and_b64 vcc, exec, s[6:7]
	s_cbranch_vccnz .LBB90_4
; %bb.3:
	v_mov_b32_e32 v2, s34
	v_sub_co_u32_e32 v2, vcc, s28, v2
	v_mov_b32_e32 v3, s15
	v_mov_b32_e32 v4, s14
	s_add_i32 s6, s28, 1
	v_lshlrev_b32_e32 v2, 1, v2
	v_cndmask_b32_e32 v3, v3, v4, vcc
	v_or_b32_e32 v2, 1, v2
	v_mov_b32_e32 v4, s6
	v_cndmask_b32_e32 v2, v2, v4, vcc
	v_cvt_f32_i32_e32 v2, v2
	v_cmp_neq_f32_e32 vcc, 1.0, v3
	s_mov_b32 s6, 0x3f2aaaab
	s_movk_i32 s10, 0x204
	v_cndmask_b32_e32 v4, 1.0, v2, vcc
	v_cmp_neq_f32_e32 vcc, 0, v4
	v_cndmask_b32_e32 v5, 1.0, v3, vcc
	v_frexp_mant_f32_e64 v2, |v5|
	v_cmp_gt_f32_e32 vcc, s6, v2
	v_cndmask_b32_e64 v3, 1.0, 2.0, vcc
	v_mul_f32_e32 v2, v2, v3
	v_add_f32_e32 v3, 1.0, v2
	v_rcp_f32_e32 v6, v3
	v_add_f32_e32 v7, -1.0, v2
	v_add_f32_e32 v8, -1.0, v3
	v_sub_f32_e32 v2, v2, v8
	v_mul_f32_e32 v8, v7, v6
	v_mul_f32_e32 v9, v3, v8
	v_fma_f32 v3, v8, v3, -v9
	v_fmac_f32_e32 v3, v8, v2
	v_add_f32_e32 v2, v9, v3
	v_sub_f32_e32 v10, v7, v2
	v_sub_f32_e32 v9, v2, v9
	v_sub_f32_e32 v7, v7, v10
	v_sub_f32_e32 v2, v7, v2
	v_sub_f32_e32 v3, v9, v3
	v_add_f32_e32 v2, v3, v2
	v_add_f32_e32 v2, v10, v2
	v_mul_f32_e32 v2, v6, v2
	v_add_f32_e32 v6, v8, v2
	v_sub_f32_e32 v3, v6, v8
	v_sub_f32_e32 v7, v2, v3
	v_mul_f32_e32 v2, v6, v6
	v_fma_f32 v3, v6, v6, -v2
	v_add_f32_e32 v8, v7, v7
	v_fmac_f32_e32 v3, v6, v8
	v_add_f32_e32 v8, v2, v3
	v_mov_b32_e32 v9, 0x3e91f4c4
	v_sub_f32_e32 v2, v8, v2
	v_fmac_f32_e32 v9, 0x3e76c4e1, v8
	v_mov_b32_e32 v10, 0x3ecccdef
	v_sub_f32_e32 v2, v3, v2
	v_mul_f32_e32 v3, v6, v8
	v_fmac_f32_e32 v10, v8, v9
	v_fma_f32 v9, v8, v6, -v3
	v_fmac_f32_e32 v9, v8, v7
	v_fmac_f32_e32 v9, v2, v6
	v_add_f32_e32 v11, v3, v9
	v_sub_f32_e32 v3, v11, v3
	v_sub_f32_e32 v9, v9, v3
	v_mul_f32_e32 v3, v8, v10
	v_fma_f32 v8, v8, v10, -v3
	v_fmac_f32_e32 v8, v2, v10
	v_add_f32_e32 v10, v3, v8
	v_sub_f32_e32 v2, v10, v3
	v_sub_f32_e32 v8, v8, v2
	v_cvt_f64_f32_e64 v[2:3], |v5|
	v_add_f32_e32 v12, 0x3f2aaaaa, v10
	v_add_f32_e32 v13, 0xbf2aaaaa, v12
	;; [unrolled: 1-line block ×3, first 2 shown]
	v_frexp_exp_i32_f64_e32 v2, v[2:3]
	v_sub_f32_e32 v10, v10, v13
	v_add_f32_e32 v3, v8, v10
	v_add_f32_e32 v8, v12, v3
	v_sub_f32_e32 v10, v12, v8
	v_add_f32_e32 v3, v3, v10
	v_mul_f32_e32 v10, v11, v8
	v_fma_f32 v12, v11, v8, -v10
	v_subbrev_co_u32_e32 v2, vcc, 0, v2, vcc
	v_cvt_f32_i32_e32 v2, v2
	v_fmac_f32_e32 v12, v11, v3
	s_mov_b32 s6, 0x3f317218
	v_fmac_f32_e32 v12, v9, v8
	v_mul_f32_e32 v3, 0x3f317218, v2
	v_fma_f32 v8, v2, s6, -v3
	v_fmac_f32_e32 v8, 0xb102e308, v2
	v_ldexp_f32 v2, v7, 1
	v_add_f32_e32 v7, v3, v8
	v_sub_f32_e32 v3, v7, v3
	v_ldexp_f32 v6, v6, 1
	v_sub_f32_e32 v3, v8, v3
	v_add_f32_e32 v8, v10, v12
	v_sub_f32_e32 v9, v8, v10
	v_add_f32_e32 v10, v6, v8
	v_sub_f32_e32 v9, v12, v9
	v_sub_f32_e32 v6, v10, v6
	;; [unrolled: 1-line block ×3, first 2 shown]
	v_add_f32_e32 v2, v2, v9
	v_add_f32_e32 v2, v2, v6
	;; [unrolled: 1-line block ×3, first 2 shown]
	v_sub_f32_e32 v8, v6, v10
	v_sub_f32_e32 v2, v2, v8
	v_add_f32_e32 v8, v7, v6
	v_sub_f32_e32 v9, v8, v7
	v_sub_f32_e32 v10, v8, v9
	;; [unrolled: 1-line block ×4, first 2 shown]
	v_add_f32_e32 v6, v6, v7
	v_add_f32_e32 v7, v3, v2
	v_sub_f32_e32 v9, v7, v3
	v_sub_f32_e32 v10, v7, v9
	;; [unrolled: 1-line block ×4, first 2 shown]
	v_add_f32_e32 v2, v2, v3
	v_add_f32_e32 v3, v7, v6
	;; [unrolled: 1-line block ×3, first 2 shown]
	v_sub_f32_e32 v7, v6, v8
	v_sub_f32_e32 v3, v3, v7
	v_add_f32_e32 v2, v2, v3
	v_add_f32_e32 v3, v6, v2
	v_sub_f32_e32 v6, v3, v6
	v_sub_f32_e32 v2, v2, v6
	v_mul_f32_e32 v6, v4, v3
	v_fma_f32 v3, v4, v3, -v6
	v_fmac_f32_e32 v3, v4, v2
	v_add_f32_e32 v2, v6, v3
	v_cmp_class_f32_e64 vcc, v6, s10
	v_sub_f32_e32 v7, v2, v6
	v_cndmask_b32_e32 v2, v2, v6, vcc
	s_mov_b32 s7, 0x42b17218
	v_mov_b32_e32 v6, 0x37000000
	v_cmp_eq_f32_e32 vcc, s7, v2
	v_cndmask_b32_e32 v6, 0, v6, vcc
	v_sub_f32_e32 v3, v3, v7
	v_sub_f32_e32 v7, v2, v6
	s_mov_b32 s11, 0x3fb8aa3b
	v_mul_f32_e32 v8, 0x3fb8aa3b, v7
	v_fma_f32 v9, v7, s11, -v8
	v_rndne_f32_e32 v10, v8
	v_fmac_f32_e32 v9, 0x32a5705f, v7
	v_sub_f32_e32 v8, v8, v10
	v_add_f32_e32 v8, v8, v9
	v_exp_f32_e32 v8, v8
	v_cvt_i32_f32_e32 v9, v10
	s_mov_b32 s6, 0x7f800000
	v_cmp_neq_f32_e64 vcc, |v2|, s6
	s_mov_b32 s6, 0xc2ce8ed0
	v_cndmask_b32_e32 v2, 0, v3, vcc
	v_ldexp_f32 v3, v8, v9
	v_cmp_ngt_f32_e32 vcc, s6, v7
	v_add_f32_e32 v2, v6, v2
	v_cndmask_b32_e32 v3, 0, v3, vcc
	v_mov_b32_e32 v6, 0x7f800000
	v_cmp_nlt_f32_e32 vcc, s7, v7
	v_cndmask_b32_e32 v3, v6, v3, vcc
	v_fma_f32 v2, v3, v2, v3
	v_cmp_class_f32_e64 vcc, v3, s10
	v_cndmask_b32_e32 v2, v2, v3, vcc
	v_trunc_f32_e32 v3, v4
	v_cmp_eq_f32_e32 vcc, v3, v4
	v_mul_f32_e32 v3, 0.5, v4
	v_trunc_f32_e32 v8, v3
	v_cmp_neq_f32_e64 s[6:7], v8, v3
	s_and_b64 s[6:7], vcc, s[6:7]
	v_cndmask_b32_e64 v3, 1.0, v5, s[6:7]
	s_brev_b32 s13, -2
	v_mov_b32_e32 v7, 0x7fc00000
	v_bfi_b32 v2, s13, v2, v3
	v_cndmask_b32_e32 v3, v7, v2, vcc
	v_cmp_gt_f32_e32 vcc, 0, v5
	v_cndmask_b32_e32 v2, v2, v3, vcc
	v_cmp_class_f32_e64 s[14:15], v5, s10
	v_cmp_eq_f32_e32 vcc, 0, v5
	v_cmp_gt_f32_e64 s[10:11], 0, v4
	s_xor_b64 s[10:11], s[10:11], vcc
	v_cndmask_b32_e64 v3, v6, 0, s[10:11]
	v_cndmask_b32_e64 v4, 0, v5, s[6:7]
	v_bfi_b32 v3, s13, v3, v4
	s_or_b64 vcc, vcc, s[14:15]
	v_cndmask_b32_e32 v2, v2, v3, vcc
	v_cmp_o_f32_e32 vcc, v5, v5
	v_cndmask_b32_e32 v43, v7, v2, vcc
.LBB90_4:
	s_load_dwordx4 s[52:55], s[4:5], 0x70
	v_lshl_add_u32 v39, s8, 2, v1
	v_mul_hi_u32 v2, s24, v39
	s_ashr_i32 s29, s28, 31
	s_ashr_i32 s6, s17, 31
	s_waitcnt lgkmcnt(0)
	s_mul_i32 s7, s33, s54
	v_add_u32_e32 v2, v39, v2
	s_ashr_i32 s10, s7, 31
	v_lshrrev_b32_e32 v2, s25, v2
	s_add_u32 s7, s36, s7
	s_mul_i32 s11, s28, s53
	v_mul_lo_u32 v2, v2, s26
	s_addc_u32 s10, s37, s10
	s_ashr_i32 s13, s11, 31
	s_add_u32 s7, s7, s11
	s_addc_u32 s13, s10, s13
	s_ashr_i32 s53, s52, 31
	v_sub_u32_e32 v45, v39, v2
	s_lshr_b64 s[10:11], s[52:53], 2
	v_mad_u64_u32 v[2:3], s[10:11], s10, v45, 0
	s_lshr_b32 s10, s53, 2
	v_mov_b32_e32 v6, 0x4400
	v_mad_u64_u32 v[3:4], s[10:11], s10, v45, v[3:4]
	v_mov_b32_e32 v4, s13
	v_lshlrev_b32_e32 v40, 3, v38
	v_lshlrev_b64 v[2:3], 2, v[2:3]
	v_lshl_add_u32 v46, v1, 8, v6
	v_add_co_u32_e32 v2, vcc, s7, v2
	v_addc_co_u32_e32 v3, vcc, v4, v3, vcc
	v_lshlrev_b32_e32 v4, 4, v38
	v_add_co_u32_e32 v2, vcc, v2, v4
	v_addc_co_u32_e32 v3, vcc, 0, v3, vcc
	global_load_dwordx4 v[2:5], v[2:3], off
	v_mov_b32_e32 v36, 0
	v_add_u32_e32 v6, v46, v40
	s_cmp_eq_u64 s[46:47], 0
	s_waitcnt vmcnt(0)
	v_fma_mixlo_f16 v2, s12, v2, 0
	v_fma_mixlo_f16 v3, s12, v3, 0
	;; [unrolled: 1-line block ×4, first 2 shown]
	v_lshlrev_b32_e32 v3, 16, v3
	v_and_b32_e32 v2, 0xffff, v2
	v_lshlrev_b32_e32 v5, 16, v5
	v_and_b32_e32 v4, 0xffff, v4
	v_or_b32_e32 v2, v3, v2
	v_or3_b32 v3, v5, v4, 0
	v_or3_b32 v2, 0, 0, v2
	ds_write_b64 v6, v[2:3]
	s_waitcnt lgkmcnt(0)
	s_barrier
	s_cbranch_scc1 .LBB90_6
; %bb.5:
	s_load_dword s7, s[4:5], 0xd0
	s_mov_b32 s11, 0
	s_waitcnt lgkmcnt(0)
	s_mul_i32 s7, s7, s33
	s_add_i32 s10, s7, s8
	s_lshl_b64 s[10:11], s[10:11], 2
	s_add_u32 s10, s46, s10
	s_addc_u32 s11, s47, s11
	s_load_dword s16, s[10:11], 0x0
.LBB90_6:
	s_nop 0
	s_load_dwordx2 s[10:11], s[4:5], 0x8c
	s_load_dwordx4 s[12:15], s[4:5], 0x98
	s_ashr_i32 s7, s33, 31
	s_ashr_i32 s34, s19, 1
	s_load_dwordx2 s[22:23], s[4:5], 0xa8
	s_waitcnt lgkmcnt(0)
	s_ashr_i32 s17, s10, 2
	s_ashr_i32 s8, s14, 2
	s_mul_hi_u32 s10, s12, s33
	s_mul_i32 s14, s12, s7
	s_add_i32 s10, s10, s14
	s_mul_i32 s13, s13, s33
	s_add_i32 s10, s10, s13
	s_mul_i32 s12, s12, s33
	s_add_u32 s12, s38, s12
	s_mul_i32 s13, s18, s20
	s_addc_u32 s10, s39, s10
	s_sub_i32 s13, s21, s13
	s_xor_b32 s6, s29, s6
	s_add_i32 s14, s18, 1
	s_sub_i32 s19, s13, s20
	s_cmp_ge_u32 s13, s20
	s_cselect_b32 s14, s14, s18
	s_cselect_b32 s13, s19, s13
	s_add_i32 s18, s14, 1
	s_cmp_ge_u32 s13, s20
	s_cselect_b32 s13, s18, s14
	s_xor_b32 s13, s13, s6
	s_sub_i32 s6, s13, s6
	s_mul_i32 s11, s6, s11
	s_ashr_i32 s13, s11, 31
	s_add_u32 s19, s12, s11
	s_addc_u32 s18, s10, s13
	s_mul_hi_u32 s10, s22, s33
	s_mul_i32 s7, s22, s7
	s_add_i32 s7, s10, s7
	s_mul_i32 s10, s23, s33
	s_add_i32 s7, s7, s10
	s_mul_i32 s10, s22, s33
	s_add_u32 s10, s40, s10
	s_mul_i32 s6, s6, s15
	s_addc_u32 s7, s41, s7
	s_ashr_i32 s11, s6, 31
	s_add_u32 s38, s10, s6
	v_lshlrev_b32_e32 v113, 2, v38
	s_addc_u32 s39, s7, s11
	s_lshl_b32 s40, s9, 6
	s_sub_i32 s20, s16, 64
	s_cmp_ge_i32 s40, s20
	v_lshrrev_b32_e32 v48, 4, v38
	v_and_b32_e32 v47, 60, v113
	v_mbcnt_lo_u32_b32 v44, -1, 0
	s_cbranch_scc1 .LBB90_23
; %bb.7:
	v_lshl_add_u32 v21, v1, 1, v48
	v_mul_lo_u32 v4, s17, v21
	v_lshlrev_b32_e32 v22, 2, v47
	s_movk_i32 s6, 0x110
	v_mad_u32_u24 v49, v21, s6, v22
	s_lshl_b32 s6, s17, 3
	v_add_u32_e32 v6, s6, v4
	v_add_u32_e32 v8, s6, v6
	;; [unrolled: 1-line block ×5, first 2 shown]
	v_mul_lo_u32 v20, s8, v21
	v_add_u32_e32 v16, s6, v14
	v_add_u32_e32 v18, s6, v16
	s_cmp_lg_u64 s[30:31], 0
	v_mad_u64_u32 v[2:3], s[6:7], v45, s34, v[38:39]
	s_cselect_b64 s[10:11], -1, 0
	s_lshl_b32 s6, s8, 3
	v_lshl_or_b32 v60, v21, 8, v22
	v_add_u32_e32 v22, s6, v20
	v_add_u32_e32 v24, s6, v22
	;; [unrolled: 1-line block ×7, first 2 shown]
	v_ashrrev_i32_e32 v5, 31, v4
	v_ashrrev_i32_e32 v7, 31, v6
	;; [unrolled: 1-line block ×8, first 2 shown]
	v_mov_b32_e32 v3, 0x4800
	v_ashrrev_i32_e32 v21, 31, v20
	v_ashrrev_i32_e32 v23, 31, v22
	;; [unrolled: 1-line block ×8, first 2 shown]
	v_lshl_add_u32 v58, v1, 7, v3
	s_add_u32 s12, s4, 0xd0
	v_lshlrev_b64 v[3:4], 2, v[4:5]
	v_lshlrev_b64 v[6:7], 2, v[6:7]
	;; [unrolled: 1-line block ×16, first 2 shown]
	v_mov_b32_e32 v41, 0
	v_add_u32_e32 v50, 0x880, v49
	v_add_u32_e32 v51, 0x1100, v49
	;; [unrolled: 1-line block ×7, first 2 shown]
	v_mul_u32_u24_e32 v57, 0x110, v38
	v_lshl_add_u32 v59, v38, 1, v58
	v_add_u32_e32 v61, 0x800, v60
	v_add_u32_e32 v62, 0x1000, v60
	;; [unrolled: 1-line block ×7, first 2 shown]
	s_addc_u32 s13, s5, 0
	v_mov_b32_e32 v75, 0xfeffffff
	v_lshlrev_b32_e32 v68, 2, v47
	s_mov_b32 s21, 0x3f200000
	s_mov_b32 s22, 0x3fb8aa3b
	;; [unrolled: 1-line block ×4, first 2 shown]
	v_mov_b32_e32 v69, 0xbd5c1c4e
	v_mov_b32_e32 v70, 0x3e088382
	;; [unrolled: 1-line block ×3, first 2 shown]
	s_brev_b32 s25, -2
	s_mov_b32 s36, 0x10001
	v_mov_b32_e32 v72, 0x7f800000
	v_mbcnt_hi_u32_b32 v73, -1, v44
	v_mov_b32_e32 v42, 0
	v_mov_b32_e32 v74, 0
.LBB90_8:                               ; =>This Inner Loop Header: Depth=1
	s_mul_hi_i32 s7, s40, s17
	s_mul_i32 s6, s40, s17
	s_lshl_b64 s[6:7], s[6:7], 2
	s_add_u32 s6, s19, s6
	s_addc_u32 s7, s18, s7
	v_mov_b32_e32 v5, s7
	v_add_co_u32_e32 v36, vcc, s6, v3
	v_addc_co_u32_e32 v5, vcc, v5, v4, vcc
	v_add_co_u32_e32 v36, vcc, v36, v68
	v_addc_co_u32_e32 v37, vcc, 0, v5, vcc
	v_mov_b32_e32 v5, s7
	v_add_co_u32_e32 v76, vcc, s6, v6
	v_addc_co_u32_e32 v5, vcc, v5, v7, vcc
	v_add_co_u32_e32 v80, vcc, v76, v68
	v_addc_co_u32_e32 v81, vcc, 0, v5, vcc
	global_load_dwordx4 v[76:79], v[36:37], off
	s_nop 0
	global_load_dwordx4 v[80:83], v[80:81], off
	v_mov_b32_e32 v5, s7
	v_add_co_u32_e32 v36, vcc, s6, v8
	v_addc_co_u32_e32 v5, vcc, v5, v9, vcc
	v_add_co_u32_e32 v36, vcc, v36, v68
	v_addc_co_u32_e32 v37, vcc, 0, v5, vcc
	v_mov_b32_e32 v5, s7
	v_add_co_u32_e32 v84, vcc, s6, v10
	v_addc_co_u32_e32 v5, vcc, v5, v11, vcc
	v_add_co_u32_e32 v88, vcc, v84, v68
	v_addc_co_u32_e32 v89, vcc, 0, v5, vcc
	global_load_dwordx4 v[84:87], v[36:37], off
	s_nop 0
	global_load_dwordx4 v[88:91], v[88:89], off
	;; [unrolled: 13-line block ×4, first 2 shown]
	v_mov_b32_e32 v5, 0
	s_waitcnt vmcnt(7)
	ds_write_b128 v49, v[76:79]
	s_waitcnt vmcnt(6)
	ds_write_b128 v50, v[80:83]
	;; [unrolled: 2-line block ×8, first 2 shown]
	s_waitcnt lgkmcnt(0)
	s_barrier
	ds_read_b128 v[76:79], v57
	ds_read_b128 v[80:83], v46
	ds_read_b128 v[84:87], v57 offset:8704
	s_waitcnt lgkmcnt(1)
	;;#ASMSTART
	v_dot2_f32_f16 v5, v76, v80, v5
	;;#ASMEND
	;;#ASMSTART
	v_dot2_f32_f16 v5, v77, v81, v5
	;;#ASMEND
	;; [unrolled: 3-line block ×3, first 2 shown]
	v_mov_b32_e32 v76, 0
	;;#ASMSTART
	v_dot2_f32_f16 v5, v79, v83, v5
	;;#ASMEND
	s_waitcnt lgkmcnt(0)
	;;#ASMSTART
	v_dot2_f32_f16 v76, v84, v80, v76
	;;#ASMEND
	;;#ASMSTART
	v_dot2_f32_f16 v76, v85, v81, v76
	;;#ASMEND
	;;#ASMSTART
	v_dot2_f32_f16 v76, v86, v82, v76
	;;#ASMEND
	;;#ASMSTART
	v_dot2_f32_f16 v76, v87, v83, v76
	;;#ASMEND
	ds_read_b128 v[77:80], v57 offset:16
	ds_read_b128 v[81:84], v46 offset:16
	ds_read_b128 v[85:88], v57 offset:8720
	s_waitcnt lgkmcnt(1)
	;;#ASMSTART
	v_dot2_f32_f16 v5, v77, v81, v5
	;;#ASMEND
	;;#ASMSTART
	v_dot2_f32_f16 v5, v78, v82, v5
	;;#ASMEND
	;;#ASMSTART
	v_dot2_f32_f16 v5, v79, v83, v5
	;;#ASMEND
	;;#ASMSTART
	v_dot2_f32_f16 v5, v80, v84, v5
	;;#ASMEND
	s_waitcnt lgkmcnt(0)
	;;#ASMSTART
	v_dot2_f32_f16 v76, v85, v81, v76
	;;#ASMEND
	;;#ASMSTART
	v_dot2_f32_f16 v76, v86, v82, v76
	;;#ASMEND
	;;#ASMSTART
	v_dot2_f32_f16 v76, v87, v83, v76
	;;#ASMEND
	;;#ASMSTART
	v_dot2_f32_f16 v76, v88, v84, v76
	;;#ASMEND
	ds_read_b128 v[77:80], v57 offset:32
	ds_read_b128 v[81:84], v46 offset:32
	ds_read_b128 v[85:88], v57 offset:8736
	s_waitcnt lgkmcnt(1)
	;;#ASMSTART
	v_dot2_f32_f16 v5, v77, v81, v5
	;;#ASMEND
	;;#ASMSTART
	v_dot2_f32_f16 v5, v78, v82, v5
	;;#ASMEND
	;;#ASMSTART
	v_dot2_f32_f16 v5, v79, v83, v5
	;;#ASMEND
	;; [unrolled: 29-line block ×15, first 2 shown]
	;;#ASMSTART
	v_dot2_f32_f16 v5, v80, v84, v5
	;;#ASMEND
	s_waitcnt lgkmcnt(0)
	;;#ASMSTART
	v_dot2_f32_f16 v76, v85, v81, v76
	;;#ASMEND
	;;#ASMSTART
	v_dot2_f32_f16 v76, v86, v82, v76
	;;#ASMEND
	;; [unrolled: 3-line block ×3, first 2 shown]
	v_cmp_nlt_f32_e64 s[6:7], |v5|, s21
	;;#ASMSTART
	v_dot2_f32_f16 v76, v88, v84, v76
	;;#ASMEND
                                        ; implicit-def: $vgpr78
	s_and_saveexec_b64 s[14:15], s[6:7]
	s_xor_b64 s[6:7], exec, s[14:15]
	s_cbranch_execz .LBB90_10
; %bb.9:                                ;   in Loop: Header=BB90_8 Depth=1
	v_add_f32_e64 v36, |v5|, |v5|
	v_mul_f32_e32 v37, 0x3fb8aa3b, v36
	v_rndne_f32_e32 v77, v37
	v_sub_f32_e32 v78, v37, v77
	v_fma_f32 v37, v36, s22, -v37
	v_fmac_f32_e32 v37, 0x32a5705f, v36
	v_add_f32_e32 v37, v78, v37
	v_cvt_i32_f32_e32 v77, v77
	v_exp_f32_e32 v37, v37
	v_cmp_ngt_f32_e32 vcc, s23, v36
	v_ldexp_f32 v37, v37, v77
	v_cndmask_b32_e32 v37, 0, v37, vcc
	v_cmp_nlt_f32_e32 vcc, s24, v36
	v_cndmask_b32_e32 v36, v72, v37, vcc
	v_add_f32_e32 v36, 1.0, v36
	v_rcp_f32_e32 v36, v36
	v_fma_f32 v78, v36, -2.0, 1.0
.LBB90_10:                              ;   in Loop: Header=BB90_8 Depth=1
	s_andn2_saveexec_b64 s[6:7], s[6:7]
; %bb.11:                               ;   in Loop: Header=BB90_8 Depth=1
	v_mul_f32_e32 v36, v5, v5
	v_mov_b32_e32 v37, 0x3ca908c9
	v_fmac_f32_e32 v37, 0xbbbac73d, v36
	v_fma_f32 v37, v36, v37, v69
	v_fma_f32 v37, v36, v37, v70
	;; [unrolled: 1-line block ×3, first 2 shown]
	v_mul_f32_e64 v37, |v5|, v37
	v_fma_f32 v78, v36, v37, |v5|
; %bb.12:                               ;   in Loop: Header=BB90_8 Depth=1
	s_or_b64 exec, exec, s[6:7]
	v_add_u32_e32 v36, s40, v2
	v_cndmask_b32_e64 v37, 0, 1, s[10:11]
	v_cmp_ne_u32_e64 s[6:7], 1, v37
	s_andn2_b64 vcc, exec, s[10:11]
	v_ashrrev_i32_e32 v37, 31, v36
	s_cbranch_vccnz .LBB90_22
; %bb.13:                               ;   in Loop: Header=BB90_8 Depth=1
	v_lshlrev_b64 v[79:80], 1, v[36:37]
	v_mov_b32_e32 v77, s31
	v_add_co_u32_e32 v79, vcc, s30, v79
	v_addc_co_u32_e32 v80, vcc, v77, v80, vcc
	global_load_ushort v77, v[79:80], off
	s_waitcnt vmcnt(0)
	v_cvt_f32_f16_e32 v77, v77
	v_mul_f32_e32 v77, v43, v77
	v_cmp_nlt_f32_e64 s[14:15], |v76|, s21
                                        ; implicit-def: $vgpr79
	s_and_saveexec_b64 s[42:43], s[14:15]
	s_xor_b64 s[14:15], exec, s[42:43]
	s_cbranch_execz .LBB90_15
.LBB90_14:                              ;   in Loop: Header=BB90_8 Depth=1
	v_add_f32_e64 v79, |v76|, |v76|
	v_mul_f32_e32 v80, 0x3fb8aa3b, v79
	v_rndne_f32_e32 v81, v80
	v_sub_f32_e32 v82, v80, v81
	v_fma_f32 v80, v79, s22, -v80
	v_fmac_f32_e32 v80, 0x32a5705f, v79
	v_add_f32_e32 v80, v82, v80
	v_cvt_i32_f32_e32 v81, v81
	v_exp_f32_e32 v80, v80
	v_cmp_ngt_f32_e32 vcc, s23, v79
	v_ldexp_f32 v80, v80, v81
	v_cndmask_b32_e32 v80, 0, v80, vcc
	v_cmp_nlt_f32_e32 vcc, s24, v79
	v_cndmask_b32_e32 v79, v72, v80, vcc
	v_add_f32_e32 v79, 1.0, v79
	v_rcp_f32_e32 v79, v79
	v_fma_f32 v79, v79, -2.0, 1.0
.LBB90_15:                              ;   in Loop: Header=BB90_8 Depth=1
	s_andn2_saveexec_b64 s[14:15], s[14:15]
	s_cbranch_execz .LBB90_18
; %bb.16:                               ;   in Loop: Header=BB90_8 Depth=1
	v_mul_f32_e32 v79, v76, v76
	v_mov_b32_e32 v80, 0x3ca908c9
	v_fmac_f32_e32 v80, 0xbbbac73d, v79
	v_fma_f32 v80, v79, v80, v69
	v_fma_f32 v80, v79, v80, v70
	;; [unrolled: 1-line block ×3, first 2 shown]
	v_mul_f32_e64 v80, |v76|, v80
	v_fma_f32 v79, v79, v80, |v76|
	s_or_b64 exec, exec, s[14:15]
	s_and_b64 vcc, exec, s[6:7]
	s_cbranch_vccz .LBB90_19
.LBB90_17:                              ;   in Loop: Header=BB90_8 Depth=1
	v_mov_b32_e32 v36, 0
	s_branch .LBB90_20
.LBB90_18:                              ;   in Loop: Header=BB90_8 Depth=1
	s_or_b64 exec, exec, s[14:15]
	s_and_b64 vcc, exec, s[6:7]
	s_cbranch_vccnz .LBB90_17
.LBB90_19:                              ;   in Loop: Header=BB90_8 Depth=1
	v_lshlrev_b64 v[36:37], 1, v[36:37]
	v_mov_b32_e32 v80, s31
	v_add_co_u32_e32 v36, vcc, s30, v36
	v_addc_co_u32_e32 v37, vcc, v80, v37, vcc
	global_load_ushort v36, v[36:37], off offset:64
	s_waitcnt vmcnt(0)
	v_cvt_f32_f16_e32 v36, v36
	v_mul_f32_e32 v36, v43, v36
.LBB90_20:                              ;   in Loop: Header=BB90_8 Depth=1
	v_bfi_b32 v37, s25, v79, v76
	v_and_b32_e32 v76, 0x60, v73
	v_bfi_b32 v5, s25, v78, v5
	v_add_u32_e32 v76, 32, v76
	v_xor_b32_e32 v78, 16, v73
	v_fmac_f32_e32 v77, s35, v5
	v_cmp_lt_i32_e32 vcc, v78, v76
	v_fmac_f32_e32 v36, s35, v37
	v_add_f32_e32 v5, 0x40051340, v77
	v_cndmask_b32_e32 v78, v73, v78, vcc
	v_add_f32_e32 v37, 0x40051340, v36
	v_max3_f32 v5, v75, v5, v37
	v_lshlrev_b32_e32 v37, 2, v78
	ds_bpermute_b32 v37, v37, v5
	v_xor_b32_e32 v78, 8, v73
	v_cmp_lt_i32_e32 vcc, v78, v76
	v_cndmask_b32_e32 v78, v73, v78, vcc
	v_lshlrev_b32_e32 v78, 2, v78
	s_waitcnt lgkmcnt(0)
	v_max_f32_e32 v37, v37, v37
	v_max_f32_e32 v5, v5, v37
	ds_bpermute_b32 v37, v78, v5
	v_xor_b32_e32 v78, 4, v73
	s_mul_hi_i32 s7, s40, s8
	s_mul_i32 s6, s40, s8
	v_cmp_lt_i32_e32 vcc, v78, v76
	s_lshl_b64 s[6:7], s[6:7], 2
	v_cndmask_b32_e32 v78, v73, v78, vcc
	s_waitcnt lgkmcnt(0)
	v_max_f32_e32 v37, v37, v37
	s_add_u32 s6, s38, s6
	v_lshlrev_b32_e32 v78, 2, v78
	v_max_f32_e32 v5, v5, v37
	s_addc_u32 s7, s39, s7
	ds_bpermute_b32 v37, v78, v5
	v_mov_b32_e32 v78, s7
	v_add_co_u32_e32 v79, vcc, s6, v20
	v_addc_co_u32_e32 v80, vcc, v78, v21, vcc
	v_add_co_u32_e32 v78, vcc, v79, v68
	v_addc_co_u32_e32 v79, vcc, 0, v80, vcc
	v_mov_b32_e32 v80, s7
	v_add_co_u32_e32 v81, vcc, s6, v22
	v_addc_co_u32_e32 v80, vcc, v80, v23, vcc
	v_add_co_u32_e32 v82, vcc, v81, v68
	v_addc_co_u32_e32 v83, vcc, 0, v80, vcc
	;; [unrolled: 5-line block ×8, first 2 shown]
	s_waitcnt lgkmcnt(0)
	s_barrier
	global_load_dwordx4 v[78:81], v[78:79], off
	s_nop 0
	global_load_dwordx4 v[82:85], v[82:83], off
	s_nop 0
	;; [unrolled: 2-line block ×7, first 2 shown]
	global_load_dwordx4 v[106:109], v[106:107], off
	v_xor_b32_e32 v110, 2, v73
	v_cmp_lt_i32_e32 vcc, v110, v76
	v_cndmask_b32_e32 v110, v73, v110, vcc
	v_max_f32_e32 v37, v37, v37
	v_lshlrev_b32_e32 v110, 2, v110
	v_max_f32_e32 v5, v5, v37
	ds_bpermute_b32 v37, v110, v5
	v_xor_b32_e32 v110, 1, v73
	v_cmp_lt_i32_e32 vcc, v110, v76
	v_cndmask_b32_e32 v76, v73, v110, vcc
	v_lshlrev_b32_e32 v76, 2, v76
	s_waitcnt lgkmcnt(0)
	v_max_f32_e32 v37, v37, v37
	v_max_f32_e32 v5, v5, v37
	ds_bpermute_b32 v37, v76, v5
	s_waitcnt lgkmcnt(0)
	v_max_f32_e32 v37, v37, v37
	v_max_f32_e32 v5, v5, v37
	v_sub_f32_e32 v37, v77, v5
	v_mul_f32_e32 v76, 0x3fb8aa3b, v37
	v_fma_f32 v77, v37, s22, -v76
	v_rndne_f32_e32 v110, v76
	v_fmac_f32_e32 v77, 0x32a5705f, v37
	v_sub_f32_e32 v76, v76, v110
	v_add_f32_e32 v76, v76, v77
	v_exp_f32_e32 v76, v76
	v_cvt_i32_f32_e32 v77, v110
	v_sub_f32_e32 v36, v36, v5
	v_sub_f32_e32 v75, v75, v5
	v_cmp_ngt_f32_e32 vcc, s23, v37
	v_ldexp_f32 v76, v76, v77
	v_mul_f32_e32 v77, 0x3fb8aa3b, v36
	v_fma_f32 v110, v36, s22, -v77
	v_rndne_f32_e32 v111, v77
	v_fmac_f32_e32 v110, 0x32a5705f, v36
	v_sub_f32_e32 v77, v77, v111
	v_add_f32_e32 v77, v77, v110
	v_exp_f32_e32 v77, v77
	v_cvt_i32_f32_e32 v110, v111
	v_cndmask_b32_e32 v76, 0, v76, vcc
	v_cmp_nlt_f32_e32 vcc, s24, v37
	v_cndmask_b32_e32 v37, v72, v76, vcc
	v_ldexp_f32 v77, v77, v110
	v_mul_f32_e32 v110, 0x3fb8aa3b, v75
	v_fma_f32 v111, v75, s22, -v110
	v_rndne_f32_e32 v112, v110
	v_fmac_f32_e32 v111, 0x32a5705f, v75
	v_sub_f32_e32 v110, v110, v112
	v_add_f32_e32 v110, v110, v111
	v_exp_f32_e32 v110, v110
	v_cvt_i32_f32_e32 v111, v112
	v_cmp_ngt_f32_e32 vcc, s23, v36
	v_cndmask_b32_e32 v77, 0, v77, vcc
	v_cmp_nlt_f32_e32 vcc, s24, v36
	v_cndmask_b32_e32 v77, v72, v77, vcc
	v_ldexp_f32 v36, v110, v111
	v_cmp_ngt_f32_e32 vcc, s23, v75
	v_cvt_f16_f32_e32 v76, v37
	v_cndmask_b32_e32 v36, 0, v36, vcc
	v_cmp_nlt_f32_e32 vcc, s24, v75
	v_cndmask_b32_e32 v75, v72, v36, vcc
	v_add_f32_e32 v36, v37, v77
	v_cvt_f16_f32_e32 v37, v77
	v_cvt_f16_f32_e32 v110, v75
	v_fmac_f32_e32 v36, v74, v75
	ds_write_b16 v59, v76
	ds_write_b16 v59, v37 offset:64
	s_waitcnt vmcnt(7)
	ds_write_b128 v60, v[78:81]
	s_waitcnt vmcnt(6)
	ds_write_b128 v61, v[82:85]
	;; [unrolled: 2-line block ×8, first 2 shown]
	s_waitcnt lgkmcnt(0)
	s_barrier
	ds_read_b128 v[74:77], v58
	ds_read2_b64 v[78:81], v40 offset1:32
	ds_read_b128 v[82:85], v58 offset:16
	ds_read_b128 v[86:89], v58 offset:32
	;; [unrolled: 1-line block ×3, first 2 shown]
	ds_read2_b64 v[94:97], v40 offset0:64 offset1:96
	s_waitcnt lgkmcnt(5)
	v_mul_u32_u24_sdwa v37, v74, s36 dst_sel:DWORD dst_unused:UNUSED_PAD src0_sel:WORD_0 src1_sel:DWORD
	v_mul_u32_u24_e32 v110, 0x10001, v110
	s_waitcnt lgkmcnt(4)
	v_pk_mul_f16 v78, v78, v37
	v_pk_mul_f16 v37, v79, v37
	v_pk_fma_f16 v41, v41, v110, v78
	v_pk_fma_f16 v37, v42, v110, v37
	v_mul_u32_u24_sdwa v42, v74, s36 dst_sel:DWORD dst_unused:UNUSED_PAD src0_sel:WORD_1 src1_sel:DWORD
	v_pk_fma_f16 v41, v80, v42, v41
	v_pk_fma_f16 v37, v81, v42, v37
	v_mul_u32_u24_sdwa v42, v75, s36 dst_sel:DWORD dst_unused:UNUSED_PAD src0_sel:WORD_0 src1_sel:DWORD
	ds_read2_b64 v[78:81], v40 offset0:128 offset1:160
	s_waitcnt lgkmcnt(1)
	v_pk_fma_f16 v41, v94, v42, v41
	v_pk_fma_f16 v37, v95, v42, v37
	v_mul_u32_u24_sdwa v42, v75, s36 dst_sel:DWORD dst_unused:UNUSED_PAD src0_sel:WORD_1 src1_sel:DWORD
	v_pk_fma_f16 v41, v96, v42, v41
	v_pk_fma_f16 v37, v97, v42, v37
	ds_read2_b64 v[94:97], v40 offset0:192 offset1:224
	v_mul_u32_u24_sdwa v42, v76, s36 dst_sel:DWORD dst_unused:UNUSED_PAD src0_sel:WORD_0 src1_sel:DWORD
	s_waitcnt lgkmcnt(1)
	v_pk_fma_f16 v41, v78, v42, v41
	v_pk_fma_f16 v37, v79, v42, v37
	v_mul_u32_u24_sdwa v42, v76, s36 dst_sel:DWORD dst_unused:UNUSED_PAD src0_sel:WORD_1 src1_sel:DWORD
	v_pk_fma_f16 v41, v80, v42, v41
	v_pk_fma_f16 v37, v81, v42, v37
	v_mul_u32_u24_sdwa v42, v77, s36 dst_sel:DWORD dst_unused:UNUSED_PAD src0_sel:WORD_0 src1_sel:DWORD
	s_waitcnt lgkmcnt(0)
	v_pk_fma_f16 v41, v94, v42, v41
	v_pk_fma_f16 v37, v95, v42, v37
	v_add_u32_e32 v42, 0x800, v40
	ds_read2_b64 v[78:81], v42 offset1:32
	v_mul_u32_u24_sdwa v74, v77, s36 dst_sel:DWORD dst_unused:UNUSED_PAD src0_sel:WORD_1 src1_sel:DWORD
	v_pk_fma_f16 v41, v96, v74, v41
	v_pk_fma_f16 v37, v97, v74, v37
	v_mul_u32_u24_sdwa v74, v82, s36 dst_sel:DWORD dst_unused:UNUSED_PAD src0_sel:WORD_0 src1_sel:DWORD
	s_waitcnt lgkmcnt(0)
	v_pk_fma_f16 v41, v78, v74, v41
	v_pk_fma_f16 v37, v79, v74, v37
	ds_read2_b64 v[74:77], v42 offset0:64 offset1:96
	v_mul_u32_u24_sdwa v78, v82, s36 dst_sel:DWORD dst_unused:UNUSED_PAD src0_sel:WORD_1 src1_sel:DWORD
	v_pk_fma_f16 v41, v80, v78, v41
	v_pk_fma_f16 v37, v81, v78, v37
	v_mul_u32_u24_sdwa v78, v83, s36 dst_sel:DWORD dst_unused:UNUSED_PAD src0_sel:WORD_0 src1_sel:DWORD
	s_waitcnt lgkmcnt(0)
	v_pk_fma_f16 v41, v74, v78, v41
	v_pk_fma_f16 v37, v75, v78, v37
	ds_read2_b64 v[78:81], v42 offset0:128 offset1:160
	v_mul_u32_u24_sdwa v74, v83, s36 dst_sel:DWORD dst_unused:UNUSED_PAD src0_sel:WORD_1 src1_sel:DWORD
	v_pk_fma_f16 v41, v76, v74, v41
	v_pk_fma_f16 v37, v77, v74, v37
	v_mul_u32_u24_sdwa v74, v84, s36 dst_sel:DWORD dst_unused:UNUSED_PAD src0_sel:WORD_0 src1_sel:DWORD
	s_waitcnt lgkmcnt(0)
	v_pk_fma_f16 v41, v78, v74, v41
	v_pk_fma_f16 v37, v79, v74, v37
	ds_read2_b64 v[74:77], v42 offset0:192 offset1:224
	v_mul_u32_u24_sdwa v42, v84, s36 dst_sel:DWORD dst_unused:UNUSED_PAD src0_sel:WORD_1 src1_sel:DWORD
	v_pk_fma_f16 v41, v80, v42, v41
	v_pk_fma_f16 v37, v81, v42, v37
	v_mul_u32_u24_sdwa v42, v85, s36 dst_sel:DWORD dst_unused:UNUSED_PAD src0_sel:WORD_0 src1_sel:DWORD
	s_waitcnt lgkmcnt(0)
	v_pk_fma_f16 v41, v74, v42, v41
	v_pk_fma_f16 v37, v75, v42, v37
	v_add_u32_e32 v42, 0x1000, v40
	ds_read2_b64 v[78:81], v42 offset1:32
	v_mul_u32_u24_sdwa v74, v85, s36 dst_sel:DWORD dst_unused:UNUSED_PAD src0_sel:WORD_1 src1_sel:DWORD
	v_pk_fma_f16 v41, v76, v74, v41
	v_pk_fma_f16 v37, v77, v74, v37
	v_mul_u32_u24_sdwa v74, v86, s36 dst_sel:DWORD dst_unused:UNUSED_PAD src0_sel:WORD_0 src1_sel:DWORD
	s_waitcnt lgkmcnt(0)
	v_pk_fma_f16 v41, v78, v74, v41
	v_pk_fma_f16 v37, v79, v74, v37
	ds_read2_b64 v[74:77], v42 offset0:64 offset1:96
	v_mul_u32_u24_sdwa v78, v86, s36 dst_sel:DWORD dst_unused:UNUSED_PAD src0_sel:WORD_1 src1_sel:DWORD
	v_pk_fma_f16 v41, v80, v78, v41
	v_pk_fma_f16 v37, v81, v78, v37
	v_mul_u32_u24_sdwa v78, v87, s36 dst_sel:DWORD dst_unused:UNUSED_PAD src0_sel:WORD_0 src1_sel:DWORD
	s_waitcnt lgkmcnt(0)
	v_pk_fma_f16 v41, v74, v78, v41
	v_pk_fma_f16 v37, v75, v78, v37
	ds_read2_b64 v[78:81], v42 offset0:128 offset1:160
	v_mul_u32_u24_sdwa v74, v87, s36 dst_sel:DWORD dst_unused:UNUSED_PAD src0_sel:WORD_1 src1_sel:DWORD
	v_pk_fma_f16 v41, v76, v74, v41
	v_pk_fma_f16 v37, v77, v74, v37
	v_mul_u32_u24_sdwa v74, v88, s36 dst_sel:DWORD dst_unused:UNUSED_PAD src0_sel:WORD_0 src1_sel:DWORD
	s_waitcnt lgkmcnt(0)
	v_pk_fma_f16 v41, v78, v74, v41
	v_pk_fma_f16 v37, v79, v74, v37
	ds_read2_b64 v[74:77], v42 offset0:192 offset1:224
	v_mul_u32_u24_sdwa v42, v88, s36 dst_sel:DWORD dst_unused:UNUSED_PAD src0_sel:WORD_1 src1_sel:DWORD
	v_pk_fma_f16 v41, v80, v42, v41
	v_pk_fma_f16 v37, v81, v42, v37
	v_mul_u32_u24_sdwa v42, v89, s36 dst_sel:DWORD dst_unused:UNUSED_PAD src0_sel:WORD_0 src1_sel:DWORD
	s_waitcnt lgkmcnt(0)
	v_pk_fma_f16 v41, v74, v42, v41
	v_pk_fma_f16 v37, v75, v42, v37
	v_add_u32_e32 v42, 0x1800, v40
	ds_read2_b64 v[78:81], v42 offset1:32
	v_mul_u32_u24_sdwa v74, v89, s36 dst_sel:DWORD dst_unused:UNUSED_PAD src0_sel:WORD_1 src1_sel:DWORD
	v_pk_fma_f16 v41, v76, v74, v41
	v_pk_fma_f16 v37, v77, v74, v37
	v_mul_u32_u24_sdwa v74, v90, s36 dst_sel:DWORD dst_unused:UNUSED_PAD src0_sel:WORD_0 src1_sel:DWORD
	s_waitcnt lgkmcnt(0)
	v_pk_fma_f16 v41, v78, v74, v41
	v_pk_fma_f16 v37, v79, v74, v37
	ds_read2_b64 v[74:77], v42 offset0:64 offset1:96
	v_mul_u32_u24_sdwa v78, v90, s36 dst_sel:DWORD dst_unused:UNUSED_PAD src0_sel:WORD_1 src1_sel:DWORD
	v_pk_fma_f16 v41, v80, v78, v41
	v_pk_fma_f16 v37, v81, v78, v37
	v_mul_u32_u24_sdwa v78, v91, s36 dst_sel:DWORD dst_unused:UNUSED_PAD src0_sel:WORD_0 src1_sel:DWORD
	s_waitcnt lgkmcnt(0)
	v_pk_fma_f16 v41, v74, v78, v41
	v_pk_fma_f16 v37, v75, v78, v37
	ds_read2_b64 v[78:81], v42 offset0:128 offset1:160
	v_mul_u32_u24_sdwa v74, v91, s36 dst_sel:DWORD dst_unused:UNUSED_PAD src0_sel:WORD_1 src1_sel:DWORD
	v_pk_fma_f16 v41, v76, v74, v41
	v_pk_fma_f16 v37, v77, v74, v37
	v_mul_u32_u24_sdwa v74, v92, s36 dst_sel:DWORD dst_unused:UNUSED_PAD src0_sel:WORD_0 src1_sel:DWORD
	s_waitcnt lgkmcnt(0)
	v_pk_fma_f16 v41, v78, v74, v41
	v_pk_fma_f16 v37, v79, v74, v37
	ds_read2_b64 v[74:77], v42 offset0:192 offset1:224
	v_mul_u32_u24_sdwa v42, v92, s36 dst_sel:DWORD dst_unused:UNUSED_PAD src0_sel:WORD_1 src1_sel:DWORD
	v_pk_fma_f16 v41, v80, v42, v41
	v_pk_fma_f16 v37, v81, v42, v37
	v_add_u32_e32 v90, 0x2000, v40
	ds_read_b128 v[78:81], v58 offset:64
	ds_read2_b64 v[82:85], v90 offset1:32
	v_mul_u32_u24_sdwa v42, v93, s36 dst_sel:DWORD dst_unused:UNUSED_PAD src0_sel:WORD_0 src1_sel:DWORD
	ds_read2_b64 v[86:89], v90 offset0:64 offset1:96
	s_waitcnt lgkmcnt(3)
	v_pk_fma_f16 v41, v74, v42, v41
	v_pk_fma_f16 v37, v75, v42, v37
	v_mul_u32_u24_sdwa v42, v93, s36 dst_sel:DWORD dst_unused:UNUSED_PAD src0_sel:WORD_1 src1_sel:DWORD
	v_pk_fma_f16 v41, v76, v42, v41
	v_pk_fma_f16 v37, v77, v42, v37
	s_waitcnt lgkmcnt(2)
	v_mul_u32_u24_sdwa v42, v78, s36 dst_sel:DWORD dst_unused:UNUSED_PAD src0_sel:WORD_0 src1_sel:DWORD
	s_waitcnt lgkmcnt(1)
	v_pk_fma_f16 v41, v82, v42, v41
	v_pk_fma_f16 v37, v83, v42, v37
	v_mul_u32_u24_sdwa v42, v78, s36 dst_sel:DWORD dst_unused:UNUSED_PAD src0_sel:WORD_1 src1_sel:DWORD
	v_pk_fma_f16 v41, v84, v42, v41
	v_pk_fma_f16 v37, v85, v42, v37
	v_mul_u32_u24_sdwa v42, v79, s36 dst_sel:DWORD dst_unused:UNUSED_PAD src0_sel:WORD_0 src1_sel:DWORD
	ds_read2_b64 v[82:85], v90 offset0:128 offset1:160
	s_waitcnt lgkmcnt(1)
	v_pk_fma_f16 v41, v86, v42, v41
	v_pk_fma_f16 v37, v87, v42, v37
	v_mul_u32_u24_sdwa v42, v79, s36 dst_sel:DWORD dst_unused:UNUSED_PAD src0_sel:WORD_1 src1_sel:DWORD
	v_pk_fma_f16 v41, v88, v42, v41
	v_pk_fma_f16 v37, v89, v42, v37
	ds_read2_b64 v[86:89], v90 offset0:192 offset1:224
	v_mul_u32_u24_sdwa v42, v80, s36 dst_sel:DWORD dst_unused:UNUSED_PAD src0_sel:WORD_0 src1_sel:DWORD
	s_waitcnt lgkmcnt(1)
	v_pk_fma_f16 v41, v82, v42, v41
	v_pk_fma_f16 v37, v83, v42, v37
	v_mul_u32_u24_sdwa v42, v80, s36 dst_sel:DWORD dst_unused:UNUSED_PAD src0_sel:WORD_1 src1_sel:DWORD
	v_pk_fma_f16 v41, v84, v42, v41
	v_pk_fma_f16 v37, v85, v42, v37
	v_mul_u32_u24_sdwa v42, v81, s36 dst_sel:DWORD dst_unused:UNUSED_PAD src0_sel:WORD_0 src1_sel:DWORD
	ds_read_b128 v[74:77], v58 offset:80
	s_waitcnt lgkmcnt(1)
	v_pk_fma_f16 v41, v86, v42, v41
	v_pk_fma_f16 v37, v87, v42, v37
	v_add_u32_e32 v42, 0x2800, v40
	ds_read2_b64 v[82:85], v42 offset1:32
	v_mul_u32_u24_sdwa v78, v81, s36 dst_sel:DWORD dst_unused:UNUSED_PAD src0_sel:WORD_1 src1_sel:DWORD
	v_pk_fma_f16 v41, v88, v78, v41
	v_pk_fma_f16 v37, v89, v78, v37
	s_waitcnt lgkmcnt(1)
	v_mul_u32_u24_sdwa v78, v74, s36 dst_sel:DWORD dst_unused:UNUSED_PAD src0_sel:WORD_0 src1_sel:DWORD
	s_waitcnt lgkmcnt(0)
	v_pk_fma_f16 v41, v82, v78, v41
	v_pk_fma_f16 v37, v83, v78, v37
	ds_read2_b64 v[78:81], v42 offset0:64 offset1:96
	v_mul_u32_u24_sdwa v74, v74, s36 dst_sel:DWORD dst_unused:UNUSED_PAD src0_sel:WORD_1 src1_sel:DWORD
	v_pk_fma_f16 v41, v84, v74, v41
	v_pk_fma_f16 v37, v85, v74, v37
	v_mul_u32_u24_sdwa v74, v75, s36 dst_sel:DWORD dst_unused:UNUSED_PAD src0_sel:WORD_0 src1_sel:DWORD
	ds_read2_b64 v[82:85], v42 offset0:128 offset1:160
	s_waitcnt lgkmcnt(1)
	v_pk_fma_f16 v41, v78, v74, v41
	v_pk_fma_f16 v37, v79, v74, v37
	v_mul_u32_u24_sdwa v74, v75, s36 dst_sel:DWORD dst_unused:UNUSED_PAD src0_sel:WORD_1 src1_sel:DWORD
	v_pk_fma_f16 v41, v80, v74, v41
	v_pk_fma_f16 v37, v81, v74, v37
	ds_read2_b64 v[78:81], v42 offset0:192 offset1:224
	v_mul_u32_u24_sdwa v74, v76, s36 dst_sel:DWORD dst_unused:UNUSED_PAD src0_sel:WORD_0 src1_sel:DWORD
	s_waitcnt lgkmcnt(1)
	v_pk_fma_f16 v41, v82, v74, v41
	v_pk_fma_f16 v37, v83, v74, v37
	v_mul_u32_u24_sdwa v42, v76, s36 dst_sel:DWORD dst_unused:UNUSED_PAD src0_sel:WORD_1 src1_sel:DWORD
	v_pk_fma_f16 v41, v84, v42, v41
	v_pk_fma_f16 v37, v85, v42, v37
	v_mul_u32_u24_sdwa v42, v77, s36 dst_sel:DWORD dst_unused:UNUSED_PAD src0_sel:WORD_0 src1_sel:DWORD
	s_waitcnt lgkmcnt(0)
	v_pk_fma_f16 v41, v78, v42, v41
	v_pk_fma_f16 v37, v79, v42, v37
	v_mul_u32_u24_sdwa v42, v77, s36 dst_sel:DWORD dst_unused:UNUSED_PAD src0_sel:WORD_1 src1_sel:DWORD
	v_add_u32_e32 v90, 0x3000, v40
	ds_read_b128 v[74:77], v58 offset:96
	ds_read2_b64 v[82:85], v90 offset1:32
	ds_read2_b64 v[86:89], v90 offset0:64 offset1:96
	v_pk_fma_f16 v41, v80, v42, v41
	v_pk_fma_f16 v37, v81, v42, v37
	s_waitcnt lgkmcnt(2)
	v_mul_u32_u24_sdwa v42, v74, s36 dst_sel:DWORD dst_unused:UNUSED_PAD src0_sel:WORD_0 src1_sel:DWORD
	s_waitcnt lgkmcnt(1)
	v_pk_fma_f16 v41, v82, v42, v41
	v_pk_fma_f16 v37, v83, v42, v37
	v_mul_u32_u24_sdwa v42, v74, s36 dst_sel:DWORD dst_unused:UNUSED_PAD src0_sel:WORD_1 src1_sel:DWORD
	v_pk_fma_f16 v41, v84, v42, v41
	v_pk_fma_f16 v37, v85, v42, v37
	v_mul_u32_u24_sdwa v42, v75, s36 dst_sel:DWORD dst_unused:UNUSED_PAD src0_sel:WORD_0 src1_sel:DWORD
	ds_read2_b64 v[82:85], v90 offset0:128 offset1:160
	s_waitcnt lgkmcnt(1)
	v_pk_fma_f16 v41, v86, v42, v41
	v_pk_fma_f16 v37, v87, v42, v37
	v_mul_u32_u24_sdwa v42, v75, s36 dst_sel:DWORD dst_unused:UNUSED_PAD src0_sel:WORD_1 src1_sel:DWORD
	v_pk_fma_f16 v41, v88, v42, v41
	v_pk_fma_f16 v37, v89, v42, v37
	ds_read2_b64 v[86:89], v90 offset0:192 offset1:224
	v_mul_u32_u24_sdwa v42, v76, s36 dst_sel:DWORD dst_unused:UNUSED_PAD src0_sel:WORD_0 src1_sel:DWORD
	s_waitcnt lgkmcnt(1)
	v_pk_fma_f16 v41, v82, v42, v41
	v_pk_fma_f16 v37, v83, v42, v37
	v_mul_u32_u24_sdwa v42, v76, s36 dst_sel:DWORD dst_unused:UNUSED_PAD src0_sel:WORD_1 src1_sel:DWORD
	v_pk_fma_f16 v41, v84, v42, v41
	v_pk_fma_f16 v37, v85, v42, v37
	v_mul_u32_u24_sdwa v42, v77, s36 dst_sel:DWORD dst_unused:UNUSED_PAD src0_sel:WORD_0 src1_sel:DWORD
	ds_read_b128 v[78:81], v58 offset:112
	s_waitcnt lgkmcnt(1)
	v_pk_fma_f16 v41, v86, v42, v41
	v_pk_fma_f16 v37, v87, v42, v37
	v_add_u32_e32 v42, 0x3800, v40
	ds_read2_b64 v[82:85], v42 offset1:32
	v_mul_u32_u24_sdwa v74, v77, s36 dst_sel:DWORD dst_unused:UNUSED_PAD src0_sel:WORD_1 src1_sel:DWORD
	v_pk_fma_f16 v41, v88, v74, v41
	v_pk_fma_f16 v37, v89, v74, v37
	s_waitcnt lgkmcnt(1)
	v_mul_u32_u24_sdwa v74, v78, s36 dst_sel:DWORD dst_unused:UNUSED_PAD src0_sel:WORD_0 src1_sel:DWORD
	s_waitcnt lgkmcnt(0)
	v_pk_fma_f16 v41, v82, v74, v41
	v_pk_fma_f16 v37, v83, v74, v37
	ds_read2_b64 v[74:77], v42 offset0:64 offset1:96
	v_mul_u32_u24_sdwa v78, v78, s36 dst_sel:DWORD dst_unused:UNUSED_PAD src0_sel:WORD_1 src1_sel:DWORD
	v_pk_fma_f16 v41, v84, v78, v41
	v_pk_fma_f16 v37, v85, v78, v37
	ds_read2_b64 v[82:85], v42 offset0:128 offset1:160
	v_mul_u32_u24_sdwa v78, v79, s36 dst_sel:DWORD dst_unused:UNUSED_PAD src0_sel:WORD_0 src1_sel:DWORD
	s_waitcnt lgkmcnt(1)
	v_pk_fma_f16 v41, v74, v78, v41
	v_pk_fma_f16 v37, v75, v78, v37
	v_mul_u32_u24_sdwa v74, v79, s36 dst_sel:DWORD dst_unused:UNUSED_PAD src0_sel:WORD_1 src1_sel:DWORD
	v_pk_fma_f16 v41, v76, v74, v41
	v_pk_fma_f16 v37, v77, v74, v37
	v_mul_u32_u24_sdwa v74, v80, s36 dst_sel:DWORD dst_unused:UNUSED_PAD src0_sel:WORD_0 src1_sel:DWORD
	s_waitcnt lgkmcnt(0)
	v_pk_fma_f16 v41, v82, v74, v41
	v_pk_fma_f16 v37, v83, v74, v37
	v_mul_u32_u24_sdwa v74, v80, s36 dst_sel:DWORD dst_unused:UNUSED_PAD src0_sel:WORD_1 src1_sel:DWORD
	v_pk_fma_f16 v41, v84, v74, v41
	v_pk_fma_f16 v37, v85, v74, v37
	ds_read2_b64 v[74:77], v42 offset0:192 offset1:224
	s_waitcnt lgkmcnt(0)
	s_barrier
	s_load_dword s6, s[12:13], 0x4
	v_mul_u32_u24_sdwa v42, v81, s36 dst_sel:DWORD dst_unused:UNUSED_PAD src0_sel:WORD_0 src1_sel:DWORD
	v_pk_fma_f16 v41, v74, v42, v41
	v_pk_fma_f16 v37, v75, v42, v37
	v_mul_u32_u24_sdwa v42, v81, s36 dst_sel:DWORD dst_unused:UNUSED_PAD src0_sel:WORD_1 src1_sel:DWORD
	s_waitcnt lgkmcnt(0)
	s_lshl_b32 s6, s6, 6
	s_add_i32 s40, s6, s40
	v_pk_fma_f16 v41, v76, v42, v41
	s_cmp_lt_i32 s40, s20
	v_pk_fma_f16 v42, v77, v42, v37
	s_cbranch_scc0 .LBB90_24
; %bb.21:                               ;   in Loop: Header=BB90_8 Depth=1
	v_mov_b32_e32 v75, v5
	v_mov_b32_e32 v74, v36
	s_branch .LBB90_8
.LBB90_22:                              ;   in Loop: Header=BB90_8 Depth=1
	v_mov_b32_e32 v77, 0
	v_cmp_nlt_f32_e64 s[14:15], |v76|, s21
                                        ; implicit-def: $vgpr79
	s_and_saveexec_b64 s[42:43], s[14:15]
	s_xor_b64 s[14:15], exec, s[42:43]
	s_cbranch_execz .LBB90_15
	s_branch .LBB90_14
.LBB90_23:
	v_mov_b32_e32 v42, 0
	v_mov_b32_e32 v5, 0xfeffffff
	v_mov_b32_e32 v41, 0
.LBB90_24:
	s_cmp_gt_i32 s16, s40
	s_cbranch_scc1 .LBB90_26
; %bb.25:
	v_mbcnt_hi_u32_b32 v12, -1, v44
	v_xor_b32_e32 v0, 16, v12
	buffer_store_dword v0, off, s[0:3], 0 offset:20 ; 4-byte Folded Spill
	v_xor_b32_e32 v0, 8, v12
	v_and_b32_e32 v2, 0x60, v12
	buffer_store_dword v0, off, s[0:3], 0 offset:16 ; 4-byte Folded Spill
	v_xor_b32_e32 v0, 4, v12
	v_add_u32_e32 v13, 32, v2
	buffer_store_dword v0, off, s[0:3], 0 offset:24 ; 4-byte Folded Spill
	v_xor_b32_e32 v0, 2, v12
	v_xor_b32_e32 v18, 1, v12
	buffer_store_dword v0, off, s[0:3], 0 offset:28 ; 4-byte Folded Spill
	s_cbranch_execz .LBB90_27
	s_branch .LBB90_46
.LBB90_26:
                                        ; implicit-def: $vgpr0
                                        ; kill: killed $vgpr0
                                        ; implicit-def: $vgpr0
                                        ; kill: killed $vgpr0
                                        ; implicit-def: $vgpr12
                                        ; implicit-def: $vgpr13
                                        ; implicit-def: $vgpr18
                                        ; implicit-def: $vgpr0
                                        ; kill: killed $vgpr0
                                        ; implicit-def: $vgpr0
                                        ; kill: killed $vgpr0
.LBB90_27:
	v_lshl_add_u32 v2, v1, 1, v48
	v_mul_lo_u32 v13, s17, v2
	s_mul_hi_i32 s11, s40, s17
	s_mul_i32 s10, s40, s17
	s_sub_i32 s41, s16, s40
	s_lshl_b64 s[10:11], s[10:11], 2
	v_ashrrev_i32_e32 v14, 31, v13
	s_add_u32 s20, s19, s10
	v_lshlrev_b64 v[3:4], 2, v[13:14]
	s_addc_u32 s21, s18, s11
	v_mov_b32_e32 v7, s21
	v_add_co_u32_e32 v3, vcc, s20, v3
	v_lshlrev_b32_e32 v6, 2, v47
	v_addc_co_u32_e32 v4, vcc, v7, v4, vcc
	s_mov_b64 s[6:7], src_private_base
	v_add_co_u32_e32 v3, vcc, v3, v6
	v_mov_b32_e32 v12, 0
	v_addc_co_u32_e32 v4, vcc, 0, v4, vcc
	v_mov_b32_e32 v20, s7
	v_cmp_gt_i32_e64 s[6:7], s41, v2
	v_mov_b32_e32 v21, 0
	buffer_store_dword v12, off, s[0:3], 0
	buffer_store_dword v12, off, s[0:3], 0 offset:4
	buffer_store_dword v12, off, s[0:3], 0 offset:8
	;; [unrolled: 1-line block ×3, first 2 shown]
	v_cndmask_b32_e64 v4, v20, v4, s[6:7]
	v_cndmask_b32_e64 v3, v21, v3, s[6:7]
	flat_load_dwordx4 v[7:10], v[3:4]
	s_lshl_b32 s22, s17, 3
	v_add_u32_e32 v13, s22, v13
	v_ashrrev_i32_e32 v14, 31, v13
	v_lshlrev_b64 v[14:15], 2, v[13:14]
	v_mov_b32_e32 v4, s21
	v_add_co_u32_e32 v11, vcc, s20, v14
	v_addc_co_u32_e32 v4, vcc, v4, v15, vcc
	s_movk_i32 s10, 0x110
	v_add_u32_e32 v3, 8, v2
	v_add_co_u32_e32 v11, vcc, v11, v6
	v_mad_u32_u24 v22, v2, s10, v6
	v_addc_co_u32_e32 v4, vcc, 0, v4, vcc
	v_cmp_gt_i32_e64 s[10:11], s41, v3
	buffer_store_dword v12, off, s[0:3], 0
	buffer_store_dword v12, off, s[0:3], 0 offset:4
	buffer_store_dword v12, off, s[0:3], 0 offset:8
	;; [unrolled: 1-line block ×3, first 2 shown]
	v_cndmask_b32_e64 v15, v20, v4, s[10:11]
	v_cndmask_b32_e64 v14, v21, v11, s[10:11]
	v_add_u32_e32 v13, s22, v13
	v_mov_b32_e32 v11, s21
	v_add_u32_e32 v4, 16, v2
	v_cmp_gt_i32_e64 s[24:25], s41, v4
	v_add_u32_e32 v17, s22, v13
	v_ashrrev_i32_e32 v18, 31, v17
	v_mov_b32_e32 v19, s21
	s_waitcnt vmcnt(0) lgkmcnt(0)
	ds_write_b128 v22, v[7:10]
	flat_load_dwordx4 v[7:10], v[14:15]
	v_ashrrev_i32_e32 v14, 31, v13
	v_lshlrev_b64 v[14:15], 2, v[13:14]
	buffer_store_dword v12, off, s[0:3], 0
	buffer_store_dword v12, off, s[0:3], 0 offset:4
	buffer_store_dword v12, off, s[0:3], 0 offset:8
	;; [unrolled: 1-line block ×3, first 2 shown]
	v_add_co_u32_e32 v14, vcc, s20, v14
	v_addc_co_u32_e32 v11, vcc, v11, v15, vcc
	v_add_co_u32_e32 v14, vcc, v14, v6
	v_addc_co_u32_e32 v11, vcc, 0, v11, vcc
	v_cndmask_b32_e64 v15, v20, v11, s[24:25]
	v_cndmask_b32_e64 v14, v21, v14, s[24:25]
	s_waitcnt vmcnt(0) lgkmcnt(0)
	ds_write_b128 v22, v[7:10] offset:2176
	flat_load_dwordx4 v[8:11], v[14:15]
	v_lshlrev_b64 v[13:14], 2, v[17:18]
	v_mov_b32_e32 v15, s21
	v_add_co_u32_e32 v13, vcc, s20, v13
	v_addc_co_u32_e32 v14, vcc, v15, v14, vcc
	v_add_u32_e32 v7, 24, v2
	v_add_co_u32_e32 v13, vcc, v13, v6
	v_addc_co_u32_e32 v14, vcc, 0, v14, vcc
	v_cmp_gt_i32_e64 s[12:13], s41, v7
	v_cndmask_b32_e64 v14, v20, v14, s[12:13]
	v_cndmask_b32_e64 v13, v21, v13, s[12:13]
	buffer_store_dword v12, off, s[0:3], 0
	buffer_store_dword v12, off, s[0:3], 0 offset:4
	buffer_store_dword v12, off, s[0:3], 0 offset:8
	;; [unrolled: 1-line block ×3, first 2 shown]
	s_waitcnt vmcnt(0) lgkmcnt(0)
	ds_write_b128 v22, v[8:11] offset:4352
	flat_load_dwordx4 v[13:16], v[13:14]
	v_add_u32_e32 v10, s22, v17
	v_ashrrev_i32_e32 v11, 31, v10
	v_lshlrev_b64 v[17:18], 2, v[10:11]
	v_mov_b32_e32 v9, s21
	v_add_co_u32_e32 v11, vcc, s20, v17
	v_addc_co_u32_e32 v9, vcc, v9, v18, vcc
	v_add_u32_e32 v8, 32, v2
	v_add_co_u32_e32 v11, vcc, v11, v6
	v_addc_co_u32_e32 v9, vcc, 0, v9, vcc
	v_cmp_gt_i32_e64 s[14:15], s41, v8
	v_cndmask_b32_e64 v18, v20, v9, s[14:15]
	v_cndmask_b32_e64 v17, v21, v11, s[14:15]
	buffer_store_dword v12, off, s[0:3], 0
	buffer_store_dword v12, off, s[0:3], 0 offset:4
	buffer_store_dword v12, off, s[0:3], 0 offset:8
	;; [unrolled: 1-line block ×3, first 2 shown]
	v_add_u32_e32 v9, 40, v2
	v_cmp_gt_i32_e64 s[16:17], s41, v9
	s_waitcnt vmcnt(0) lgkmcnt(0)
	ds_write_b128 v22, v[13:16] offset:6528
	flat_load_dwordx4 v[13:16], v[17:18]
	v_add_u32_e32 v17, s22, v10
	v_ashrrev_i32_e32 v18, 31, v17
	v_lshlrev_b64 v[10:11], 2, v[17:18]
	buffer_store_dword v12, off, s[0:3], 0
	buffer_store_dword v12, off, s[0:3], 0 offset:4
	buffer_store_dword v12, off, s[0:3], 0 offset:8
	;; [unrolled: 1-line block ×3, first 2 shown]
	v_add_co_u32_e32 v10, vcc, s20, v10
	v_addc_co_u32_e32 v11, vcc, v19, v11, vcc
	v_add_co_u32_e32 v10, vcc, v10, v6
	v_addc_co_u32_e32 v11, vcc, 0, v11, vcc
	v_cndmask_b32_e64 v11, v20, v11, s[16:17]
	v_cndmask_b32_e64 v10, v21, v10, s[16:17]
	v_add_u32_e32 v17, s22, v17
	v_ashrrev_i32_e32 v18, 31, v17
	v_lshlrev_b64 v[18:19], 2, v[17:18]
	v_add_u32_e32 v17, s22, v17
	v_add_co_u32_e32 v18, vcc, s20, v18
	s_mov_b32 s22, 0x3f200000
	s_waitcnt vmcnt(0) lgkmcnt(0)
	ds_write_b128 v22, v[13:16] offset:8704
	flat_load_dwordx4 v[13:16], v[10:11]
	v_mov_b32_e32 v11, s21
	v_addc_co_u32_e32 v11, vcc, v11, v19, vcc
	v_add_u32_e32 v10, 48, v2
	v_add_co_u32_e32 v18, vcc, v18, v6
	v_addc_co_u32_e32 v11, vcc, 0, v11, vcc
	v_cmp_gt_i32_e64 s[18:19], s41, v10
	v_cndmask_b32_e64 v19, v20, v11, s[18:19]
	v_cndmask_b32_e64 v18, v21, v18, s[18:19]
	buffer_store_dword v12, off, s[0:3], 0
	buffer_store_dword v12, off, s[0:3], 0 offset:4
	buffer_store_dword v12, off, s[0:3], 0 offset:8
	;; [unrolled: 1-line block ×3, first 2 shown]
	v_add_u32_e32 v11, 56, v2
	s_waitcnt vmcnt(0) lgkmcnt(0)
	ds_write_b128 v22, v[13:16] offset:10880
	flat_load_dwordx4 v[13:16], v[18:19]
	v_ashrrev_i32_e32 v18, 31, v17
	v_lshlrev_b64 v[17:18], 2, v[17:18]
	v_mov_b32_e32 v19, s21
	v_add_co_u32_e32 v17, vcc, s20, v17
	v_addc_co_u32_e32 v18, vcc, v19, v18, vcc
	v_add_co_u32_e32 v17, vcc, v17, v6
	v_addc_co_u32_e32 v18, vcc, 0, v18, vcc
	v_cmp_gt_i32_e64 s[20:21], s41, v11
	v_cndmask_b32_e64 v18, v20, v18, s[20:21]
	v_cndmask_b32_e64 v17, v21, v17, s[20:21]
	buffer_store_dword v12, off, s[0:3], 0
	buffer_store_dword v12, off, s[0:3], 0 offset:4
	buffer_store_dword v12, off, s[0:3], 0 offset:8
	;; [unrolled: 1-line block ×3, first 2 shown]
	s_waitcnt vmcnt(0) lgkmcnt(0)
	ds_write_b128 v22, v[13:16] offset:13056
	flat_load_dwordx4 v[15:18], v[17:18]
	v_mul_u32_u24_e32 v14, 0x110, v38
	v_mov_b32_e32 v13, 0
	s_waitcnt vmcnt(0) lgkmcnt(0)
	ds_write_b128 v22, v[15:18] offset:15232
	s_waitcnt lgkmcnt(0)
	s_barrier
	ds_read_b128 v[15:18], v14
	ds_read_b128 v[19:22], v46
	ds_read_b128 v[23:26], v14 offset:8704
	s_waitcnt lgkmcnt(1)
	;;#ASMSTART
	v_dot2_f32_f16 v13, v15, v19, v13
	;;#ASMEND
	;;#ASMSTART
	v_dot2_f32_f16 v13, v16, v20, v13
	;;#ASMEND
	;;#ASMSTART
	v_dot2_f32_f16 v13, v17, v21, v13
	;;#ASMEND
	;;#ASMSTART
	v_dot2_f32_f16 v13, v18, v22, v13
	;;#ASMEND
	s_waitcnt lgkmcnt(0)
	;;#ASMSTART
	v_dot2_f32_f16 v12, v23, v19, v12
	;;#ASMEND
	;;#ASMSTART
	v_dot2_f32_f16 v12, v24, v20, v12
	;;#ASMEND
	;;#ASMSTART
	v_dot2_f32_f16 v12, v25, v21, v12
	;;#ASMEND
	;;#ASMSTART
	v_dot2_f32_f16 v12, v26, v22, v12
	;;#ASMEND
	ds_read_b128 v[15:18], v14 offset:16
	ds_read_b128 v[19:22], v46 offset:16
	ds_read_b128 v[23:26], v14 offset:8720
	s_waitcnt lgkmcnt(1)
	;;#ASMSTART
	v_dot2_f32_f16 v13, v15, v19, v13
	;;#ASMEND
	;;#ASMSTART
	v_dot2_f32_f16 v13, v16, v20, v13
	;;#ASMEND
	;;#ASMSTART
	v_dot2_f32_f16 v13, v17, v21, v13
	;;#ASMEND
	;;#ASMSTART
	v_dot2_f32_f16 v13, v18, v22, v13
	;;#ASMEND
	s_waitcnt lgkmcnt(0)
	;;#ASMSTART
	v_dot2_f32_f16 v12, v23, v19, v12
	;;#ASMEND
	;;#ASMSTART
	v_dot2_f32_f16 v12, v24, v20, v12
	;;#ASMEND
	;;#ASMSTART
	v_dot2_f32_f16 v12, v25, v21, v12
	;;#ASMEND
	;;#ASMSTART
	v_dot2_f32_f16 v12, v26, v22, v12
	;;#ASMEND
	ds_read_b128 v[15:18], v14 offset:32
	ds_read_b128 v[19:22], v46 offset:32
	;; [unrolled: 29-line block ×15, first 2 shown]
	ds_read_b128 v[23:26], v14 offset:8944
	s_waitcnt lgkmcnt(1)
	;;#ASMSTART
	v_dot2_f32_f16 v13, v15, v19, v13
	;;#ASMEND
	;;#ASMSTART
	v_dot2_f32_f16 v13, v16, v20, v13
	;;#ASMEND
	;;#ASMSTART
	v_dot2_f32_f16 v13, v17, v21, v13
	;;#ASMEND
	;;#ASMSTART
	v_dot2_f32_f16 v13, v18, v22, v13
	;;#ASMEND
	s_waitcnt lgkmcnt(0)
	;;#ASMSTART
	v_dot2_f32_f16 v12, v23, v19, v12
	;;#ASMEND
	;;#ASMSTART
	v_dot2_f32_f16 v12, v24, v20, v12
	;;#ASMEND
	;; [unrolled: 3-line block ×3, first 2 shown]
	v_cmp_nlt_f32_e64 s[22:23], |v13|, s22
	;;#ASMSTART
	v_dot2_f32_f16 v12, v26, v22, v12
	;;#ASMEND
                                        ; implicit-def: $vgpr14
	s_and_saveexec_b64 s[36:37], s[22:23]
	s_xor_b64 s[22:23], exec, s[36:37]
	s_cbranch_execz .LBB90_29
; %bb.28:
	v_add_f32_e64 v14, |v13|, |v13|
	v_mul_f32_e32 v15, 0x3fb8aa3b, v14
	s_mov_b32 s36, 0x3fb8aa3b
	v_rndne_f32_e32 v16, v15
	v_sub_f32_e32 v17, v15, v16
	v_fma_f32 v15, v14, s36, -v15
	v_fmac_f32_e32 v15, 0x32a5705f, v14
	v_add_f32_e32 v15, v17, v15
	v_exp_f32_e32 v15, v15
	v_cvt_i32_f32_e32 v16, v16
	s_mov_b32 s36, 0xc2ce8ed0
	v_cmp_ngt_f32_e32 vcc, s36, v14
	s_mov_b32 s36, 0x42b17218
	v_ldexp_f32 v15, v15, v16
	v_cndmask_b32_e32 v15, 0, v15, vcc
	v_mov_b32_e32 v16, 0x7f800000
	v_cmp_nlt_f32_e32 vcc, s36, v14
	v_cndmask_b32_e32 v14, v16, v15, vcc
	v_add_f32_e32 v14, 1.0, v14
	v_rcp_f32_e32 v14, v14
	v_fma_f32 v14, v14, -2.0, 1.0
.LBB90_29:
	s_andn2_saveexec_b64 s[22:23], s[22:23]
	s_cbranch_execz .LBB90_31
; %bb.30:
	v_mul_f32_e32 v14, v13, v13
	v_mov_b32_e32 v15, 0x3ca908c9
	v_fmac_f32_e32 v15, 0xbbbac73d, v14
	v_mov_b32_e32 v16, 0xbd5c1c4e
	v_fmac_f32_e32 v16, v14, v15
	;; [unrolled: 2-line block ×4, first 2 shown]
	v_mul_f32_e64 v15, |v13|, v16
	v_fma_f32 v14, v14, v15, |v13|
.LBB90_31:
	s_or_b64 exec, exec, s[22:23]
	v_mul_lo_u32 v15, v45, s34
	s_cmp_lg_u64 s[30:31], 0
	s_brev_b32 s22, -2
	v_bfi_b32 v14, s22, v14, v13
	s_cselect_b64 s[22:23], -1, 0
	v_mul_f32_e32 v19, s35, v14
	v_cndmask_b32_e64 v14, 0, 1, s[22:23]
	v_add_u32_e32 v13, s40, v15
	v_cmp_gt_i32_e32 vcc, s41, v38
	v_cmp_ne_u32_e64 s[22:23], 1, v14
	v_mov_b32_e32 v16, v5
	s_and_saveexec_b64 s[36:37], vcc
	s_cbranch_execz .LBB90_36
; %bb.32:
	s_and_b64 vcc, exec, s[22:23]
	s_cbranch_vccnz .LBB90_34
; %bb.33:
	v_add_u32_e32 v14, v13, v38
	v_ashrrev_i32_e32 v15, 31, v14
	v_lshlrev_b64 v[14:15], 1, v[14:15]
	v_mov_b32_e32 v16, s31
	v_add_co_u32_e32 v14, vcc, s30, v14
	v_addc_co_u32_e32 v15, vcc, v16, v15, vcc
	global_load_ushort v14, v[14:15], off
	s_waitcnt vmcnt(0)
	v_cvt_f32_f16_e32 v14, v14
	v_mul_f32_e32 v14, v43, v14
	s_branch .LBB90_35
.LBB90_34:
	v_mov_b32_e32 v14, 0
.LBB90_35:
	v_add_f32_e32 v19, v19, v14
	v_add_f32_e32 v14, 0x40051340, v19
	v_max_f32_e32 v15, v5, v5
	v_max_f32_e32 v16, v15, v14
.LBB90_36:
	s_or_b64 exec, exec, s[36:37]
	s_mov_b32 s34, 0x3f200000
	v_cmp_nlt_f32_e64 s[36:37], |v12|, s34
                                        ; implicit-def: $vgpr14
	s_and_saveexec_b64 s[42:43], s[36:37]
	s_xor_b64 s[36:37], exec, s[42:43]
	s_cbranch_execz .LBB90_38
; %bb.37:
	v_add_f32_e64 v14, |v12|, |v12|
	v_mul_f32_e32 v15, 0x3fb8aa3b, v14
	s_mov_b32 s34, 0x3fb8aa3b
	v_rndne_f32_e32 v17, v15
	v_sub_f32_e32 v18, v15, v17
	v_fma_f32 v15, v14, s34, -v15
	v_fmac_f32_e32 v15, 0x32a5705f, v14
	v_add_f32_e32 v15, v18, v15
	v_exp_f32_e32 v15, v15
	v_cvt_i32_f32_e32 v17, v17
	s_mov_b32 s34, 0xc2ce8ed0
	v_cmp_ngt_f32_e32 vcc, s34, v14
	s_mov_b32 s34, 0x42b17218
	v_ldexp_f32 v15, v15, v17
	v_cndmask_b32_e32 v15, 0, v15, vcc
	v_mov_b32_e32 v17, 0x7f800000
	v_cmp_nlt_f32_e32 vcc, s34, v14
	v_cndmask_b32_e32 v14, v17, v15, vcc
	v_add_f32_e32 v14, 1.0, v14
	v_rcp_f32_e32 v14, v14
	v_fma_f32 v14, v14, -2.0, 1.0
.LBB90_38:
	s_andn2_saveexec_b64 s[36:37], s[36:37]
	s_cbranch_execz .LBB90_40
; %bb.39:
	v_mul_f32_e32 v14, v12, v12
	v_mov_b32_e32 v15, 0x3ca908c9
	v_fmac_f32_e32 v15, 0xbbbac73d, v14
	v_mov_b32_e32 v17, 0xbd5c1c4e
	v_fmac_f32_e32 v17, v14, v15
	;; [unrolled: 2-line block ×4, first 2 shown]
	v_mul_f32_e64 v15, |v12|, v17
	v_fma_f32 v14, v14, v15, |v12|
.LBB90_40:
	s_or_b64 exec, exec, s[36:37]
	s_brev_b32 s34, -2
	v_add_u32_e32 v22, 32, v38
	v_bfi_b32 v12, s34, v14, v12
	v_mul_f32_e32 v21, s35, v12
	v_cmp_gt_i32_e32 vcc, s41, v22
	s_and_saveexec_b64 s[34:35], vcc
	s_cbranch_execz .LBB90_45
; %bb.41:
	s_and_b64 vcc, exec, s[22:23]
	s_cbranch_vccnz .LBB90_43
; %bb.42:
	v_ashrrev_i32_e32 v14, 31, v13
	v_add_co_u32_e32 v12, vcc, v13, v38
	v_addc_co_u32_e32 v13, vcc, 0, v14, vcc
	v_lshlrev_b64 v[12:13], 1, v[12:13]
	v_mov_b32_e32 v14, s31
	v_add_co_u32_e32 v12, vcc, s30, v12
	v_addc_co_u32_e32 v13, vcc, v14, v13, vcc
	global_load_ushort v12, v[12:13], off offset:64
	s_waitcnt vmcnt(0)
	v_cvt_f32_f16_e32 v12, v12
	v_mul_f32_e32 v12, v43, v12
	s_branch .LBB90_44
.LBB90_43:
	v_mov_b32_e32 v12, 0
.LBB90_44:
	v_add_f32_e32 v21, v21, v12
	v_add_f32_e32 v12, 0x40051340, v21
	v_max_f32_e32 v13, v16, v16
	v_max_f32_e32 v16, v13, v12
.LBB90_45:
	s_or_b64 exec, exec, s[34:35]
	v_mbcnt_hi_u32_b32 v12, -1, v44
	v_and_b32_e32 v13, 0x60, v12
	v_add_u32_e32 v13, 32, v13
	v_xor_b32_e32 v0, 16, v12
	v_cmp_lt_i32_e32 vcc, v0, v13
	v_cndmask_b32_e32 v14, v12, v0, vcc
	v_lshlrev_b32_e32 v14, 2, v14
	ds_bpermute_b32 v17, v14, v16
	buffer_store_dword v113, off, s[0:3], 0 offset:44 ; 4-byte Folded Spill
	buffer_store_dword v39, off, s[0:3], 0 offset:40 ; 4-byte Folded Spill
	;; [unrolled: 1-line block ×3, first 2 shown]
	v_xor_b32_e32 v0, 8, v12
	v_cmp_lt_i32_e32 vcc, v0, v13
	v_cndmask_b32_e32 v18, v12, v0, vcc
	s_waitcnt lgkmcnt(0)
	v_max_f32_e32 v17, v17, v17
	v_max_f32_e32 v16, v16, v16
	v_lshlrev_b32_e32 v18, 2, v18
	v_max_f32_e32 v17, v16, v17
	ds_bpermute_b32 v18, v18, v17
	buffer_store_dword v0, off, s[0:3], 0 offset:16 ; 4-byte Folded Spill
	v_xor_b32_e32 v0, 4, v12
	v_cmp_lt_i32_e32 vcc, v0, v13
	v_cndmask_b32_e32 v20, v12, v0, vcc
	s_waitcnt lgkmcnt(0)
	v_max_f32_e32 v18, v18, v18
	v_lshlrev_b32_e32 v20, 2, v20
	v_max_f32_e32 v18, v17, v18
	ds_bpermute_b32 v20, v20, v18
	buffer_store_dword v0, off, s[0:3], 0 offset:24 ; 4-byte Folded Spill
	v_xor_b32_e32 v0, 2, v12
	v_cmp_lt_i32_e32 vcc, v0, v13
	v_cndmask_b32_e32 v23, v12, v0, vcc
	s_waitcnt lgkmcnt(0)
	v_max_f32_e32 v20, v20, v20
	v_lshlrev_b32_e32 v23, 2, v23
	v_max_f32_e32 v20, v18, v20
	ds_bpermute_b32 v23, v23, v20
	v_xor_b32_e32 v18, 1, v12
	v_cmp_lt_i32_e32 vcc, v18, v13
	v_cndmask_b32_e32 v24, v12, v18, vcc
	v_lshlrev_b32_e32 v24, 2, v24
	s_waitcnt lgkmcnt(0)
	v_max_f32_e32 v23, v23, v23
	v_max_f32_e32 v20, v20, v23
	ds_bpermute_b32 v23, v24, v20
	s_mov_b32 s31, 0x3fb8aa3b
	s_mov_b64 s[22:23], src_private_base
	s_mov_b32 s22, 0xc2ce8ed0
	s_mov_b32 s30, 0x42b17218
	s_waitcnt lgkmcnt(0)
	v_max_f32_e32 v23, v23, v23
	v_max_f32_e32 v20, v20, v23
	v_sub_f32_e32 v25, v19, v20
	v_mul_f32_e32 v19, 0x3fb8aa3b, v25
	v_fma_f32 v23, v25, s31, -v19
	v_rndne_f32_e32 v26, v19
	v_fmac_f32_e32 v23, 0x32a5705f, v25
	v_sub_f32_e32 v19, v19, v26
	v_add_f32_e32 v19, v19, v23
	v_exp_f32_e32 v23, v19
	v_cvt_i32_f32_e32 v26, v26
	v_lshlrev_b32_e32 v19, 7, v1
	v_cmp_ngt_f32_e32 vcc, s22, v25
	v_mul_lo_u32 v29, s8, v2
	v_ldexp_f32 v1, v23, v26
	v_cndmask_b32_e32 v1, 0, v1, vcc
	v_cmp_nlt_f32_e32 vcc, s30, v25
	v_sub_f32_e32 v25, v21, v20
	v_mul_f32_e32 v21, 0x3fb8aa3b, v25
	v_fma_f32 v26, v25, s31, -v21
	v_rndne_f32_e32 v27, v21
	v_fmac_f32_e32 v26, 0x32a5705f, v25
	v_sub_f32_e32 v21, v21, v27
	v_add_f32_e32 v21, v21, v26
	v_exp_f32_e32 v26, v21
	v_cvt_i32_f32_e32 v27, v27
	v_mov_b32_e32 v23, 0x7f800000
	v_cndmask_b32_e32 v1, v23, v1, vcc
	v_cmp_gt_u32_e32 vcc, s41, v38
	v_cndmask_b32_e32 v21, 0, v1, vcc
	v_ldexp_f32 v26, v26, v27
	v_cmp_ngt_f32_e32 vcc, s22, v25
	v_cndmask_b32_e32 v26, 0, v26, vcc
	v_cmp_nlt_f32_e32 vcc, s30, v25
	v_cndmask_b32_e32 v25, v23, v26, vcc
	v_cmp_gt_u32_e32 vcc, s41, v22
	v_cvt_f16_f32_e32 v1, v21
	v_cndmask_b32_e32 v22, 0, v25, vcc
	v_cvt_f16_f32_e32 v25, v22
	v_lshlrev_b32_e32 v26, 1, v38
	s_movk_i32 s34, 0x4800
	v_add3_u32 v26, v19, s34, v26
	s_mul_hi_i32 s35, s40, s8
	s_mul_i32 s34, s40, s8
	s_lshl_b64 s[34:35], s[34:35], 2
	v_ashrrev_i32_e32 v30, 31, v29
	buffer_store_dword v0, off, s[0:3], 0 offset:28 ; 4-byte Folded Spill
	s_waitcnt vmcnt(0)
	s_barrier
	ds_write_b16 v26, v1
	ds_write_b16 v26, v25 offset:64
	s_add_u32 s34, s38, s34
	v_lshlrev_b64 v[25:26], 2, v[29:30]
	s_addc_u32 s35, s39, s35
	v_mov_b32_e32 v1, s35
	v_add_co_u32_e32 v25, vcc, s34, v25
	v_addc_co_u32_e32 v1, vcc, v1, v26, vcc
	v_add_co_u32_e32 v25, vcc, v25, v6
	v_mov_b32_e32 v24, 0
	v_addc_co_u32_e32 v1, vcc, 0, v1, vcc
	v_mov_b32_e32 v31, s23
	v_mov_b32_e32 v32, 0
	buffer_store_dword v24, off, s[0:3], 0
	buffer_store_dword v24, off, s[0:3], 0 offset:4
	buffer_store_dword v24, off, s[0:3], 0 offset:8
	;; [unrolled: 1-line block ×3, first 2 shown]
	v_cndmask_b32_e64 v26, v31, v1, s[6:7]
	v_cndmask_b32_e64 v25, v32, v25, s[6:7]
	flat_load_dwordx4 v[25:28], v[25:26]
	s_lshl_b32 s6, s8, 3
	v_add_u32_e32 v1, s6, v29
	v_lshl_or_b32 v33, v2, 8, v6
	v_ashrrev_i32_e32 v2, 31, v1
	v_lshlrev_b64 v[29:30], 2, v[1:2]
	v_mov_b32_e32 v34, s35
	v_add_co_u32_e32 v2, vcc, s34, v29
	v_addc_co_u32_e32 v29, vcc, v34, v30, vcc
	v_add_co_u32_e32 v2, vcc, v2, v6
	v_addc_co_u32_e32 v29, vcc, 0, v29, vcc
	v_cndmask_b32_e64 v30, v31, v29, s[10:11]
	v_cndmask_b32_e64 v29, v32, v2, s[10:11]
	buffer_store_dword v24, off, s[0:3], 0
	buffer_store_dword v24, off, s[0:3], 0 offset:4
	buffer_store_dword v24, off, s[0:3], 0 offset:8
	;; [unrolled: 1-line block ×3, first 2 shown]
	v_add_u32_e32 v1, s6, v1
	v_ashrrev_i32_e32 v2, 31, v1
	v_lshl_or_b32 v7, v7, 8, v6
	v_sub_f32_e32 v5, v5, v20
	v_add_f32_e32 v117, v21, v22
	v_add_u32_e32 v37, 0x2800, v40
	v_add_u32_e32 v115, 0x3000, v40
	;; [unrolled: 1-line block ×3, first 2 shown]
	s_waitcnt vmcnt(0) lgkmcnt(0)
	ds_write_b128 v33, v[25:28]
	flat_load_dwordx4 v[25:28], v[29:30]
	v_lshl_or_b32 v29, v3, 8, v6
	v_lshlrev_b64 v[2:3], 2, v[1:2]
	v_mov_b32_e32 v30, s35
	v_add_co_u32_e32 v2, vcc, s34, v2
	v_addc_co_u32_e32 v3, vcc, v30, v3, vcc
	v_add_co_u32_e32 v2, vcc, v2, v6
	v_addc_co_u32_e32 v3, vcc, 0, v3, vcc
	v_cndmask_b32_e64 v3, v31, v3, s[24:25]
	v_cndmask_b32_e64 v2, v32, v2, s[24:25]
	buffer_store_dword v24, off, s[0:3], 0
	buffer_store_dword v24, off, s[0:3], 0 offset:4
	buffer_store_dword v24, off, s[0:3], 0 offset:8
	;; [unrolled: 1-line block ×3, first 2 shown]
	s_waitcnt vmcnt(0) lgkmcnt(0)
	ds_write_b128 v29, v[25:28]
	flat_load_dwordx4 v[25:28], v[2:3]
	v_add_u32_e32 v29, s6, v1
	v_ashrrev_i32_e32 v30, 31, v29
	v_lshlrev_b64 v[1:2], 2, v[29:30]
	v_lshl_or_b32 v3, v4, 8, v6
	v_mov_b32_e32 v4, s35
	v_add_co_u32_e32 v1, vcc, s34, v1
	v_addc_co_u32_e32 v2, vcc, v4, v2, vcc
	v_add_co_u32_e32 v1, vcc, v1, v6
	v_addc_co_u32_e32 v2, vcc, 0, v2, vcc
	v_cndmask_b32_e64 v2, v31, v2, s[12:13]
	v_cndmask_b32_e64 v1, v32, v1, s[12:13]
	buffer_store_dword v24, off, s[0:3], 0
	buffer_store_dword v24, off, s[0:3], 0 offset:4
	buffer_store_dword v24, off, s[0:3], 0 offset:8
	;; [unrolled: 1-line block ×3, first 2 shown]
	s_waitcnt vmcnt(0) lgkmcnt(0)
	ds_write_b128 v3, v[25:28]
	flat_load_dwordx4 v[1:4], v[1:2]
	v_add_u32_e32 v25, s6, v29
	v_ashrrev_i32_e32 v26, 31, v25
	v_lshlrev_b64 v[26:27], 2, v[25:26]
	v_mov_b32_e32 v28, s35
	v_add_co_u32_e32 v26, vcc, s34, v26
	v_addc_co_u32_e32 v27, vcc, v28, v27, vcc
	v_add_co_u32_e32 v26, vcc, v26, v6
	v_addc_co_u32_e32 v27, vcc, 0, v27, vcc
	v_cndmask_b32_e64 v27, v31, v27, s[14:15]
	v_cndmask_b32_e64 v26, v32, v26, s[14:15]
	buffer_store_dword v24, off, s[0:3], 0
	buffer_store_dword v24, off, s[0:3], 0 offset:4
	buffer_store_dword v24, off, s[0:3], 0 offset:8
	;; [unrolled: 1-line block ×3, first 2 shown]
	s_waitcnt vmcnt(0) lgkmcnt(0)
	ds_write_b128 v7, v[1:4]
	flat_load_dwordx4 v[1:4], v[26:27]
	v_add_u32_e32 v7, s6, v25
	v_lshl_or_b32 v27, v8, 8, v6
	v_ashrrev_i32_e32 v8, 31, v7
	v_lshlrev_b64 v[25:26], 2, v[7:8]
	buffer_store_dword v24, off, s[0:3], 0
	buffer_store_dword v24, off, s[0:3], 0 offset:4
	buffer_store_dword v24, off, s[0:3], 0 offset:8
	;; [unrolled: 1-line block ×3, first 2 shown]
	v_add_co_u32_e32 v8, vcc, s34, v25
	v_addc_co_u32_e32 v25, vcc, v28, v26, vcc
	v_add_co_u32_e32 v8, vcc, v8, v6
	v_addc_co_u32_e32 v25, vcc, 0, v25, vcc
	v_cndmask_b32_e64 v26, v31, v25, s[16:17]
	v_cndmask_b32_e64 v25, v32, v8, s[16:17]
	v_add_u32_e32 v7, s6, v7
	v_ashrrev_i32_e32 v8, 31, v7
	s_waitcnt vmcnt(0) lgkmcnt(0)
	ds_write_b128 v27, v[1:4]
	flat_load_dwordx4 v[1:4], v[25:26]
	v_lshl_or_b32 v25, v9, 8, v6
	v_lshlrev_b64 v[8:9], 2, v[7:8]
	v_mov_b32_e32 v26, s35
	v_add_co_u32_e32 v8, vcc, s34, v8
	v_addc_co_u32_e32 v9, vcc, v26, v9, vcc
	v_add_co_u32_e32 v8, vcc, v8, v6
	v_addc_co_u32_e32 v9, vcc, 0, v9, vcc
	v_cndmask_b32_e64 v9, v31, v9, s[18:19]
	v_cndmask_b32_e64 v8, v32, v8, s[18:19]
	buffer_store_dword v24, off, s[0:3], 0
	buffer_store_dword v24, off, s[0:3], 0 offset:4
	buffer_store_dword v24, off, s[0:3], 0 offset:8
	;; [unrolled: 1-line block ×3, first 2 shown]
	v_add_u32_e32 v7, s6, v7
	s_mov_b32 s6, 0x10001
	s_waitcnt vmcnt(0) lgkmcnt(0)
	ds_write_b128 v25, v[1:4]
	flat_load_dwordx4 v[1:4], v[8:9]
	v_ashrrev_i32_e32 v8, 31, v7
	v_lshlrev_b64 v[7:8], 2, v[7:8]
	v_lshl_or_b32 v9, v10, 8, v6
	v_mov_b32_e32 v10, s35
	v_add_co_u32_e32 v7, vcc, s34, v7
	v_addc_co_u32_e32 v8, vcc, v10, v8, vcc
	v_add_co_u32_e32 v7, vcc, v7, v6
	v_addc_co_u32_e32 v8, vcc, 0, v8, vcc
	v_cndmask_b32_e64 v8, v31, v8, s[20:21]
	v_cndmask_b32_e64 v7, v32, v7, s[20:21]
	buffer_store_dword v24, off, s[0:3], 0
	buffer_store_dword v24, off, s[0:3], 0 offset:4
	buffer_store_dword v24, off, s[0:3], 0 offset:8
	;; [unrolled: 1-line block ×3, first 2 shown]
	v_cmp_ngt_f32_e32 vcc, s22, v5
	v_lshl_or_b32 v6, v11, 8, v6
	v_add_u32_e32 v10, 0x1800, v40
	v_add_u32_e32 v11, 0x2000, v40
	s_waitcnt vmcnt(0) lgkmcnt(0)
	ds_write_b128 v9, v[1:4]
	flat_load_dwordx4 v[1:4], v[7:8]
	v_mul_f32_e32 v9, 0x3fb8aa3b, v5
	v_fma_f32 v24, v5, s31, -v9
	v_rndne_f32_e32 v25, v9
	v_fmac_f32_e32 v24, 0x32a5705f, v5
	v_sub_f32_e32 v9, v9, v25
	v_add_f32_e32 v9, v9, v24
	v_cvt_i32_f32_e32 v25, v25
	v_exp_f32_e32 v9, v9
	v_add_u32_e32 v7, 0x800, v40
	v_add_u32_e32 v8, 0x1000, v40
	v_ldexp_f32 v9, v9, v25
	v_cndmask_b32_e32 v9, 0, v9, vcc
	v_cmp_nlt_f32_e32 vcc, s30, v5
	v_cndmask_b32_e32 v9, v23, v9, vcc
	v_cvt_f16_f32_e32 v23, v9
	v_mov_b32_e32 v5, v20
	v_fmac_f32_e32 v117, v36, v9
	v_mul_u32_u24_e32 v36, 0x10001, v23
	s_waitcnt vmcnt(0) lgkmcnt(0)
	ds_write_b128 v6, v[1:4]
	s_waitcnt lgkmcnt(0)
	s_barrier
	ds_read2_b64 v[1:4], v40 offset1:32
	ds_read_b128 v[20:23], v19 offset:18432
	ds_read_b128 v[24:27], v19 offset:18448
	;; [unrolled: 1-line block ×4, first 2 shown]
	ds_read2_b64 v[43:46], v40 offset0:64 offset1:96
	ds_read2_b64 v[47:50], v40 offset0:128 offset1:160
	ds_read2_b64 v[51:54], v40 offset0:192 offset1:224
	ds_read2_b64 v[55:58], v7 offset1:32
	ds_read2_b64 v[59:62], v7 offset0:64 offset1:96
	ds_read2_b64 v[63:66], v7 offset0:128 offset1:160
	ds_read2_b64 v[67:70], v7 offset0:192 offset1:224
	ds_read2_b64 v[71:74], v8 offset1:32
	;; [unrolled: 4-line block ×4, first 2 shown]
	ds_read2_b64 v[103:106], v11 offset0:64 offset1:96
	ds_read2_b64 v[107:110], v11 offset0:128 offset1:160
	;; [unrolled: 1-line block ×3, first 2 shown]
	s_waitcnt lgkmcnt(14)
	v_mul_u32_u24_sdwa v10, v20, s6 dst_sel:DWORD dst_unused:UNUSED_PAD src0_sel:WORD_0 src1_sel:DWORD
	v_pk_mul_f16 v1, v1, v10
	v_pk_mul_f16 v2, v2, v10
	v_mul_u32_u24_sdwa v11, v20, s6 dst_sel:DWORD dst_unused:UNUSED_PAD src0_sel:WORD_1 src1_sel:DWORD
	v_pk_fma_f16 v1, v41, v36, v1
	v_pk_fma_f16 v2, v42, v36, v2
	v_mul_u32_u24_sdwa v40, v21, s6 dst_sel:DWORD dst_unused:UNUSED_PAD src0_sel:WORD_0 src1_sel:DWORD
	v_pk_fma_f16 v1, v3, v11, v1
	v_pk_fma_f16 v2, v4, v11, v2
	v_mul_u32_u24_sdwa v118, v21, s6 dst_sel:DWORD dst_unused:UNUSED_PAD src0_sel:WORD_1 src1_sel:DWORD
	v_pk_fma_f16 v1, v43, v40, v1
	v_pk_fma_f16 v2, v44, v40, v2
	v_mul_u32_u24_sdwa v119, v22, s6 dst_sel:DWORD dst_unused:UNUSED_PAD src0_sel:WORD_0 src1_sel:DWORD
	v_mul_u32_u24_sdwa v120, v22, s6 dst_sel:DWORD dst_unused:UNUSED_PAD src0_sel:WORD_1 src1_sel:DWORD
	v_mul_u32_u24_sdwa v121, v23, s6 dst_sel:DWORD dst_unused:UNUSED_PAD src0_sel:WORD_0 src1_sel:DWORD
	v_mul_u32_u24_sdwa v122, v23, s6 dst_sel:DWORD dst_unused:UNUSED_PAD src0_sel:WORD_1 src1_sel:DWORD
	ds_read2_b64 v[20:23], v37 offset1:32
	v_mul_u32_u24_sdwa v123, v24, s6 dst_sel:DWORD dst_unused:UNUSED_PAD src0_sel:WORD_0 src1_sel:DWORD
	v_mul_u32_u24_sdwa v10, v24, s6 dst_sel:DWORD dst_unused:UNUSED_PAD src0_sel:WORD_1 src1_sel:DWORD
	v_mul_u32_u24_sdwa v36, v25, s6 dst_sel:DWORD dst_unused:UNUSED_PAD src0_sel:WORD_0 src1_sel:DWORD
	v_mul_u32_u24_sdwa v11, v25, s6 dst_sel:DWORD dst_unused:UNUSED_PAD src0_sel:WORD_1 src1_sel:DWORD
	;; [unrolled: 2-line block ×4, first 2 shown]
	v_pk_fma_f16 v40, v45, v118, v1
	v_pk_fma_f16 v41, v46, v118, v2
	ds_read_b128 v[1:4], v19 offset:18496
	ds_read_b128 v[24:27], v19 offset:18512
	buffer_store_dword v38, off, s[0:3], 0 offset:32 ; 4-byte Folded Spill
	s_nop 0
	buffer_store_dword v39, off, s[0:3], 0 offset:36 ; 4-byte Folded Spill
	v_mul_u32_u24_sdwa v118, v28, s6 dst_sel:DWORD dst_unused:UNUSED_PAD src0_sel:WORD_0 src1_sel:DWORD
	v_mul_u32_u24_sdwa v39, v28, s6 dst_sel:DWORD dst_unused:UNUSED_PAD src0_sel:WORD_1 src1_sel:DWORD
	v_pk_fma_f16 v28, v47, v119, v40
	v_pk_fma_f16 v40, v48, v119, v41
	;; [unrolled: 1-line block ×10, first 2 shown]
	v_mul_u32_u24_sdwa v119, v29, s6 dst_sel:DWORD dst_unused:UNUSED_PAD src0_sel:WORD_0 src1_sel:DWORD
	v_mul_u32_u24_sdwa v120, v29, s6 dst_sel:DWORD dst_unused:UNUSED_PAD src0_sel:WORD_1 src1_sel:DWORD
	v_mul_u32_u24_sdwa v38, v30, s6 dst_sel:DWORD dst_unused:UNUSED_PAD src0_sel:WORD_0 src1_sel:DWORD
	v_mul_u32_u24_sdwa v14, v30, s6 dst_sel:DWORD dst_unused:UNUSED_PAD src0_sel:WORD_1 src1_sel:DWORD
	;; [unrolled: 2-line block ×3, first 2 shown]
	ds_read2_b64 v[28:31], v37 offset0:64 offset1:96
	ds_read2_b64 v[40:43], v37 offset0:128 offset1:160
	;; [unrolled: 1-line block ×3, first 2 shown]
	v_pk_fma_f16 v37, v57, v10, v48
	v_pk_fma_f16 v10, v58, v10, v49
	v_pk_fma_f16 v37, v59, v36, v37
	v_pk_fma_f16 v10, v60, v36, v10
	v_mul_u32_u24_sdwa v121, v32, s6 dst_sel:DWORD dst_unused:UNUSED_PAD src0_sel:WORD_0 src1_sel:DWORD
	v_mul_u32_u24_sdwa v36, v32, s6 dst_sel:DWORD dst_unused:UNUSED_PAD src0_sel:WORD_1 src1_sel:DWORD
	v_pk_fma_f16 v32, v61, v11, v37
	v_pk_fma_f16 v10, v62, v11, v10
	s_waitcnt lgkmcnt(14)
	v_pk_fma_f16 v52, v63, v124, v32
	v_pk_fma_f16 v10, v64, v124, v10
	;; [unrolled: 1-line block ×6, first 2 shown]
	s_waitcnt lgkmcnt(4)
	v_mul_u32_u24_sdwa v64, v1, s6 dst_sel:DWORD dst_unused:UNUSED_PAD src0_sel:WORD_0 src1_sel:DWORD
	v_mul_u32_u24_sdwa v65, v1, s6 dst_sel:DWORD dst_unused:UNUSED_PAD src0_sel:WORD_1 src1_sel:DWORD
	v_pk_fma_f16 v1, v69, v127, v56
	v_pk_fma_f16 v10, v70, v127, v10
	v_mul_u32_u24_sdwa v11, v33, s6 dst_sel:DWORD dst_unused:UNUSED_PAD src0_sel:WORD_0 src1_sel:DWORD
	v_mul_u32_u24_sdwa v37, v33, s6 dst_sel:DWORD dst_unused:UNUSED_PAD src0_sel:WORD_1 src1_sel:DWORD
	v_mul_u32_u24_sdwa v122, v34, s6 dst_sel:DWORD dst_unused:UNUSED_PAD src0_sel:WORD_0 src1_sel:DWORD
	v_mul_u32_u24_sdwa v123, v34, s6 dst_sel:DWORD dst_unused:UNUSED_PAD src0_sel:WORD_1 src1_sel:DWORD
	v_mul_u32_u24_sdwa v16, v35, s6 dst_sel:DWORD dst_unused:UNUSED_PAD src0_sel:WORD_0 src1_sel:DWORD
	v_mul_u32_u24_sdwa v17, v35, s6 dst_sel:DWORD dst_unused:UNUSED_PAD src0_sel:WORD_1 src1_sel:DWORD
	ds_read_b128 v[32:35], v19 offset:18528
	v_pk_fma_f16 v56, v71, v118, v1
	v_pk_fma_f16 v10, v72, v118, v10
	;; [unrolled: 1-line block ×4, first 2 shown]
	s_waitcnt lgkmcnt(4)
	v_mul_u32_u24_sdwa v39, v24, s6 dst_sel:DWORD dst_unused:UNUSED_PAD src0_sel:WORD_0 src1_sel:DWORD
	v_mul_u32_u24_sdwa v71, v24, s6 dst_sel:DWORD dst_unused:UNUSED_PAD src0_sel:WORD_1 src1_sel:DWORD
	v_pk_fma_f16 v24, v75, v119, v60
	v_pk_fma_f16 v10, v76, v119, v10
	;; [unrolled: 1-line block ×6, first 2 shown]
	v_mul_u32_u24_sdwa v72, v25, s6 dst_sel:DWORD dst_unused:UNUSED_PAD src0_sel:WORD_0 src1_sel:DWORD
	v_mul_u32_u24_sdwa v73, v25, s6 dst_sel:DWORD dst_unused:UNUSED_PAD src0_sel:WORD_1 src1_sel:DWORD
	v_mul_u32_u24_sdwa v74, v26, s6 dst_sel:DWORD dst_unused:UNUSED_PAD src0_sel:WORD_0 src1_sel:DWORD
	v_mul_u32_u24_sdwa v75, v26, s6 dst_sel:DWORD dst_unused:UNUSED_PAD src0_sel:WORD_1 src1_sel:DWORD
	;; [unrolled: 2-line block ×3, first 2 shown]
	ds_read_b128 v[24:27], v19 offset:18544
	s_waitcnt lgkmcnt(1)
	v_mul_u32_u24_sdwa v19, v32, s6 dst_sel:DWORD dst_unused:UNUSED_PAD src0_sel:WORD_0 src1_sel:DWORD
	v_mul_u32_u24_sdwa v38, v32, s6 dst_sel:DWORD dst_unused:UNUSED_PAD src0_sel:WORD_1 src1_sel:DWORD
	v_pk_fma_f16 v32, v81, v14, v60
	v_pk_fma_f16 v10, v82, v14, v10
	;; [unrolled: 1-line block ×24, first 2 shown]
	v_mul_u32_u24_sdwa v66, v2, s6 dst_sel:DWORD dst_unused:UNUSED_PAD src0_sel:WORD_0 src1_sel:DWORD
	v_pk_fma_f16 v10, v101, v65, v10
	v_pk_fma_f16 v0, v102, v65, v0
	v_mul_u32_u24_sdwa v67, v2, s6 dst_sel:DWORD dst_unused:UNUSED_PAD src0_sel:WORD_1 src1_sel:DWORD
	v_pk_fma_f16 v10, v103, v66, v10
	v_pk_fma_f16 v0, v104, v66, v0
	v_mul_u32_u24_sdwa v68, v3, s6 dst_sel:DWORD dst_unused:UNUSED_PAD src0_sel:WORD_0 src1_sel:DWORD
	v_pk_fma_f16 v10, v105, v67, v10
	v_pk_fma_f16 v0, v106, v67, v0
	v_mul_u32_u24_sdwa v69, v3, s6 dst_sel:DWORD dst_unused:UNUSED_PAD src0_sel:WORD_1 src1_sel:DWORD
	v_pk_fma_f16 v10, v107, v68, v10
	v_pk_fma_f16 v0, v108, v68, v0
	;; [unrolled: 6-line block ×3, first 2 shown]
	v_pk_fma_f16 v10, v113, v124, v10
	v_pk_fma_f16 v0, v114, v124, v0
	;; [unrolled: 1-line block ×8, first 2 shown]
	ds_read2_b64 v[48:51], v115 offset1:32
	v_pk_fma_f16 v10, v30, v73, v10
	v_pk_fma_f16 v0, v31, v73, v0
	;; [unrolled: 1-line block ×10, first 2 shown]
	s_waitcnt lgkmcnt(0)
	v_pk_fma_f16 v10, v48, v19, v10
	v_pk_fma_f16 v0, v49, v19, v0
	ds_read2_b64 v[52:55], v115 offset0:64 offset1:96
	ds_read2_b64 v[1:4], v115 offset0:128 offset1:160
	;; [unrolled: 1-line block ×3, first 2 shown]
	v_mul_u32_u24_sdwa v14, v33, s6 dst_sel:DWORD dst_unused:UNUSED_PAD src0_sel:WORD_0 src1_sel:DWORD
	v_mul_u32_u24_sdwa v78, v33, s6 dst_sel:DWORD dst_unused:UNUSED_PAD src0_sel:WORD_1 src1_sel:DWORD
	v_mul_u32_u24_sdwa v79, v34, s6 dst_sel:DWORD dst_unused:UNUSED_PAD src0_sel:WORD_0 src1_sel:DWORD
	v_mul_u32_u24_sdwa v80, v34, s6 dst_sel:DWORD dst_unused:UNUSED_PAD src0_sel:WORD_1 src1_sel:DWORD
	;; [unrolled: 2-line block ×3, first 2 shown]
	ds_read2_b64 v[32:35], v116 offset1:32
	ds_read2_b64 v[6:9], v116 offset0:64 offset1:96
	v_mul_u32_u24_sdwa v15, v24, s6 dst_sel:DWORD dst_unused:UNUSED_PAD src0_sel:WORD_0 src1_sel:DWORD
	v_mul_u32_u24_sdwa v83, v24, s6 dst_sel:DWORD dst_unused:UNUSED_PAD src0_sel:WORD_1 src1_sel:DWORD
	v_mul_u32_u24_sdwa v36, v25, s6 dst_sel:DWORD dst_unused:UNUSED_PAD src0_sel:WORD_0 src1_sel:DWORD
	v_mul_u32_u24_sdwa v84, v25, s6 dst_sel:DWORD dst_unused:UNUSED_PAD src0_sel:WORD_1 src1_sel:DWORD
	;; [unrolled: 2-line block ×4, first 2 shown]
	ds_read2_b64 v[24:27], v116 offset0:128 offset1:160
	ds_read2_b64 v[60:63], v116 offset0:192 offset1:224
	s_waitcnt vmcnt(0) lgkmcnt(0)
	s_barrier
	v_pk_fma_f16 v10, v50, v38, v10
	v_pk_fma_f16 v0, v51, v38, v0
	buffer_load_dword v38, off, s[0:3], 0 offset:32 ; 4-byte Folded Reload
	buffer_load_dword v39, off, s[0:3], 0 offset:36 ; 4-byte Folded Reload
	;; [unrolled: 1-line block ×4, first 2 shown]
	v_pk_fma_f16 v10, v52, v14, v10
	v_pk_fma_f16 v0, v53, v14, v0
	;; [unrolled: 1-line block ×28, first 2 shown]
	v_mov_b32_e32 v36, v117
.LBB90_46:
	buffer_load_dword v0, off, s[0:3], 0 offset:20 ; 4-byte Folded Reload
	buffer_load_dword v2, off, s[0:3], 0 offset:24 ; 4-byte Folded Reload
	;; [unrolled: 1-line block ×3, first 2 shown]
	s_cmp_eq_u64 s[44:45], 0
	s_cselect_b64 s[6:7], -1, 0
	s_cmp_lg_u32 s9, 0
	s_cselect_b64 s[10:11], -1, 0
	s_or_b64 s[6:7], s[10:11], s[6:7]
	s_waitcnt vmcnt(2)
	v_cmp_lt_i32_e32 vcc, v0, v13
	v_cndmask_b32_e32 v0, v12, v0, vcc
	v_lshlrev_b32_e32 v0, 2, v0
	ds_bpermute_b32 v0, v0, v36
	s_waitcnt vmcnt(0)
	v_cmp_lt_i32_e32 vcc, v1, v13
	v_cndmask_b32_e32 v1, v12, v1, vcc
	v_lshlrev_b32_e32 v1, 2, v1
	v_cmp_lt_i32_e32 vcc, v2, v13
	s_waitcnt lgkmcnt(0)
	v_add_f32_e32 v0, v36, v0
	ds_bpermute_b32 v1, v1, v0
	v_cndmask_b32_e32 v2, v12, v2, vcc
	v_lshlrev_b32_e32 v2, 2, v2
	s_waitcnt lgkmcnt(0)
	v_add_f32_e32 v0, v0, v1
	ds_bpermute_b32 v1, v2, v0
	buffer_load_dword v2, off, s[0:3], 0 offset:28 ; 4-byte Folded Reload
	s_waitcnt lgkmcnt(0)
	v_add_f32_e32 v0, v0, v1
	s_waitcnt vmcnt(0)
	v_cmp_lt_i32_e32 vcc, v2, v13
	v_cndmask_b32_e32 v2, v12, v2, vcc
	v_lshlrev_b32_e32 v2, 2, v2
	ds_bpermute_b32 v1, v2, v0
	v_cmp_lt_i32_e32 vcc, v18, v13
	v_cndmask_b32_e32 v2, v12, v18, vcc
	v_lshlrev_b32_e32 v2, 2, v2
	s_and_b64 vcc, exec, s[6:7]
	s_waitcnt lgkmcnt(0)
	v_add_f32_e32 v0, v0, v1
	ds_bpermute_b32 v1, v2, v0
	s_waitcnt lgkmcnt(0)
	v_add_f32_e32 v6, v0, v1
	s_cbranch_vccnz .LBB90_48
; %bb.47:
	s_lshl_b64 s[6:7], s[28:29], 2
	s_add_u32 s6, s44, s6
	s_addc_u32 s7, s45, s7
	v_mov_b32_e32 v0, 0
	global_load_dword v0, v0, s[6:7]
	v_max_f32_e32 v1, v5, v5
	s_mov_b32 s6, 0x3fb8aa3b
	s_mov_b32 s7, 0xc2ce8ed0
	s_waitcnt vmcnt(0)
	v_max_f32_e32 v2, v0, v0
	v_max_f32_e32 v1, v1, v2
	v_sub_f32_e32 v2, v5, v1
	v_sub_f32_e32 v0, v0, v1
	v_mul_f32_e32 v3, 0x3fb8aa3b, v2
	v_mul_f32_e32 v4, 0x3fb8aa3b, v0
	v_fma_f32 v5, v2, s6, -v3
	v_rndne_f32_e32 v7, v3
	v_fma_f32 v8, v0, s6, -v4
	v_rndne_f32_e32 v9, v4
	v_fmac_f32_e32 v5, 0x32a5705f, v2
	v_sub_f32_e32 v3, v3, v7
	v_fmac_f32_e32 v8, 0x32a5705f, v0
	v_sub_f32_e32 v4, v4, v9
	v_add_f32_e32 v3, v3, v5
	v_cvt_i32_f32_e32 v7, v7
	v_add_f32_e32 v4, v4, v8
	v_exp_f32_e32 v3, v3
	v_cvt_i32_f32_e32 v9, v9
	v_exp_f32_e32 v4, v4
	v_cmp_ngt_f32_e32 vcc, s7, v2
	v_ldexp_f32 v3, v3, v7
	s_mov_b32 s6, 0x42b17218
	v_ldexp_f32 v4, v4, v9
	v_cndmask_b32_e32 v3, 0, v3, vcc
	v_cmp_ngt_f32_e32 vcc, s7, v0
	v_mov_b32_e32 v5, 0x7f800000
	v_cndmask_b32_e32 v4, 0, v4, vcc
	v_cmp_nlt_f32_e32 vcc, s6, v2
	v_cndmask_b32_e32 v2, v5, v3, vcc
	v_cvt_f16_f32_e32 v3, v2
	v_cmp_nlt_f32_e32 vcc, s6, v0
	v_cndmask_b32_e32 v0, v5, v4, vcc
	v_fmac_f32_e32 v0, v6, v2
	v_mov_b32_e32 v6, v0
	v_mul_u32_u24_e32 v0, 0x10001, v3
	v_pk_mul_f16 v41, v41, v0
	v_pk_mul_f16 v42, v42, v0
	v_mov_b32_e32 v5, v1
.LBB90_48:
	v_cmp_gt_i32_e32 vcc, s26, v39
	s_and_saveexec_b64 s[6:7], vcc
	s_cbranch_execz .LBB90_51
; %bb.49:
	v_div_scale_f32 v0, s[6:7], v6, v6, 1.0
	v_div_scale_f32 v1, vcc, 1.0, v6, 1.0
	s_mul_i32 s33, s33, s26
	v_add_u32_e32 v7, s33, v39
	s_load_dword s4, s[4:5], 0xd4
	v_mul_lo_u32 v7, v7, s27
	v_mov_b32_e32 v2, 0
	v_mov_b32_e32 v4, s49
	v_cvt_f32_f16_sdwa v10, v41 dst_sel:DWORD dst_unused:UNUSED_PAD src0_sel:WORD_1
	v_cvt_f32_f16_e32 v11, v42
	v_cvt_f32_f16_sdwa v12, v42 dst_sel:DWORD dst_unused:UNUSED_PAD src0_sel:WORD_1
	s_waitcnt lgkmcnt(0)
	s_cmp_lg_u32 s4, 1
	v_rcp_f32_e32 v3, v0
	v_fma_f32 v8, -v0, v3, 1.0
	v_fmac_f32_e32 v3, v8, v3
	v_mul_f32_e32 v8, v1, v3
	v_fma_f32 v9, -v0, v8, v1
	v_fmac_f32_e32 v8, v9, v3
	v_fma_f32 v0, -v0, v8, v1
	v_div_fmas_f32 v3, v0, v3, v8
	v_add_u32_e32 v0, s28, v7
	v_mul_lo_u32 v0, s4, v0
	v_cvt_f32_f16_e32 v9, v41
	v_cmp_eq_u32_e32 vcc, 0, v38
	v_add_u32_e32 v0, s9, v0
	v_lshl_add_u32 v1, v0, 7, v113
	v_lshlrev_b64 v[1:2], 2, v[1:2]
	v_add_co_u32_e64 v7, s[4:5], s48, v1
	v_addc_co_u32_e64 v8, s[4:5], v4, v2, s[4:5]
	s_cselect_b64 s[4:5], -1, 0
	v_div_fixup_f32 v1, v3, v6, 1.0
	v_cndmask_b32_e64 v4, v1, 1.0, s[4:5]
	s_and_b64 s[4:5], vcc, s[4:5]
	v_mul_f32_e32 v1, v4, v9
	v_mul_f32_e32 v2, v4, v10
	;; [unrolled: 1-line block ×4, first 2 shown]
	global_store_dwordx4 v[7:8], v[1:4], off
	s_and_b64 exec, exec, s[4:5]
	s_cbranch_execz .LBB90_51
; %bb.50:
	v_ashrrev_i32_e32 v1, 31, v0
	v_lshlrev_b64 v[0:1], 3, v[0:1]
	v_mov_b32_e32 v2, s51
	v_add_co_u32_e32 v0, vcc, s50, v0
	v_addc_co_u32_e32 v1, vcc, v2, v1, vcc
	global_store_dwordx2 v[0:1], v[5:6], off
.LBB90_51:
	s_endpgm
	.section	.rodata,"a",@progbits
	.p2align	6, 0x0
	.amdhsa_kernel _ZL15flash_attn_tileILi128ELi128ELi4ELi1ELb1EEvPKcS1_S1_S1_S1_PKiPfP15HIP_vector_typeIfLj2EEffffjfiS5_IjLj3EEiiiiiiiiiiiliiliiiiil
		.amdhsa_group_segment_fixed_size 18944
		.amdhsa_private_segment_fixed_size 64
		.amdhsa_kernarg_size 464
		.amdhsa_user_sgpr_count 8
		.amdhsa_user_sgpr_private_segment_buffer 1
		.amdhsa_user_sgpr_dispatch_ptr 0
		.amdhsa_user_sgpr_queue_ptr 0
		.amdhsa_user_sgpr_kernarg_segment_ptr 1
		.amdhsa_user_sgpr_dispatch_id 0
		.amdhsa_user_sgpr_flat_scratch_init 1
		.amdhsa_user_sgpr_private_segment_size 0
		.amdhsa_uses_dynamic_stack 0
		.amdhsa_system_sgpr_private_segment_wavefront_offset 1
		.amdhsa_system_sgpr_workgroup_id_x 1
		.amdhsa_system_sgpr_workgroup_id_y 1
		.amdhsa_system_sgpr_workgroup_id_z 1
		.amdhsa_system_sgpr_workgroup_info 0
		.amdhsa_system_vgpr_workitem_id 1
		.amdhsa_next_free_vgpr 128
		.amdhsa_next_free_sgpr 96
		.amdhsa_reserve_vcc 1
		.amdhsa_reserve_flat_scratch 1
		.amdhsa_float_round_mode_32 0
		.amdhsa_float_round_mode_16_64 0
		.amdhsa_float_denorm_mode_32 3
		.amdhsa_float_denorm_mode_16_64 3
		.amdhsa_dx10_clamp 1
		.amdhsa_ieee_mode 1
		.amdhsa_fp16_overflow 0
		.amdhsa_exception_fp_ieee_invalid_op 0
		.amdhsa_exception_fp_denorm_src 0
		.amdhsa_exception_fp_ieee_div_zero 0
		.amdhsa_exception_fp_ieee_overflow 0
		.amdhsa_exception_fp_ieee_underflow 0
		.amdhsa_exception_fp_ieee_inexact 0
		.amdhsa_exception_int_div_zero 0
	.end_amdhsa_kernel
	.section	.text._ZL15flash_attn_tileILi128ELi128ELi4ELi1ELb1EEvPKcS1_S1_S1_S1_PKiPfP15HIP_vector_typeIfLj2EEffffjfiS5_IjLj3EEiiiiiiiiiiiliiliiiiil,"axG",@progbits,_ZL15flash_attn_tileILi128ELi128ELi4ELi1ELb1EEvPKcS1_S1_S1_S1_PKiPfP15HIP_vector_typeIfLj2EEffffjfiS5_IjLj3EEiiiiiiiiiiiliiliiiiil,comdat
.Lfunc_end90:
	.size	_ZL15flash_attn_tileILi128ELi128ELi4ELi1ELb1EEvPKcS1_S1_S1_S1_PKiPfP15HIP_vector_typeIfLj2EEffffjfiS5_IjLj3EEiiiiiiiiiiiliiliiiiil, .Lfunc_end90-_ZL15flash_attn_tileILi128ELi128ELi4ELi1ELb1EEvPKcS1_S1_S1_S1_PKiPfP15HIP_vector_typeIfLj2EEffffjfiS5_IjLj3EEiiiiiiiiiiiliiliiiiil
                                        ; -- End function
	.set _ZL15flash_attn_tileILi128ELi128ELi4ELi1ELb1EEvPKcS1_S1_S1_S1_PKiPfP15HIP_vector_typeIfLj2EEffffjfiS5_IjLj3EEiiiiiiiiiiiliiliiiiil.num_vgpr, 128
	.set _ZL15flash_attn_tileILi128ELi128ELi4ELi1ELb1EEvPKcS1_S1_S1_S1_PKiPfP15HIP_vector_typeIfLj2EEffffjfiS5_IjLj3EEiiiiiiiiiiiliiliiiiil.num_agpr, 0
	.set _ZL15flash_attn_tileILi128ELi128ELi4ELi1ELb1EEvPKcS1_S1_S1_S1_PKiPfP15HIP_vector_typeIfLj2EEffffjfiS5_IjLj3EEiiiiiiiiiiiliiliiiiil.numbered_sgpr, 56
	.set _ZL15flash_attn_tileILi128ELi128ELi4ELi1ELb1EEvPKcS1_S1_S1_S1_PKiPfP15HIP_vector_typeIfLj2EEffffjfiS5_IjLj3EEiiiiiiiiiiiliiliiiiil.num_named_barrier, 0
	.set _ZL15flash_attn_tileILi128ELi128ELi4ELi1ELb1EEvPKcS1_S1_S1_S1_PKiPfP15HIP_vector_typeIfLj2EEffffjfiS5_IjLj3EEiiiiiiiiiiiliiliiiiil.private_seg_size, 64
	.set _ZL15flash_attn_tileILi128ELi128ELi4ELi1ELb1EEvPKcS1_S1_S1_S1_PKiPfP15HIP_vector_typeIfLj2EEffffjfiS5_IjLj3EEiiiiiiiiiiiliiliiiiil.uses_vcc, 1
	.set _ZL15flash_attn_tileILi128ELi128ELi4ELi1ELb1EEvPKcS1_S1_S1_S1_PKiPfP15HIP_vector_typeIfLj2EEffffjfiS5_IjLj3EEiiiiiiiiiiiliiliiiiil.uses_flat_scratch, 1
	.set _ZL15flash_attn_tileILi128ELi128ELi4ELi1ELb1EEvPKcS1_S1_S1_S1_PKiPfP15HIP_vector_typeIfLj2EEffffjfiS5_IjLj3EEiiiiiiiiiiiliiliiiiil.has_dyn_sized_stack, 0
	.set _ZL15flash_attn_tileILi128ELi128ELi4ELi1ELb1EEvPKcS1_S1_S1_S1_PKiPfP15HIP_vector_typeIfLj2EEffffjfiS5_IjLj3EEiiiiiiiiiiiliiliiiiil.has_recursion, 0
	.set _ZL15flash_attn_tileILi128ELi128ELi4ELi1ELb1EEvPKcS1_S1_S1_S1_PKiPfP15HIP_vector_typeIfLj2EEffffjfiS5_IjLj3EEiiiiiiiiiiiliiliiiiil.has_indirect_call, 0
	.section	.AMDGPU.csdata,"",@progbits
; Kernel info:
; codeLenInByte = 15724
; TotalNumSgprs: 62
; NumVgprs: 128
; ScratchSize: 64
; MemoryBound: 0
; FloatMode: 240
; IeeeMode: 1
; LDSByteSize: 18944 bytes/workgroup (compile time only)
; SGPRBlocks: 12
; VGPRBlocks: 31
; NumSGPRsForWavesPerEU: 102
; NumVGPRsForWavesPerEU: 128
; Occupancy: 2
; WaveLimiterHint : 1
; COMPUTE_PGM_RSRC2:SCRATCH_EN: 1
; COMPUTE_PGM_RSRC2:USER_SGPR: 8
; COMPUTE_PGM_RSRC2:TRAP_HANDLER: 0
; COMPUTE_PGM_RSRC2:TGID_X_EN: 1
; COMPUTE_PGM_RSRC2:TGID_Y_EN: 1
; COMPUTE_PGM_RSRC2:TGID_Z_EN: 1
; COMPUTE_PGM_RSRC2:TIDIG_COMP_CNT: 1
	.section	.text._ZL15flash_attn_tileILi128ELi128ELi2ELi1ELb1EEvPKcS1_S1_S1_S1_PKiPfP15HIP_vector_typeIfLj2EEffffjfiS5_IjLj3EEiiiiiiiiiiiliiliiiiil,"axG",@progbits,_ZL15flash_attn_tileILi128ELi128ELi2ELi1ELb1EEvPKcS1_S1_S1_S1_PKiPfP15HIP_vector_typeIfLj2EEffffjfiS5_IjLj3EEiiiiiiiiiiiliiliiiiil,comdat
	.globl	_ZL15flash_attn_tileILi128ELi128ELi2ELi1ELb1EEvPKcS1_S1_S1_S1_PKiPfP15HIP_vector_typeIfLj2EEffffjfiS5_IjLj3EEiiiiiiiiiiiliiliiiiil ; -- Begin function _ZL15flash_attn_tileILi128ELi128ELi2ELi1ELb1EEvPKcS1_S1_S1_S1_PKiPfP15HIP_vector_typeIfLj2EEffffjfiS5_IjLj3EEiiiiiiiiiiiliiliiiiil
	.p2align	8
	.type	_ZL15flash_attn_tileILi128ELi128ELi2ELi1ELb1EEvPKcS1_S1_S1_S1_PKiPfP15HIP_vector_typeIfLj2EEffffjfiS5_IjLj3EEiiiiiiiiiiiliiliiiiil,@function
_ZL15flash_attn_tileILi128ELi128ELi2ELi1ELb1EEvPKcS1_S1_S1_S1_PKiPfP15HIP_vector_typeIfLj2EEffffjfiS5_IjLj3EEiiiiiiiiiiiliiliiiiil: ; @_ZL15flash_attn_tileILi128ELi128ELi2ELi1ELb1EEvPKcS1_S1_S1_S1_PKiPfP15HIP_vector_typeIfLj2EEffffjfiS5_IjLj3EEiiiiiiiiiiiliiliiiiil
; %bb.0:
	s_load_dwordx4 s[28:31], s[4:5], 0x5c
	s_load_dwordx2 s[42:43], s[4:5], 0x80
	s_add_u32 flat_scratch_lo, s6, s11
	s_addc_u32 flat_scratch_hi, s7, 0
	s_add_u32 s0, s0, s11
	s_waitcnt lgkmcnt(0)
	v_cvt_f32_u32_e32 v2, s31
	s_addc_u32 s1, s1, 0
	s_sub_i32 s6, 0, s31
	s_load_dwordx2 s[44:45], s[4:5], 0xb8
	v_rcp_iflag_f32_e32 v2, v2
	s_mov_b64 s[40:41], 0
	v_mul_f32_e32 v2, 0x4f7ffffe, v2
	v_cvt_u32_f32_e32 v2, v2
	v_readfirstlane_b32 s7, v2
	s_mul_i32 s6, s6, s7
	s_mul_hi_u32 s6, s7, s6
	s_add_i32 s7, s7, s6
	s_mul_hi_u32 s6, s10, s7
	s_mul_i32 s7, s6, s31
	s_sub_i32 s7, s10, s7
	s_add_i32 s11, s6, 1
	s_sub_i32 s12, s7, s31
	s_cmp_ge_u32 s7, s31
	s_cselect_b32 s6, s11, s6
	s_cselect_b32 s7, s12, s7
	s_add_i32 s11, s6, 1
	s_cmp_ge_u32 s7, s31
	s_cselect_b32 s33, s11, s6
	s_abs_i32 s6, s43
	v_cvt_f32_u32_e32 v2, s6
	s_mul_i32 s12, s33, s31
	s_sub_i32 s13, 0, s6
	s_sub_i32 s34, s10, s12
	v_rcp_iflag_f32_e32 v2, v2
	s_abs_i32 s11, s31
	s_xor_b32 s7, s31, s43
	s_ashr_i32 s7, s7, 31
	v_mul_f32_e32 v2, 0x4f7ffffe, v2
	v_cvt_u32_f32_e32 v2, v2
	v_readfirstlane_b32 s10, v2
	s_mul_i32 s13, s13, s10
	s_mul_hi_u32 s12, s10, s13
	s_add_i32 s10, s10, s12
	s_mul_hi_u32 s10, s11, s10
	s_mul_i32 s12, s10, s6
	s_sub_i32 s11, s11, s12
	s_add_i32 s13, s10, 1
	s_sub_i32 s12, s11, s6
	s_cmp_ge_u32 s11, s6
	s_cselect_b32 s10, s13, s10
	s_cselect_b32 s11, s12, s11
	s_add_i32 s12, s10, 1
	s_cmp_ge_u32 s11, s6
	s_cselect_b32 s6, s12, s10
	s_xor_b32 s6, s6, s7
	s_sub_i32 s46, s6, s7
	s_abs_i32 s43, s46
	v_cvt_f32_u32_e32 v2, s43
	s_load_dwordx16 s[12:27], s[4:5], 0x0
	s_sub_i32 s6, 0, s43
	v_rcp_iflag_f32_e32 v2, v2
	s_waitcnt lgkmcnt(0)
	s_cmp_eq_u64 s[18:19], 0
	v_mul_f32_e32 v2, 0x4f7ffffe, v2
	v_cvt_u32_f32_e32 v2, v2
	v_readfirstlane_b32 s35, v2
	s_mul_i32 s6, s6, s35
	s_mul_hi_u32 s6, s35, s6
	s_cbranch_scc1 .LBB91_2
; %bb.1:
	s_abs_i32 s7, s44
	v_cvt_f32_u32_e32 v2, s7
	s_sub_i32 s38, 0, s7
	s_abs_i32 s37, s33
	s_ashr_i32 s36, s33, 31
	v_rcp_iflag_f32_e32 v2, v2
	s_load_dwordx2 s[10:11], s[4:5], 0xc8
	v_mul_f32_e32 v2, 0x4f7ffffe, v2
	v_cvt_u32_f32_e32 v2, v2
	v_readfirstlane_b32 s39, v2
	s_mul_i32 s38, s38, s39
	s_mul_hi_u32 s38, s39, s38
	s_add_i32 s39, s39, s38
	s_mul_hi_u32 s38, s37, s39
	s_mul_i32 s38, s38, s7
	s_sub_i32 s37, s37, s38
	s_sub_i32 s38, s37, s7
	s_cmp_ge_u32 s37, s7
	s_cselect_b32 s37, s38, s37
	s_sub_i32 s38, s37, s7
	s_cmp_ge_u32 s37, s7
	s_cselect_b32 s7, s38, s37
	s_xor_b32 s7, s7, s36
	s_sub_i32 s7, s7, s36
	s_ashr_i32 s36, s7, 31
	s_waitcnt lgkmcnt(0)
	s_mul_hi_u32 s37, s10, s7
	s_mul_i32 s36, s10, s36
	s_mul_i32 s11, s11, s7
	s_add_i32 s36, s37, s36
	s_add_i32 s36, s36, s11
	s_mul_i32 s7, s10, s7
	s_add_u32 s40, s18, s7
	s_addc_u32 s41, s19, s36
.LBB91_2:
	s_load_dwordx4 s[36:39], s[4:5], 0x40
	s_load_dwordx2 s[18:19], s[4:5], 0x50
	s_add_i32 s35, s35, s6
	s_abs_i32 s44, s34
	v_mov_b32_e32 v30, 1.0
	s_waitcnt lgkmcnt(0)
	v_cmp_le_f32_e64 s[6:7], s37, 0
	s_and_b64 vcc, exec, s[6:7]
	s_cbranch_vccnz .LBB91_4
; %bb.3:
	v_mov_b32_e32 v2, s18
	v_sub_co_u32_e32 v2, vcc, s34, v2
	v_mov_b32_e32 v3, s39
	v_mov_b32_e32 v4, s38
	s_add_i32 s6, s34, 1
	v_lshlrev_b32_e32 v2, 1, v2
	v_cndmask_b32_e32 v3, v3, v4, vcc
	v_or_b32_e32 v2, 1, v2
	v_mov_b32_e32 v4, s6
	v_cndmask_b32_e32 v2, v2, v4, vcc
	v_cvt_f32_i32_e32 v2, v2
	v_cmp_neq_f32_e32 vcc, 1.0, v3
	s_mov_b32 s6, 0x3f2aaaab
	s_movk_i32 s10, 0x204
	v_cndmask_b32_e32 v4, 1.0, v2, vcc
	v_cmp_neq_f32_e32 vcc, 0, v4
	v_cndmask_b32_e32 v5, 1.0, v3, vcc
	v_frexp_mant_f32_e64 v2, |v5|
	v_cmp_gt_f32_e32 vcc, s6, v2
	v_cndmask_b32_e64 v3, 1.0, 2.0, vcc
	v_mul_f32_e32 v2, v2, v3
	v_add_f32_e32 v3, 1.0, v2
	v_rcp_f32_e32 v6, v3
	v_add_f32_e32 v7, -1.0, v2
	v_add_f32_e32 v8, -1.0, v3
	v_sub_f32_e32 v2, v2, v8
	v_mul_f32_e32 v8, v7, v6
	v_mul_f32_e32 v9, v3, v8
	v_fma_f32 v3, v8, v3, -v9
	v_fmac_f32_e32 v3, v8, v2
	v_add_f32_e32 v2, v9, v3
	v_sub_f32_e32 v10, v7, v2
	v_sub_f32_e32 v9, v2, v9
	;; [unrolled: 1-line block ×5, first 2 shown]
	v_add_f32_e32 v2, v3, v2
	v_add_f32_e32 v2, v10, v2
	v_mul_f32_e32 v2, v6, v2
	v_add_f32_e32 v6, v8, v2
	v_sub_f32_e32 v3, v6, v8
	v_sub_f32_e32 v7, v2, v3
	v_mul_f32_e32 v2, v6, v6
	v_fma_f32 v3, v6, v6, -v2
	v_add_f32_e32 v8, v7, v7
	v_fmac_f32_e32 v3, v6, v8
	v_add_f32_e32 v8, v2, v3
	v_mov_b32_e32 v9, 0x3e91f4c4
	v_sub_f32_e32 v2, v8, v2
	v_fmac_f32_e32 v9, 0x3e76c4e1, v8
	v_mov_b32_e32 v10, 0x3ecccdef
	v_sub_f32_e32 v2, v3, v2
	v_mul_f32_e32 v3, v6, v8
	v_fmac_f32_e32 v10, v8, v9
	v_fma_f32 v9, v8, v6, -v3
	v_fmac_f32_e32 v9, v8, v7
	v_fmac_f32_e32 v9, v2, v6
	v_add_f32_e32 v11, v3, v9
	v_sub_f32_e32 v3, v11, v3
	v_sub_f32_e32 v9, v9, v3
	v_mul_f32_e32 v3, v8, v10
	v_fma_f32 v8, v8, v10, -v3
	v_fmac_f32_e32 v8, v2, v10
	v_add_f32_e32 v10, v3, v8
	v_sub_f32_e32 v2, v10, v3
	v_sub_f32_e32 v8, v8, v2
	v_cvt_f64_f32_e64 v[2:3], |v5|
	v_add_f32_e32 v12, 0x3f2aaaaa, v10
	v_add_f32_e32 v13, 0xbf2aaaaa, v12
	;; [unrolled: 1-line block ×3, first 2 shown]
	v_frexp_exp_i32_f64_e32 v2, v[2:3]
	v_sub_f32_e32 v10, v10, v13
	v_add_f32_e32 v3, v8, v10
	v_add_f32_e32 v8, v12, v3
	v_sub_f32_e32 v10, v12, v8
	v_add_f32_e32 v3, v3, v10
	v_mul_f32_e32 v10, v11, v8
	v_fma_f32 v12, v11, v8, -v10
	v_subbrev_co_u32_e32 v2, vcc, 0, v2, vcc
	v_cvt_f32_i32_e32 v2, v2
	v_fmac_f32_e32 v12, v11, v3
	s_mov_b32 s6, 0x3f317218
	v_fmac_f32_e32 v12, v9, v8
	v_mul_f32_e32 v3, 0x3f317218, v2
	v_fma_f32 v8, v2, s6, -v3
	v_fmac_f32_e32 v8, 0xb102e308, v2
	v_ldexp_f32 v2, v7, 1
	v_add_f32_e32 v7, v3, v8
	v_sub_f32_e32 v3, v7, v3
	v_ldexp_f32 v6, v6, 1
	v_sub_f32_e32 v3, v8, v3
	v_add_f32_e32 v8, v10, v12
	v_sub_f32_e32 v9, v8, v10
	v_add_f32_e32 v10, v6, v8
	v_sub_f32_e32 v9, v12, v9
	v_sub_f32_e32 v6, v10, v6
	;; [unrolled: 1-line block ×3, first 2 shown]
	v_add_f32_e32 v2, v2, v9
	v_add_f32_e32 v2, v2, v6
	;; [unrolled: 1-line block ×3, first 2 shown]
	v_sub_f32_e32 v8, v6, v10
	v_sub_f32_e32 v2, v2, v8
	v_add_f32_e32 v8, v7, v6
	v_sub_f32_e32 v9, v8, v7
	v_sub_f32_e32 v10, v8, v9
	;; [unrolled: 1-line block ×4, first 2 shown]
	v_add_f32_e32 v6, v6, v7
	v_add_f32_e32 v7, v3, v2
	v_sub_f32_e32 v9, v7, v3
	v_sub_f32_e32 v10, v7, v9
	;; [unrolled: 1-line block ×4, first 2 shown]
	v_add_f32_e32 v2, v2, v3
	v_add_f32_e32 v3, v7, v6
	;; [unrolled: 1-line block ×3, first 2 shown]
	v_sub_f32_e32 v7, v6, v8
	v_sub_f32_e32 v3, v3, v7
	v_add_f32_e32 v2, v2, v3
	v_add_f32_e32 v3, v6, v2
	v_sub_f32_e32 v6, v3, v6
	v_sub_f32_e32 v2, v2, v6
	v_mul_f32_e32 v6, v4, v3
	v_fma_f32 v3, v4, v3, -v6
	v_fmac_f32_e32 v3, v4, v2
	v_add_f32_e32 v2, v6, v3
	v_cmp_class_f32_e64 vcc, v6, s10
	v_sub_f32_e32 v7, v2, v6
	v_cndmask_b32_e32 v2, v2, v6, vcc
	s_mov_b32 s7, 0x42b17218
	v_mov_b32_e32 v6, 0x37000000
	v_cmp_eq_f32_e32 vcc, s7, v2
	v_cndmask_b32_e32 v6, 0, v6, vcc
	v_sub_f32_e32 v3, v3, v7
	v_sub_f32_e32 v7, v2, v6
	s_mov_b32 s11, 0x3fb8aa3b
	v_mul_f32_e32 v8, 0x3fb8aa3b, v7
	v_fma_f32 v9, v7, s11, -v8
	v_rndne_f32_e32 v10, v8
	v_fmac_f32_e32 v9, 0x32a5705f, v7
	v_sub_f32_e32 v8, v8, v10
	v_add_f32_e32 v8, v8, v9
	v_exp_f32_e32 v8, v8
	v_cvt_i32_f32_e32 v9, v10
	s_mov_b32 s6, 0x7f800000
	v_cmp_neq_f32_e64 vcc, |v2|, s6
	s_mov_b32 s6, 0xc2ce8ed0
	v_cndmask_b32_e32 v2, 0, v3, vcc
	v_ldexp_f32 v3, v8, v9
	v_cmp_ngt_f32_e32 vcc, s6, v7
	v_add_f32_e32 v2, v6, v2
	v_cndmask_b32_e32 v3, 0, v3, vcc
	v_mov_b32_e32 v6, 0x7f800000
	v_cmp_nlt_f32_e32 vcc, s7, v7
	v_cndmask_b32_e32 v3, v6, v3, vcc
	v_fma_f32 v2, v3, v2, v3
	v_cmp_class_f32_e64 vcc, v3, s10
	v_cndmask_b32_e32 v2, v2, v3, vcc
	v_trunc_f32_e32 v3, v4
	v_cmp_eq_f32_e32 vcc, v3, v4
	v_mul_f32_e32 v3, 0.5, v4
	v_trunc_f32_e32 v8, v3
	v_cmp_neq_f32_e64 s[6:7], v8, v3
	s_and_b64 s[6:7], vcc, s[6:7]
	v_cndmask_b32_e64 v3, 1.0, v5, s[6:7]
	s_brev_b32 s18, -2
	v_mov_b32_e32 v7, 0x7fc00000
	v_bfi_b32 v2, s18, v2, v3
	v_cndmask_b32_e32 v3, v7, v2, vcc
	v_cmp_gt_f32_e32 vcc, 0, v5
	v_cndmask_b32_e32 v2, v2, v3, vcc
	v_cmp_class_f32_e64 s[38:39], v5, s10
	v_cmp_eq_f32_e32 vcc, 0, v5
	v_cmp_gt_f32_e64 s[10:11], 0, v4
	s_xor_b64 s[10:11], s[10:11], vcc
	v_cndmask_b32_e64 v3, v6, 0, s[10:11]
	v_cndmask_b32_e64 v4, 0, v5, s[6:7]
	v_bfi_b32 v3, s18, v3, v4
	s_or_b64 vcc, vcc, s[38:39]
	v_cndmask_b32_e32 v2, v2, v3, vcc
	v_cmp_o_f32_e32 vcc, v5, v5
	v_cndmask_b32_e32 v30, v7, v2, vcc
.LBB91_4:
	v_lshlrev_b32_e32 v3, 7, v1
	v_and_b32_e32 v3, 0x180, v3
	v_lshlrev_b32_e32 v22, 2, v0
	s_lshl_b32 s6, s8, 1
	v_lshrrev_b32_e32 v2, 2, v1
	v_add_u32_e32 v4, v3, v22
	s_movk_i32 s7, 0x80
	s_mul_hi_u32 s10, s44, s35
	v_cmp_gt_u32_e32 vcc, s7, v4
	v_and_b32_e32 v25, 3, v1
	v_lshlrev_b32_e32 v24, 3, v0
	v_add_u32_e32 v23, s6, v2
	s_and_saveexec_b64 s[6:7], vcc
	s_cbranch_execz .LBB91_6
; %bb.5:
	s_load_dwordx4 s[48:51], s[4:5], 0x70
	v_mul_hi_u32 v4, s28, v23
	v_lshlrev_b32_e32 v3, 2, v3
	v_add_u32_e32 v2, v2, v25
	v_lshl_add_u32 v7, v2, 8, v24
	v_add_u32_e32 v4, v23, v4
	s_waitcnt lgkmcnt(0)
	s_mul_i32 s11, s33, s50
	s_ashr_i32 s35, s11, 31
	v_lshrrev_b32_e32 v4, s29, v4
	s_mul_i32 s18, s34, s49
	s_add_u32 s11, s12, s11
	v_mul_lo_u32 v4, v4, s30
	s_addc_u32 s12, s13, s35
	s_ashr_i32 s13, s18, 31
	s_add_u32 s11, s11, s18
	s_addc_u32 s18, s12, s13
	s_ashr_i32 s49, s48, 31
	s_lshr_b64 s[12:13], s[48:49], 2
	v_sub_u32_e32 v6, v23, v4
	v_mad_u64_u32 v[4:5], s[12:13], s12, v6, 0
	s_lshr_b32 s12, s49, 2
	v_mad_u64_u32 v[5:6], s[12:13], s12, v6, v[5:6]
	v_mov_b32_e32 v6, s18
	v_lshlrev_b64 v[4:5], 2, v[4:5]
	v_add_co_u32_e32 v4, vcc, s11, v4
	v_addc_co_u32_e32 v5, vcc, v6, v5, vcc
	v_add_co_u32_e32 v3, vcc, v4, v3
	v_addc_co_u32_e32 v4, vcc, 0, v5, vcc
	v_lshlrev_b32_e32 v5, 2, v22
	v_add_co_u32_e32 v3, vcc, v3, v5
	v_addc_co_u32_e32 v4, vcc, 0, v4, vcc
	global_load_dwordx4 v[3:6], v[3:4], off
	s_waitcnt vmcnt(0)
	v_fma_mixlo_f16 v2, s36, v3, 0
	v_fma_mixlo_f16 v3, s36, v4, 0
	;; [unrolled: 1-line block ×4, first 2 shown]
	v_lshlrev_b32_e32 v3, 16, v3
	v_and_b32_e32 v2, 0xffff, v2
	v_lshlrev_b32_e32 v5, 16, v5
	v_and_b32_e32 v4, 0xffff, v4
	v_or_b32_e32 v2, v3, v2
	v_or3_b32 v3, v5, v4, 0
	v_or3_b32 v2, 0, 0, v2
	ds_write_b64 v7, v[2:3] offset:18944
.LBB91_6:
	s_or_b64 exec, exec, s[6:7]
	s_ashr_i32 s35, s34, 31
	s_ashr_i32 s6, s46, 31
	s_cmp_eq_u64 s[22:23], 0
	s_waitcnt lgkmcnt(0)
	s_barrier
	s_cbranch_scc1 .LBB91_8
; %bb.7:
	s_load_dword s7, s[4:5], 0xd0
	s_mov_b32 s13, 0
	s_waitcnt lgkmcnt(0)
	s_mul_i32 s7, s7, s33
	s_add_i32 s12, s7, s8
	s_lshl_b64 s[12:13], s[12:13], 2
	s_add_u32 s12, s22, s12
	s_addc_u32 s13, s23, s13
	s_load_dword s42, s[12:13], 0x0
.LBB91_8:
	s_nop 0
	s_load_dwordx2 s[12:13], s[4:5], 0x8c
	s_load_dwordx4 s[36:39], s[4:5], 0x98
	s_load_dwordx2 s[46:47], s[4:5], 0xa8
	s_ashr_i32 s7, s33, 31
	s_ashr_i32 s22, s45, 1
	s_waitcnt lgkmcnt(0)
	s_ashr_i32 s23, s12, 2
	s_mul_hi_u32 s11, s36, s33
	s_mul_i32 s12, s36, s7
	s_add_i32 s11, s11, s12
	s_mul_i32 s12, s37, s33
	s_ashr_i32 s8, s38, 2
	s_add_i32 s11, s11, s12
	s_mul_i32 s12, s36, s33
	s_add_u32 s12, s14, s12
	s_mul_i32 s14, s10, s43
	s_addc_u32 s11, s15, s11
	s_sub_i32 s14, s44, s14
	s_xor_b32 s6, s35, s6
	s_add_i32 s15, s10, 1
	s_sub_i32 s18, s14, s43
	s_cmp_ge_u32 s14, s43
	s_cselect_b32 s10, s15, s10
	s_cselect_b32 s14, s18, s14
	s_add_i32 s15, s10, 1
	s_cmp_ge_u32 s14, s43
	s_cselect_b32 s10, s15, s10
	s_xor_b32 s10, s10, s6
	s_sub_i32 s6, s10, s6
	s_mul_i32 s10, s6, s13
	s_ashr_i32 s13, s10, 31
	s_add_u32 s36, s12, s10
	s_mul_hi_u32 s10, s46, s33
	s_mul_i32 s7, s46, s7
	s_addc_u32 s37, s11, s13
	s_add_i32 s7, s10, s7
	s_mul_i32 s10, s47, s33
	s_add_i32 s7, s7, s10
	s_mul_i32 s10, s46, s33
	s_add_u32 s10, s16, s10
	s_mul_i32 s6, s6, s39
	s_addc_u32 s7, s17, s7
	s_ashr_i32 s11, s6, 31
	s_add_u32 s16, s10, s6
	s_addc_u32 s17, s7, s11
	s_lshl_b32 s18, s9, 7
	s_add_i32 s38, s42, 0xffffff80
	s_cmp_ge_i32 s18, s38
	v_lshlrev_b32_e32 v26, 2, v1
	v_lshrrev_b32_e32 v36, 3, v0
	v_and_b32_e32 v35, 28, v22
	v_lshlrev_b32_e32 v31, 5, v1
	v_lshlrev_b32_e32 v34, 6, v1
	v_and_b32_e32 v32, 3, v0
	v_lshrrev_b32_e32 v28, 4, v0
	v_and_b32_e32 v29, 60, v22
	v_mbcnt_lo_u32_b32 v33, -1, 0
	s_cbranch_scc1 .LBB91_21
; %bb.9:
	v_mul_hi_u32 v6, s28, v23
	v_add_u32_e32 v4, v36, v26
	v_mul_lo_u32 v3, s23, v4
	v_lshlrev_b32_e32 v5, 2, v35
	v_add_u32_e32 v6, v23, v6
	v_lshrrev_b32_e32 v6, s29, v6
	v_mul_lo_u32 v6, v6, s30
	s_movk_i32 s6, 0x90
	v_mad_u32_u24 v37, v4, s6, v5
	s_lshl_b32 s6, s23, 5
	v_add_u32_e32 v8, s6, v3
	v_and_b32_e32 v7, 0x60, v31
	v_add_u32_e32 v10, s6, v8
	v_add_u32_e32 v5, v7, v0
	v_sub_u32_e32 v6, v23, v6
	v_add_u32_e32 v12, s6, v10
	v_mul_u32_u24_e32 v41, 0x90, v5
	v_mad_u64_u32 v[5:6], s[6:7], v6, s22, v[5:6]
	s_movk_i32 s12, 0xfc
	v_and_or_b32 v6, v1, s12, v32
	v_mov_b32_e32 v15, 0x4c00
	v_and_b32_e32 v14, 0x3f00, v34
	v_lshl_or_b32 v44, v6, 2, v15
	v_lshl_add_u32 v15, v1, 1, v28
	v_add_u32_e32 v42, 0x4a00, v14
	v_add_u32_e32 v6, 0x4800, v14
	v_mul_lo_u32 v14, s8, v15
	s_cmp_lg_u64 s[40:41], 0
	s_cselect_b64 s[10:11], -1, 0
	s_lshl_b32 s12, s8, 4
	v_add_u32_e32 v16, s12, v14
	v_lshl_or_b32 v7, v7, 1, v6
	v_add_u32_e32 v18, s12, v16
	v_lshl_add_u32 v45, v0, 1, v7
	v_lshlrev_b32_e32 v7, 2, v29
	v_add_u32_e32 v20, s12, v18
	v_ashrrev_i32_e32 v4, 31, v3
	v_ashrrev_i32_e32 v9, 31, v8
	;; [unrolled: 1-line block ×4, first 2 shown]
	v_lshl_or_b32 v46, v15, 8, v7
	v_ashrrev_i32_e32 v15, 31, v14
	v_ashrrev_i32_e32 v17, 31, v16
	;; [unrolled: 1-line block ×4, first 2 shown]
	v_mov_b32_e32 v2, 0
	v_lshl_or_b32 v50, v25, 1, v6
	v_lshlrev_b32_e32 v27, 8, v25
	s_add_u32 s12, s4, 0xd0
	v_lshlrev_b64 v[6:7], 2, v[3:4]
	v_lshlrev_b64 v[8:9], 2, v[8:9]
	;; [unrolled: 1-line block ×8, first 2 shown]
	v_add_u32_e32 v38, 0x1200, v37
	v_add_u32_e32 v39, 0x2400, v37
	;; [unrolled: 1-line block ×3, first 2 shown]
	v_cmp_eq_u32_e64 s[6:7], 0, v0
	v_or_b32_e32 v43, 0x4c00, v26
	v_add_u32_e32 v47, 0x1000, v46
	v_add_u32_e32 v48, 0x2000, v46
	;; [unrolled: 1-line block ×3, first 2 shown]
	s_addc_u32 s13, s5, 0
	v_mov_b32_e32 v59, 0xfeffffff
	v_lshlrev_b32_e32 v51, 2, v35
	s_mov_b32 s39, 0x3f200000
	s_mov_b32 s43, 0x3fb8aa3b
	s_mov_b32 s44, 0xc2ce8ed0
	s_mov_b32 s45, 0x42b17218
	v_mov_b32_e32 v52, 0xbd5c1c4e
	v_mov_b32_e32 v53, 0x3e088382
	;; [unrolled: 1-line block ×3, first 2 shown]
	s_brev_b32 s46, -2
	v_mbcnt_hi_u32_b32 v55, -1, v33
	v_lshlrev_b32_e32 v56, 2, v29
	v_add_u32_e32 v57, v24, v27
	v_mov_b32_e32 v58, 0x7f800000
	v_mov_b32_e32 v3, v2
	;; [unrolled: 1-line block ×3, first 2 shown]
.LBB91_10:                              ; =>This Inner Loop Header: Depth=1
	s_mul_hi_i32 s15, s18, s23
	s_mul_i32 s14, s18, s23
	s_lshl_b64 s[14:15], s[14:15], 2
	s_add_u32 s14, s36, s14
	s_addc_u32 s15, s37, s15
	v_mov_b32_e32 v4, s15
	v_add_co_u32_e32 v60, vcc, s14, v6
	v_addc_co_u32_e32 v4, vcc, v4, v7, vcc
	v_add_co_u32_e32 v76, vcc, v60, v51
	v_addc_co_u32_e32 v77, vcc, 0, v4, vcc
	v_mov_b32_e32 v4, s15
	v_add_co_u32_e32 v60, vcc, s14, v8
	v_addc_co_u32_e32 v4, vcc, v4, v9, vcc
	v_add_co_u32_e32 v78, vcc, v60, v51
	v_addc_co_u32_e32 v79, vcc, 0, v4, vcc
	;; [unrolled: 5-line block ×3, first 2 shown]
	v_mov_b32_e32 v4, s15
	v_add_co_u32_e32 v68, vcc, s14, v12
	v_addc_co_u32_e32 v4, vcc, v4, v13, vcc
	v_add_co_u32_e32 v82, vcc, v68, v51
	global_load_dwordx4 v[60:63], v[76:77], off
	global_load_dwordx4 v[64:67], v[78:79], off
	v_addc_co_u32_e32 v83, vcc, 0, v4, vcc
	global_load_dwordx4 v[68:71], v[80:81], off
	global_load_dwordx4 v[72:75], v[82:83], off
	v_mov_b32_e32 v4, 0
	s_waitcnt vmcnt(3)
	ds_write_b128 v37, v[60:63]
	s_waitcnt vmcnt(2)
	ds_write_b128 v38, v[64:67]
	s_waitcnt vmcnt(1)
	ds_write_b128 v39, v[68:71]
	s_waitcnt vmcnt(0)
	ds_write_b128 v40, v[72:75]
	s_waitcnt lgkmcnt(0)
	s_barrier
	ds_read_b128 v[60:63], v41
	ds_read_b128 v[64:67], v42
	s_waitcnt lgkmcnt(0)
	;;#ASMSTART
	v_dot2_f32_f16 v4, v60, v64, v4
	;;#ASMEND
	;;#ASMSTART
	v_dot2_f32_f16 v4, v61, v65, v4
	;;#ASMEND
	;;#ASMSTART
	v_dot2_f32_f16 v4, v62, v66, v4
	;;#ASMEND
	;;#ASMSTART
	v_dot2_f32_f16 v4, v63, v67, v4
	;;#ASMEND
	ds_read_b128 v[60:63], v41 offset:16
	ds_read_b128 v[64:67], v42 offset:16
	s_waitcnt lgkmcnt(0)
	;;#ASMSTART
	v_dot2_f32_f16 v4, v60, v64, v4
	;;#ASMEND
	;;#ASMSTART
	v_dot2_f32_f16 v4, v61, v65, v4
	;;#ASMEND
	;;#ASMSTART
	v_dot2_f32_f16 v4, v62, v66, v4
	;;#ASMEND
	;;#ASMSTART
	v_dot2_f32_f16 v4, v63, v67, v4
	;;#ASMEND
	ds_read_b128 v[60:63], v41 offset:32
	ds_read_b128 v[64:67], v42 offset:32
	s_waitcnt lgkmcnt(0)
	;;#ASMSTART
	v_dot2_f32_f16 v4, v60, v64, v4
	;;#ASMEND
	;;#ASMSTART
	v_dot2_f32_f16 v4, v61, v65, v4
	;;#ASMEND
	;;#ASMSTART
	v_dot2_f32_f16 v4, v62, v66, v4
	;;#ASMEND
	;;#ASMSTART
	v_dot2_f32_f16 v4, v63, v67, v4
	;;#ASMEND
	ds_read_b128 v[60:63], v41 offset:48
	ds_read_b128 v[64:67], v42 offset:48
	s_waitcnt lgkmcnt(0)
	;;#ASMSTART
	v_dot2_f32_f16 v4, v60, v64, v4
	;;#ASMEND
	;;#ASMSTART
	v_dot2_f32_f16 v4, v61, v65, v4
	;;#ASMEND
	;;#ASMSTART
	v_dot2_f32_f16 v4, v62, v66, v4
	;;#ASMEND
	;;#ASMSTART
	v_dot2_f32_f16 v4, v63, v67, v4
	;;#ASMEND
	ds_read_b128 v[60:63], v41 offset:64
	ds_read_b128 v[64:67], v42 offset:64
	s_waitcnt lgkmcnt(0)
	;;#ASMSTART
	v_dot2_f32_f16 v4, v60, v64, v4
	;;#ASMEND
	;;#ASMSTART
	v_dot2_f32_f16 v4, v61, v65, v4
	;;#ASMEND
	;;#ASMSTART
	v_dot2_f32_f16 v4, v62, v66, v4
	;;#ASMEND
	;;#ASMSTART
	v_dot2_f32_f16 v4, v63, v67, v4
	;;#ASMEND
	ds_read_b128 v[60:63], v41 offset:80
	ds_read_b128 v[64:67], v42 offset:80
	s_waitcnt lgkmcnt(0)
	;;#ASMSTART
	v_dot2_f32_f16 v4, v60, v64, v4
	;;#ASMEND
	;;#ASMSTART
	v_dot2_f32_f16 v4, v61, v65, v4
	;;#ASMEND
	;;#ASMSTART
	v_dot2_f32_f16 v4, v62, v66, v4
	;;#ASMEND
	;;#ASMSTART
	v_dot2_f32_f16 v4, v63, v67, v4
	;;#ASMEND
	ds_read_b128 v[60:63], v41 offset:96
	ds_read_b128 v[64:67], v42 offset:96
	s_waitcnt lgkmcnt(0)
	;;#ASMSTART
	v_dot2_f32_f16 v4, v60, v64, v4
	;;#ASMEND
	;;#ASMSTART
	v_dot2_f32_f16 v4, v61, v65, v4
	;;#ASMEND
	;;#ASMSTART
	v_dot2_f32_f16 v4, v62, v66, v4
	;;#ASMEND
	;;#ASMSTART
	v_dot2_f32_f16 v4, v63, v67, v4
	;;#ASMEND
	ds_read_b128 v[60:63], v41 offset:112
	ds_read_b128 v[64:67], v42 offset:112
	s_waitcnt lgkmcnt(0)
	;;#ASMSTART
	v_dot2_f32_f16 v4, v60, v64, v4
	;;#ASMEND
	;;#ASMSTART
	v_dot2_f32_f16 v4, v61, v65, v4
	;;#ASMEND
	;; [unrolled: 3-line block ×4, first 2 shown]
	s_barrier
	global_load_dwordx4 v[60:63], v[76:77], off offset:128
	global_load_dwordx4 v[64:67], v[78:79], off offset:128
	;; [unrolled: 1-line block ×4, first 2 shown]
	s_waitcnt vmcnt(3)
	ds_write_b128 v37, v[60:63]
	s_waitcnt vmcnt(2)
	ds_write_b128 v38, v[64:67]
	;; [unrolled: 2-line block ×4, first 2 shown]
	s_waitcnt lgkmcnt(0)
	s_barrier
	ds_read_b128 v[60:63], v41
	ds_read_b128 v[64:67], v42 offset:128
	s_waitcnt lgkmcnt(0)
	;;#ASMSTART
	v_dot2_f32_f16 v4, v60, v64, v4
	;;#ASMEND
	;;#ASMSTART
	v_dot2_f32_f16 v4, v61, v65, v4
	;;#ASMEND
	;;#ASMSTART
	v_dot2_f32_f16 v4, v62, v66, v4
	;;#ASMEND
	;;#ASMSTART
	v_dot2_f32_f16 v4, v63, v67, v4
	;;#ASMEND
	ds_read_b128 v[60:63], v41 offset:16
	ds_read_b128 v[64:67], v42 offset:144
	s_waitcnt lgkmcnt(0)
	;;#ASMSTART
	v_dot2_f32_f16 v4, v60, v64, v4
	;;#ASMEND
	;;#ASMSTART
	v_dot2_f32_f16 v4, v61, v65, v4
	;;#ASMEND
	;;#ASMSTART
	v_dot2_f32_f16 v4, v62, v66, v4
	;;#ASMEND
	;;#ASMSTART
	v_dot2_f32_f16 v4, v63, v67, v4
	;;#ASMEND
	ds_read_b128 v[60:63], v41 offset:32
	;; [unrolled: 15-line block ×7, first 2 shown]
	ds_read_b128 v[64:67], v42 offset:240
	s_waitcnt lgkmcnt(0)
	;;#ASMSTART
	v_dot2_f32_f16 v4, v60, v64, v4
	;;#ASMEND
	;;#ASMSTART
	v_dot2_f32_f16 v4, v61, v65, v4
	;;#ASMEND
	;; [unrolled: 3-line block ×4, first 2 shown]
	v_cmp_nlt_f32_e64 s[14:15], |v4|, s39
                                        ; implicit-def: $vgpr61
	s_and_saveexec_b64 s[48:49], s[14:15]
	s_xor_b64 s[14:15], exec, s[48:49]
	s_cbranch_execnz .LBB91_14
; %bb.11:                               ;   in Loop: Header=BB91_10 Depth=1
	s_andn2_saveexec_b64 s[14:15], s[14:15]
	s_cbranch_execnz .LBB91_15
.LBB91_12:                              ;   in Loop: Header=BB91_10 Depth=1
	s_or_b64 exec, exec, s[14:15]
	s_andn2_b64 vcc, exec, s[10:11]
	s_cbranch_vccnz .LBB91_16
.LBB91_13:                              ;   in Loop: Header=BB91_10 Depth=1
	v_add_u32_e32 v62, s18, v5
	v_ashrrev_i32_e32 v63, 31, v62
	v_lshlrev_b64 v[62:63], 1, v[62:63]
	v_mov_b32_e32 v60, s41
	v_add_co_u32_e32 v62, vcc, s40, v62
	v_addc_co_u32_e32 v63, vcc, v60, v63, vcc
	global_load_ushort v60, v[62:63], off
	s_waitcnt vmcnt(0)
	v_cvt_f32_f16_e32 v60, v60
	v_mul_f32_e32 v60, v30, v60
	s_branch .LBB91_17
.LBB91_14:                              ;   in Loop: Header=BB91_10 Depth=1
	v_add_f32_e64 v60, |v4|, |v4|
	v_mul_f32_e32 v61, 0x3fb8aa3b, v60
	v_rndne_f32_e32 v62, v61
	v_sub_f32_e32 v63, v61, v62
	v_fma_f32 v61, v60, s43, -v61
	v_fmac_f32_e32 v61, 0x32a5705f, v60
	v_add_f32_e32 v61, v63, v61
	v_cvt_i32_f32_e32 v62, v62
	v_exp_f32_e32 v61, v61
	v_cmp_ngt_f32_e32 vcc, s44, v60
	v_ldexp_f32 v61, v61, v62
	v_cndmask_b32_e32 v61, 0, v61, vcc
	v_cmp_nlt_f32_e32 vcc, s45, v60
	v_cndmask_b32_e32 v60, v58, v61, vcc
	v_add_f32_e32 v60, 1.0, v60
	v_rcp_f32_e32 v60, v60
	v_fma_f32 v61, v60, -2.0, 1.0
	s_andn2_saveexec_b64 s[14:15], s[14:15]
	s_cbranch_execz .LBB91_12
.LBB91_15:                              ;   in Loop: Header=BB91_10 Depth=1
	v_mul_f32_e32 v60, v4, v4
	v_mov_b32_e32 v61, 0x3ca908c9
	v_fmac_f32_e32 v61, 0xbbbac73d, v60
	v_fma_f32 v61, v60, v61, v52
	v_fma_f32 v61, v60, v61, v53
	;; [unrolled: 1-line block ×3, first 2 shown]
	v_mul_f32_e64 v61, |v4|, v61
	v_fma_f32 v61, v60, v61, |v4|
	s_or_b64 exec, exec, s[14:15]
	s_andn2_b64 vcc, exec, s[10:11]
	s_cbranch_vccz .LBB91_13
.LBB91_16:                              ;   in Loop: Header=BB91_10 Depth=1
	v_mov_b32_e32 v60, 0
.LBB91_17:                              ;   in Loop: Header=BB91_10 Depth=1
	v_bfi_b32 v4, s46, v61, v4
	v_and_b32_e32 v61, 0x60, v55
	v_add_u32_e32 v62, 32, v61
	v_xor_b32_e32 v61, 16, v55
	v_cmp_lt_i32_e32 vcc, v61, v62
	v_fmac_f32_e32 v60, s19, v4
	v_cndmask_b32_e32 v61, v55, v61, vcc
	v_add_f32_e32 v4, 0x40051340, v60
	v_max_f32_e32 v63, v59, v59
	v_lshlrev_b32_e32 v61, 2, v61
	v_max_f32_e32 v4, v63, v4
	ds_bpermute_b32 v61, v61, v4
	v_xor_b32_e32 v63, 8, v55
	v_cmp_lt_i32_e32 vcc, v63, v62
	v_cndmask_b32_e32 v63, v55, v63, vcc
	v_lshlrev_b32_e32 v63, 2, v63
	s_waitcnt lgkmcnt(0)
	v_max_f32_e32 v61, v61, v61
	v_max_f32_e32 v4, v4, v61
	ds_bpermute_b32 v61, v63, v4
	v_xor_b32_e32 v63, 4, v55
	v_cmp_lt_i32_e32 vcc, v63, v62
	v_cndmask_b32_e32 v63, v55, v63, vcc
	v_lshlrev_b32_e32 v63, 2, v63
	s_waitcnt lgkmcnt(0)
	v_max_f32_e32 v61, v61, v61
	;; [unrolled: 8-line block ×4, first 2 shown]
	v_max_f32_e32 v62, v63, v62
	ds_bpermute_b32 v63, v65, v62
	s_and_saveexec_b64 s[14:15], s[6:7]
	s_cbranch_execz .LBB91_19
; %bb.18:                               ;   in Loop: Header=BB91_10 Depth=1
	s_waitcnt lgkmcnt(0)
	v_max_f32_e32 v63, v63, v63
	v_max_f32_e32 v62, v62, v62
	;; [unrolled: 1-line block ×3, first 2 shown]
	ds_write_b32 v43, v62
.LBB91_19:                              ;   in Loop: Header=BB91_10 Depth=1
	s_or_b64 exec, exec, s[14:15]
	s_waitcnt lgkmcnt(0)
	s_barrier
	ds_read_b32 v62, v44
	v_and_b32_e32 v63, 0x7c, v55
	v_add_u32_e32 v63, 4, v63
	v_cmp_lt_i32_e32 vcc, v4, v63
	v_cndmask_b32_e32 v4, v55, v4, vcc
	v_lshlrev_b32_e32 v4, 2, v4
	s_waitcnt lgkmcnt(0)
	ds_bpermute_b32 v4, v4, v62
	v_cmp_lt_i32_e32 vcc, v61, v63
	v_max_f32_e32 v62, v62, v62
	v_cndmask_b32_e32 v61, v55, v61, vcc
	v_lshlrev_b32_e32 v61, 2, v61
	s_waitcnt lgkmcnt(0)
	v_max_f32_e32 v4, v4, v4
	v_max_f32_e32 v4, v62, v4
	ds_bpermute_b32 v61, v61, v4
	s_mul_hi_i32 s15, s18, s8
	s_mul_i32 s14, s18, s8
	s_lshl_b64 s[14:15], s[14:15], 2
	s_add_u32 s14, s16, s14
	s_waitcnt lgkmcnt(0)
	v_max_f32_e32 v61, v61, v61
	v_max_f32_e32 v4, v4, v61
	v_sub_f32_e32 v60, v60, v4
	v_mul_f32_e32 v61, 0x3fb8aa3b, v60
	v_fma_f32 v62, v60, s43, -v61
	v_rndne_f32_e32 v63, v61
	v_fmac_f32_e32 v62, 0x32a5705f, v60
	v_sub_f32_e32 v61, v61, v63
	v_add_f32_e32 v61, v61, v62
	v_exp_f32_e32 v61, v61
	v_cvt_i32_f32_e32 v62, v63
	v_cmp_ngt_f32_e32 vcc, s44, v60
	v_sub_f32_e32 v59, v59, v4
	s_addc_u32 s15, s17, s15
	v_ldexp_f32 v61, v61, v62
	v_cndmask_b32_e32 v61, 0, v61, vcc
	v_cmp_nlt_f32_e32 vcc, s45, v60
	v_cndmask_b32_e32 v60, v58, v61, vcc
	v_mul_f32_e32 v61, 0x3fb8aa3b, v59
	v_fma_f32 v62, v59, s43, -v61
	v_rndne_f32_e32 v63, v61
	v_fmac_f32_e32 v62, 0x32a5705f, v59
	v_sub_f32_e32 v61, v61, v63
	v_add_f32_e32 v61, v61, v62
	v_exp_f32_e32 v61, v61
	v_cvt_i32_f32_e32 v62, v63
	v_cmp_ngt_f32_e32 vcc, s44, v59
	v_ldexp_f32 v61, v61, v62
	v_cndmask_b32_e32 v61, 0, v61, vcc
	v_cmp_nlt_f32_e32 vcc, s45, v59
	v_cndmask_b32_e32 v59, v58, v61, vcc
	v_fma_f32 v27, v27, v59, v60
	v_cvt_f16_f32_e32 v59, v59
	v_mul_u32_u24_e32 v63, 0x10001, v59
	v_cvt_f16_f32_e32 v59, v60
	v_mov_b32_e32 v60, s15
	ds_write_b16 v45, v59
	v_add_co_u32_e32 v59, vcc, s14, v14
	v_addc_co_u32_e32 v60, vcc, v60, v15, vcc
	v_add_co_u32_e32 v59, vcc, v59, v56
	v_addc_co_u32_e32 v60, vcc, 0, v60, vcc
	global_load_dwordx4 v[59:62], v[59:60], off
	s_waitcnt vmcnt(0)
	ds_write_b128 v46, v[59:62]
	v_add_co_u32_e32 v59, vcc, s14, v16
	v_mov_b32_e32 v60, s15
	v_addc_co_u32_e32 v60, vcc, v60, v17, vcc
	v_add_co_u32_e32 v59, vcc, v59, v56
	v_addc_co_u32_e32 v60, vcc, 0, v60, vcc
	global_load_dwordx4 v[59:62], v[59:60], off
	s_waitcnt vmcnt(0)
	ds_write_b128 v47, v[59:62]
	v_add_co_u32_e32 v59, vcc, s14, v18
	v_mov_b32_e32 v60, s15
	;; [unrolled: 8-line block ×3, first 2 shown]
	v_addc_co_u32_e32 v60, vcc, v60, v21, vcc
	v_add_co_u32_e32 v59, vcc, v59, v56
	v_addc_co_u32_e32 v60, vcc, 0, v60, vcc
	global_load_dwordx4 v[59:62], v[59:60], off
	s_or_b32 s14, s18, 64
	s_mul_hi_i32 s15, s14, s8
	s_mul_i32 s14, s14, s8
	s_lshl_b64 s[14:15], s[14:15], 2
	s_add_u32 s14, s16, s14
	s_addc_u32 s15, s17, s15
	s_waitcnt vmcnt(0)
	ds_write_b128 v49, v[59:62]
	s_waitcnt lgkmcnt(0)
	s_barrier
	ds_read2st64_b64 v[59:62], v57 offset1:2
	ds_read_u16 v64, v50
	ds_read_u16 v65, v50 offset:8
	ds_read_u16 v66, v50 offset:16
	ds_read_u16 v67, v50 offset:24
	ds_read_u16 v68, v50 offset:32
	ds_read_u16 v69, v50 offset:40
	ds_read_u16 v70, v50 offset:48
	ds_read_u16 v71, v50 offset:56
	s_waitcnt lgkmcnt(7)
	v_mul_u32_u24_e32 v64, 0x10001, v64
	v_pk_mul_f16 v59, v59, v64
	v_pk_fma_f16 v2, v2, v63, v59
	v_pk_mul_f16 v59, v60, v64
	v_pk_fma_f16 v3, v3, v63, v59
	s_waitcnt lgkmcnt(6)
	v_mul_u32_u24_e32 v59, 0x10001, v65
	v_pk_fma_f16 v2, v61, v59, v2
	v_pk_fma_f16 v3, v62, v59, v3
	ds_read2st64_b64 v[59:62], v57 offset0:4 offset1:6
	s_waitcnt lgkmcnt(6)
	v_mul_u32_u24_e32 v63, 0x10001, v66
	s_waitcnt lgkmcnt(0)
	v_pk_fma_f16 v2, v59, v63, v2
	v_pk_fma_f16 v3, v60, v63, v3
	v_mul_u32_u24_e32 v59, 0x10001, v67
	v_pk_fma_f16 v2, v61, v59, v2
	v_pk_fma_f16 v3, v62, v59, v3
	ds_read2st64_b64 v[59:62], v57 offset0:8 offset1:10
	v_mul_u32_u24_e32 v63, 0x10001, v68
	s_waitcnt lgkmcnt(0)
	v_pk_fma_f16 v2, v59, v63, v2
	v_pk_fma_f16 v3, v60, v63, v3
	v_mul_u32_u24_e32 v59, 0x10001, v69
	v_pk_fma_f16 v2, v61, v59, v2
	v_pk_fma_f16 v3, v62, v59, v3
	ds_read2st64_b64 v[59:62], v57 offset0:12 offset1:14
	;; [unrolled: 8-line block ×3, first 2 shown]
	ds_read_u16 v63, v50 offset:64
	s_waitcnt lgkmcnt(0)
	v_mul_u32_u24_e32 v63, 0x10001, v63
	v_pk_fma_f16 v2, v59, v63, v2
	ds_read_u16 v59, v50 offset:72
	v_pk_fma_f16 v3, v60, v63, v3
	s_waitcnt lgkmcnt(0)
	v_mul_u32_u24_e32 v59, 0x10001, v59
	v_pk_fma_f16 v2, v61, v59, v2
	v_pk_fma_f16 v3, v62, v59, v3
	ds_read2st64_b64 v[59:62], v57 offset0:20 offset1:22
	ds_read_u16 v63, v50 offset:80
	s_waitcnt lgkmcnt(0)
	v_mul_u32_u24_e32 v63, 0x10001, v63
	v_pk_fma_f16 v2, v59, v63, v2
	ds_read_u16 v59, v50 offset:88
	v_pk_fma_f16 v3, v60, v63, v3
	s_waitcnt lgkmcnt(0)
	v_mul_u32_u24_e32 v59, 0x10001, v59
	v_pk_fma_f16 v2, v61, v59, v2
	v_pk_fma_f16 v3, v62, v59, v3
	ds_read2st64_b64 v[59:62], v57 offset0:24 offset1:26
	;; [unrolled: 11-line block ×3, first 2 shown]
	ds_read_u16 v63, v50 offset:112
	s_waitcnt lgkmcnt(0)
	v_mul_u32_u24_e32 v63, 0x10001, v63
	v_pk_fma_f16 v2, v59, v63, v2
	ds_read_u16 v59, v50 offset:120
	v_pk_fma_f16 v3, v60, v63, v3
	s_waitcnt lgkmcnt(0)
	s_barrier
	v_mul_u32_u24_e32 v59, 0x10001, v59
	v_pk_fma_f16 v63, v61, v59, v2
	v_pk_fma_f16 v64, v62, v59, v3
	v_add_co_u32_e32 v2, vcc, s14, v14
	v_mov_b32_e32 v3, s15
	v_addc_co_u32_e32 v3, vcc, v3, v15, vcc
	v_add_co_u32_e32 v2, vcc, v2, v56
	v_addc_co_u32_e32 v3, vcc, 0, v3, vcc
	global_load_dwordx4 v[59:62], v[2:3], off
	v_add_co_u32_e32 v2, vcc, s14, v16
	v_mov_b32_e32 v3, s15
	v_addc_co_u32_e32 v3, vcc, v3, v17, vcc
	v_add_co_u32_e32 v2, vcc, v2, v56
	v_addc_co_u32_e32 v3, vcc, 0, v3, vcc
	s_waitcnt vmcnt(0)
	ds_write_b128 v46, v[59:62]
	global_load_dwordx4 v[59:62], v[2:3], off
	v_add_co_u32_e32 v2, vcc, s14, v18
	v_mov_b32_e32 v3, s15
	v_addc_co_u32_e32 v3, vcc, v3, v19, vcc
	v_add_co_u32_e32 v2, vcc, v2, v56
	v_addc_co_u32_e32 v3, vcc, 0, v3, vcc
	s_waitcnt vmcnt(0)
	ds_write_b128 v47, v[59:62]
	;; [unrolled: 8-line block ×3, first 2 shown]
	global_load_dwordx4 v[59:62], v[2:3], off
	s_waitcnt vmcnt(0)
	ds_write_b128 v49, v[59:62]
	s_waitcnt lgkmcnt(0)
	s_barrier
	ds_read2st64_b64 v[59:62], v57 offset1:2
	ds_read_u16 v2, v50 offset:128
	ds_read_u16 v3, v50 offset:136
	;; [unrolled: 1-line block ×8, first 2 shown]
	s_waitcnt lgkmcnt(7)
	v_mul_u32_u24_e32 v2, 0x10001, v2
	v_pk_fma_f16 v59, v59, v2, v63
	v_pk_fma_f16 v2, v60, v2, v64
	s_waitcnt lgkmcnt(6)
	v_mul_u32_u24_e32 v3, 0x10001, v3
	v_pk_fma_f16 v63, v61, v3, v59
	v_pk_fma_f16 v2, v62, v3, v2
	ds_read2st64_b64 v[59:62], v57 offset0:4 offset1:6
	s_waitcnt lgkmcnt(6)
	v_mul_u32_u24_e32 v3, 0x10001, v65
	s_waitcnt lgkmcnt(0)
	v_pk_fma_f16 v59, v59, v3, v63
	v_pk_fma_f16 v2, v60, v3, v2
	v_mul_u32_u24_e32 v3, 0x10001, v66
	v_pk_fma_f16 v63, v61, v3, v59
	v_pk_fma_f16 v2, v62, v3, v2
	ds_read2st64_b64 v[59:62], v57 offset0:8 offset1:10
	v_mul_u32_u24_e32 v3, 0x10001, v67
	s_waitcnt lgkmcnt(0)
	v_pk_fma_f16 v59, v59, v3, v63
	v_pk_fma_f16 v2, v60, v3, v2
	v_mul_u32_u24_e32 v3, 0x10001, v68
	v_pk_fma_f16 v63, v61, v3, v59
	v_pk_fma_f16 v2, v62, v3, v2
	ds_read2st64_b64 v[59:62], v57 offset0:12 offset1:14
	;; [unrolled: 8-line block ×3, first 2 shown]
	ds_read_u16 v3, v50 offset:192
	s_waitcnt lgkmcnt(0)
	v_mul_u32_u24_e32 v3, 0x10001, v3
	v_pk_fma_f16 v59, v59, v3, v63
	v_pk_fma_f16 v2, v60, v3, v2
	ds_read_u16 v3, v50 offset:200
	s_waitcnt lgkmcnt(0)
	v_mul_u32_u24_e32 v3, 0x10001, v3
	v_pk_fma_f16 v63, v61, v3, v59
	v_pk_fma_f16 v2, v62, v3, v2
	ds_read2st64_b64 v[59:62], v57 offset0:20 offset1:22
	ds_read_u16 v3, v50 offset:208
	s_waitcnt lgkmcnt(0)
	v_mul_u32_u24_e32 v3, 0x10001, v3
	v_pk_fma_f16 v59, v59, v3, v63
	v_pk_fma_f16 v2, v60, v3, v2
	ds_read_u16 v3, v50 offset:216
	s_waitcnt lgkmcnt(0)
	v_mul_u32_u24_e32 v3, 0x10001, v3
	v_pk_fma_f16 v63, v61, v3, v59
	v_pk_fma_f16 v2, v62, v3, v2
	ds_read2st64_b64 v[59:62], v57 offset0:24 offset1:26
	;; [unrolled: 11-line block ×3, first 2 shown]
	ds_read_u16 v3, v50 offset:240
	s_waitcnt lgkmcnt(0)
	v_mul_u32_u24_e32 v3, 0x10001, v3
	v_pk_fma_f16 v59, v59, v3, v63
	v_pk_fma_f16 v3, v60, v3, v2
	ds_read_u16 v2, v50 offset:248
	s_waitcnt lgkmcnt(0)
	s_barrier
	s_load_dword s14, s[12:13], 0x4
	v_mul_u32_u24_e32 v60, 0x10001, v2
	v_pk_fma_f16 v2, v61, v60, v59
	v_pk_fma_f16 v3, v62, v60, v3
	s_waitcnt lgkmcnt(0)
	s_lshl_b32 s14, s14, 7
	s_add_i32 s18, s14, s18
	s_cmp_lt_i32 s18, s38
	s_cbranch_scc0 .LBB91_22
; %bb.20:                               ;   in Loop: Header=BB91_10 Depth=1
	v_mov_b32_e32 v59, v4
	s_branch .LBB91_10
.LBB91_21:
	v_mov_b32_e32 v3, 0
	v_mov_b32_e32 v27, 0
	;; [unrolled: 1-line block ×4, first 2 shown]
.LBB91_22:
	s_cmp_gt_i32 s42, s18
	s_cbranch_scc1 .LBB91_24
; %bb.23:
	v_mbcnt_hi_u32_b32 v12, -1, v33
	v_and_b32_e32 v5, 0x60, v12
	v_add_u32_e32 v13, 32, v5
	v_xor_b32_e32 v14, 16, v12
	v_xor_b32_e32 v15, 8, v12
	;; [unrolled: 1-line block ×5, first 2 shown]
	s_cbranch_execz .LBB91_25
	s_branch .LBB91_37
.LBB91_24:
                                        ; implicit-def: $vgpr12
                                        ; implicit-def: $vgpr13
                                        ; implicit-def: $vgpr14
                                        ; implicit-def: $vgpr15
                                        ; implicit-def: $vgpr16
                                        ; implicit-def: $vgpr17
                                        ; implicit-def: $vgpr18
.LBB91_25:
	v_lshl_add_u32 v9, v1, 2, v36
	v_mul_lo_u32 v16, s23, v9
	s_mul_hi_i32 s11, s18, s23
	s_mul_i32 s10, s18, s23
	s_sub_i32 s38, s42, s18
	s_lshl_b64 s[10:11], s[10:11], 2
	v_ashrrev_i32_e32 v17, 31, v16
	s_add_u32 s14, s36, s10
	v_lshlrev_b64 v[5:6], 2, v[16:17]
	s_addc_u32 s15, s37, s11
	v_mov_b32_e32 v7, s15
	v_add_co_u32_e32 v5, vcc, s14, v5
	v_lshlrev_b32_e32 v19, 2, v35
	v_addc_co_u32_e32 v6, vcc, v7, v6, vcc
	v_add_co_u32_e32 v14, vcc, v5, v19
	s_mov_b64 s[6:7], src_private_base
	v_addc_co_u32_e32 v15, vcc, 0, v6, vcc
	v_mov_b32_e32 v10, 0
	v_mov_b32_e32 v12, s7
	v_cmp_gt_i32_e32 vcc, s38, v9
	v_mov_b32_e32 v13, 0
	buffer_store_dword v10, off, s[0:3], 0
	buffer_store_dword v10, off, s[0:3], 0 offset:4
	buffer_store_dword v10, off, s[0:3], 0 offset:8
	buffer_store_dword v10, off, s[0:3], 0 offset:12
	v_cndmask_b32_e32 v6, v12, v15, vcc
	v_cndmask_b32_e32 v5, v13, v14, vcc
	flat_load_dwordx4 v[5:8], v[5:6]
	s_lshl_b32 s23, s23, 5
	v_add_u32_e32 v16, s23, v16
	v_ashrrev_i32_e32 v17, 31, v16
	v_lshlrev_b64 v[17:18], 2, v[16:17]
	s_movk_i32 s6, 0x90
	v_mad_u32_u24 v11, v9, s6, v19
	v_mov_b32_e32 v21, s15
	v_add_co_u32_e64 v17, s[6:7], s14, v17
	v_addc_co_u32_e64 v18, s[6:7], v21, v18, s[6:7]
	v_add_co_u32_e64 v21, s[6:7], v17, v19
	v_add_u32_e32 v20, 32, v9
	v_addc_co_u32_e64 v38, s[6:7], 0, v18, s[6:7]
	v_cmp_gt_i32_e64 s[6:7], s38, v20
	buffer_store_dword v10, off, s[0:3], 0
	buffer_store_dword v10, off, s[0:3], 0 offset:4
	buffer_store_dword v10, off, s[0:3], 0 offset:8
	;; [unrolled: 1-line block ×3, first 2 shown]
	v_cndmask_b32_e64 v18, v12, v38, s[6:7]
	v_cndmask_b32_e64 v17, v13, v21, s[6:7]
	v_add_u32_e32 v16, s23, v16
	v_mov_b32_e32 v35, s15
	v_add_u32_e32 v20, 64, v9
	v_cmp_gt_i32_e64 s[12:13], s38, v20
	v_add_u32_e32 v9, 0x60, v9
	s_waitcnt vmcnt(0) lgkmcnt(0)
	ds_write_b128 v11, v[5:8]
	flat_load_dwordx4 v[5:8], v[17:18]
	v_ashrrev_i32_e32 v17, 31, v16
	v_lshlrev_b64 v[17:18], 2, v[16:17]
	buffer_store_dword v10, off, s[0:3], 0
	buffer_store_dword v10, off, s[0:3], 0 offset:4
	buffer_store_dword v10, off, s[0:3], 0 offset:8
	;; [unrolled: 1-line block ×3, first 2 shown]
	v_add_co_u32_e64 v17, s[10:11], s14, v17
	v_addc_co_u32_e64 v18, s[10:11], v35, v18, s[10:11]
	v_add_co_u32_e64 v39, s[10:11], v17, v19
	v_addc_co_u32_e64 v40, s[10:11], 0, v18, s[10:11]
	v_cndmask_b32_e64 v18, v12, v40, s[12:13]
	v_cndmask_b32_e64 v17, v13, v39, s[12:13]
	v_add_u32_e32 v16, s23, v16
	s_movk_i32 s23, 0x80
	s_waitcnt vmcnt(0) lgkmcnt(0)
	ds_write_b128 v11, v[5:8] offset:4608
	flat_load_dwordx4 v[5:8], v[17:18]
	v_ashrrev_i32_e32 v17, 31, v16
	v_lshlrev_b64 v[16:17], 2, v[16:17]
	v_mov_b32_e32 v18, s15
	v_add_co_u32_e64 v16, s[10:11], s14, v16
	v_addc_co_u32_e64 v17, s[10:11], v18, v17, s[10:11]
	v_add_co_u32_e64 v20, s[10:11], v16, v19
	v_addc_co_u32_e64 v41, s[10:11], 0, v17, s[10:11]
	v_cmp_gt_i32_e64 s[10:11], s38, v9
	v_cndmask_b32_e64 v17, v12, v41, s[10:11]
	v_cndmask_b32_e64 v16, v13, v20, s[10:11]
	buffer_store_dword v10, off, s[0:3], 0
	buffer_store_dword v10, off, s[0:3], 0 offset:4
	buffer_store_dword v10, off, s[0:3], 0 offset:8
	;; [unrolled: 1-line block ×3, first 2 shown]
	v_add_co_u32_e64 v14, s[14:15], s23, v14
	v_addc_co_u32_e64 v15, s[14:15], 0, v15, s[14:15]
	v_cndmask_b32_e32 v15, v12, v15, vcc
	v_cndmask_b32_e32 v14, v13, v14, vcc
	s_waitcnt vmcnt(0) lgkmcnt(0)
	ds_write_b128 v11, v[5:8] offset:9216
	flat_load_dwordx4 v[16:19], v[16:17]
	v_and_b32_e32 v5, 0x60, v31
	v_add_u32_e32 v6, v5, v0
	v_mul_u32_u24_e32 v9, 0x90, v6
	v_and_b32_e32 v8, 0x3f00, v34
	v_mov_b32_e32 v7, 0
	s_waitcnt vmcnt(0) lgkmcnt(0)
	ds_write_b128 v11, v[16:19] offset:13824
	s_waitcnt lgkmcnt(0)
	s_barrier
	ds_read_b128 v[16:19], v9
	ds_read_b128 v[34:37], v8 offset:18944
	s_waitcnt lgkmcnt(0)
	;;#ASMSTART
	v_dot2_f32_f16 v7, v16, v34, v7
	;;#ASMEND
	;;#ASMSTART
	v_dot2_f32_f16 v7, v17, v35, v7
	;;#ASMEND
	;;#ASMSTART
	v_dot2_f32_f16 v7, v18, v36, v7
	;;#ASMEND
	;;#ASMSTART
	v_dot2_f32_f16 v7, v19, v37, v7
	;;#ASMEND
	ds_read_b128 v[16:19], v9 offset:16
	ds_read_b128 v[34:37], v8 offset:18960
	s_waitcnt lgkmcnt(0)
	;;#ASMSTART
	v_dot2_f32_f16 v7, v16, v34, v7
	;;#ASMEND
	;;#ASMSTART
	v_dot2_f32_f16 v7, v17, v35, v7
	;;#ASMEND
	;;#ASMSTART
	v_dot2_f32_f16 v7, v18, v36, v7
	;;#ASMEND
	;;#ASMSTART
	v_dot2_f32_f16 v7, v19, v37, v7
	;;#ASMEND
	ds_read_b128 v[16:19], v9 offset:32
	;; [unrolled: 15-line block ×7, first 2 shown]
	ds_read_b128 v[34:37], v8 offset:19056
	s_waitcnt lgkmcnt(0)
	;;#ASMSTART
	v_dot2_f32_f16 v7, v16, v34, v7
	;;#ASMEND
	;;#ASMSTART
	v_dot2_f32_f16 v7, v17, v35, v7
	;;#ASMEND
	;; [unrolled: 3-line block ×4, first 2 shown]
	s_barrier
	buffer_store_dword v10, off, s[0:3], 0
	buffer_store_dword v10, off, s[0:3], 0 offset:4
	buffer_store_dword v10, off, s[0:3], 0 offset:8
	;; [unrolled: 1-line block ×3, first 2 shown]
	flat_load_dwordx4 v[14:17], v[14:15]
	v_add_co_u32_e32 v18, vcc, s23, v21
	v_addc_co_u32_e32 v19, vcc, 0, v38, vcc
	v_cndmask_b32_e64 v19, v12, v19, s[6:7]
	v_cndmask_b32_e64 v18, v13, v18, s[6:7]
	buffer_store_dword v10, off, s[0:3], 0
	buffer_store_dword v10, off, s[0:3], 0 offset:4
	buffer_store_dword v10, off, s[0:3], 0 offset:8
	;; [unrolled: 1-line block ×3, first 2 shown]
	s_mov_b32 s6, 0x3f200000
	s_waitcnt vmcnt(0) lgkmcnt(0)
	ds_write_b128 v11, v[14:17]
	flat_load_dwordx4 v[14:17], v[18:19]
	v_add_co_u32_e32 v18, vcc, s23, v39
	v_addc_co_u32_e32 v19, vcc, 0, v40, vcc
	v_cndmask_b32_e64 v19, v12, v19, s[12:13]
	v_cndmask_b32_e64 v18, v13, v18, s[12:13]
	buffer_store_dword v10, off, s[0:3], 0
	buffer_store_dword v10, off, s[0:3], 0 offset:4
	buffer_store_dword v10, off, s[0:3], 0 offset:8
	buffer_store_dword v10, off, s[0:3], 0 offset:12
	s_waitcnt vmcnt(0) lgkmcnt(0)
	ds_write_b128 v11, v[14:17] offset:4608
	flat_load_dwordx4 v[14:17], v[18:19]
	v_add_co_u32_e32 v18, vcc, s23, v20
	v_addc_co_u32_e32 v19, vcc, 0, v41, vcc
	v_cndmask_b32_e64 v19, v12, v19, s[10:11]
	v_cndmask_b32_e64 v18, v13, v18, s[10:11]
	buffer_store_dword v10, off, s[0:3], 0
	buffer_store_dword v10, off, s[0:3], 0 offset:4
	buffer_store_dword v10, off, s[0:3], 0 offset:8
	;; [unrolled: 1-line block ×3, first 2 shown]
	s_waitcnt vmcnt(0) lgkmcnt(0)
	ds_write_b128 v11, v[14:17] offset:9216
	flat_load_dwordx4 v[12:15], v[18:19]
	s_waitcnt vmcnt(0) lgkmcnt(0)
	ds_write_b128 v11, v[12:15] offset:13824
	s_waitcnt lgkmcnt(0)
	s_barrier
	ds_read_b128 v[10:13], v9
	ds_read_b128 v[14:17], v8 offset:19072
	s_waitcnt lgkmcnt(0)
	;;#ASMSTART
	v_dot2_f32_f16 v7, v10, v14, v7
	;;#ASMEND
	;;#ASMSTART
	v_dot2_f32_f16 v7, v11, v15, v7
	;;#ASMEND
	;;#ASMSTART
	v_dot2_f32_f16 v7, v12, v16, v7
	;;#ASMEND
	;;#ASMSTART
	v_dot2_f32_f16 v7, v13, v17, v7
	;;#ASMEND
	ds_read_b128 v[10:13], v9 offset:16
	ds_read_b128 v[14:17], v8 offset:19088
	s_waitcnt lgkmcnt(0)
	;;#ASMSTART
	v_dot2_f32_f16 v7, v10, v14, v7
	;;#ASMEND
	;;#ASMSTART
	v_dot2_f32_f16 v7, v11, v15, v7
	;;#ASMEND
	;;#ASMSTART
	v_dot2_f32_f16 v7, v12, v16, v7
	;;#ASMEND
	;;#ASMSTART
	v_dot2_f32_f16 v7, v13, v17, v7
	;;#ASMEND
	ds_read_b128 v[10:13], v9 offset:32
	;; [unrolled: 15-line block ×7, first 2 shown]
	ds_read_b128 v[13:16], v8 offset:19184
	s_waitcnt lgkmcnt(0)
	;;#ASMSTART
	v_dot2_f32_f16 v7, v9, v13, v7
	;;#ASMEND
	;;#ASMSTART
	v_dot2_f32_f16 v7, v10, v14, v7
	;;#ASMEND
	;; [unrolled: 3-line block ×4, first 2 shown]
	v_cmp_nlt_f32_e64 s[6:7], |v7|, s6
                                        ; implicit-def: $vgpr8
	s_and_saveexec_b64 s[10:11], s[6:7]
	s_xor_b64 s[6:7], exec, s[10:11]
	s_cbranch_execz .LBB91_27
; %bb.26:
	v_add_f32_e64 v8, |v7|, |v7|
	v_mul_f32_e32 v9, 0x3fb8aa3b, v8
	s_mov_b32 s10, 0x3fb8aa3b
	v_rndne_f32_e32 v10, v9
	v_sub_f32_e32 v11, v9, v10
	v_fma_f32 v9, v8, s10, -v9
	v_fmac_f32_e32 v9, 0x32a5705f, v8
	v_add_f32_e32 v9, v11, v9
	v_exp_f32_e32 v9, v9
	v_cvt_i32_f32_e32 v10, v10
	s_mov_b32 s10, 0xc2ce8ed0
	v_cmp_ngt_f32_e32 vcc, s10, v8
	s_mov_b32 s10, 0x42b17218
	v_ldexp_f32 v9, v9, v10
	v_cndmask_b32_e32 v9, 0, v9, vcc
	v_mov_b32_e32 v10, 0x7f800000
	v_cmp_nlt_f32_e32 vcc, s10, v8
	v_cndmask_b32_e32 v8, v10, v9, vcc
	v_add_f32_e32 v8, 1.0, v8
	v_rcp_f32_e32 v8, v8
	v_fma_f32 v8, v8, -2.0, 1.0
.LBB91_27:
	s_andn2_saveexec_b64 s[6:7], s[6:7]
	s_cbranch_execz .LBB91_29
; %bb.28:
	v_mul_f32_e32 v8, v7, v7
	v_mov_b32_e32 v9, 0x3ca908c9
	v_fmac_f32_e32 v9, 0xbbbac73d, v8
	v_mov_b32_e32 v10, 0xbd5c1c4e
	v_fmac_f32_e32 v10, v8, v9
	;; [unrolled: 2-line block ×4, first 2 shown]
	v_mul_f32_e64 v9, |v7|, v10
	v_fma_f32 v8, v8, v9, |v7|
.LBB91_29:
	s_or_b64 exec, exec, s[6:7]
	s_brev_b32 s6, -2
	v_bfi_b32 v7, s6, v8, v7
	v_cmp_gt_i32_e32 vcc, s38, v6
	v_mul_f32_e32 v7, s19, v7
	v_mov_b32_e32 v8, v4
	s_and_saveexec_b64 s[6:7], vcc
	s_cbranch_execz .LBB91_34
; %bb.30:
	s_cmp_eq_u64 s[40:41], 0
	s_cbranch_scc1 .LBB91_32
; %bb.31:
	v_mul_hi_u32 v8, s28, v23
	v_mov_b32_e32 v10, s41
	v_add_u32_e32 v8, v23, v8
	v_lshrrev_b32_e32 v8, s29, v8
	v_mul_lo_u32 v8, v8, s30
	v_sub_u32_e32 v8, v23, v8
	v_mul_lo_u32 v8, v8, s22
	v_add3_u32 v8, v8, v6, s18
	v_ashrrev_i32_e32 v9, 31, v8
	v_lshlrev_b64 v[8:9], 1, v[8:9]
	v_add_co_u32_e32 v8, vcc, s40, v8
	v_addc_co_u32_e32 v9, vcc, v10, v9, vcc
	global_load_ushort v8, v[8:9], off
	s_waitcnt vmcnt(0)
	v_cvt_f32_f16_e32 v8, v8
	v_mul_f32_e32 v8, v30, v8
	s_branch .LBB91_33
.LBB91_32:
	v_mov_b32_e32 v8, 0
.LBB91_33:
	v_add_f32_e32 v7, v7, v8
	v_add_f32_e32 v8, 0x40051340, v7
	v_max_f32_e32 v9, v4, v4
	v_max_f32_e32 v8, v9, v8
.LBB91_34:
	s_or_b64 exec, exec, s[6:7]
	v_mbcnt_hi_u32_b32 v12, -1, v33
	v_and_b32_e32 v9, 0x60, v12
	v_add_u32_e32 v13, 32, v9
	v_xor_b32_e32 v14, 16, v12
	v_cmp_lt_i32_e32 vcc, v14, v13
	v_cndmask_b32_e32 v9, v12, v14, vcc
	v_lshlrev_b32_e32 v9, 2, v9
	ds_bpermute_b32 v9, v9, v8
	v_xor_b32_e32 v15, 8, v12
	v_cmp_lt_i32_e32 vcc, v15, v13
	v_cndmask_b32_e32 v10, v12, v15, vcc
	v_max_f32_e32 v8, v8, v8
	s_waitcnt lgkmcnt(0)
	v_max_f32_e32 v9, v9, v9
	v_lshlrev_b32_e32 v10, 2, v10
	v_max_f32_e32 v8, v8, v9
	ds_bpermute_b32 v9, v10, v8
	v_xor_b32_e32 v16, 4, v12
	v_cmp_lt_i32_e32 vcc, v16, v13
	v_cndmask_b32_e32 v10, v12, v16, vcc
	v_lshlrev_b32_e32 v10, 2, v10
	s_waitcnt lgkmcnt(0)
	v_max_f32_e32 v9, v9, v9
	v_max_f32_e32 v8, v8, v9
	ds_bpermute_b32 v9, v10, v8
	v_xor_b32_e32 v17, 2, v12
	v_cmp_lt_i32_e32 vcc, v17, v13
	v_cndmask_b32_e32 v10, v12, v17, vcc
	v_lshlrev_b32_e32 v10, 2, v10
	s_waitcnt lgkmcnt(0)
	v_max_f32_e32 v9, v9, v9
	;; [unrolled: 8-line block ×3, first 2 shown]
	v_max_f32_e32 v8, v8, v9
	ds_bpermute_b32 v9, v10, v8
	v_cmp_eq_u32_e32 vcc, 0, v0
	s_and_saveexec_b64 s[6:7], vcc
	s_cbranch_execz .LBB91_36
; %bb.35:
	s_waitcnt lgkmcnt(0)
	v_max_f32_e32 v9, v9, v9
	v_max_f32_e32 v8, v8, v8
	;; [unrolled: 1-line block ×3, first 2 shown]
	ds_write_b32 v26, v8 offset:19488
.LBB91_36:
	s_or_b64 exec, exec, s[6:7]
	s_movk_i32 s6, 0xfc
	v_and_or_b32 v8, v1, s6, v32
	v_lshlrev_b32_e32 v8, 2, v8
	s_waitcnt lgkmcnt(0)
	s_barrier
	ds_read_b32 v8, v8 offset:19488
	v_and_b32_e32 v9, 0x7c, v12
	v_add_u32_e32 v9, 4, v9
	v_cmp_lt_i32_e32 vcc, v17, v9
	v_cndmask_b32_e32 v10, v12, v17, vcc
	v_lshlrev_b32_e32 v10, 2, v10
	s_waitcnt lgkmcnt(0)
	ds_bpermute_b32 v10, v10, v8
	v_cmp_lt_i32_e32 vcc, v18, v9
	v_max_f32_e32 v8, v8, v8
	v_cndmask_b32_e32 v9, v12, v18, vcc
	v_lshlrev_b32_e32 v9, 2, v9
	s_waitcnt lgkmcnt(0)
	v_max_f32_e32 v10, v10, v10
	v_max_f32_e32 v8, v8, v10
	ds_bpermute_b32 v9, v9, v8
	v_cmp_gt_u32_e32 vcc, s38, v6
	s_mov_b32 s10, 0x3fb8aa3b
	s_mov_b32 s11, 0xc2ce8ed0
	;; [unrolled: 1-line block ×3, first 2 shown]
	s_waitcnt lgkmcnt(0)
	v_max_f32_e32 v9, v9, v9
	v_max_f32_e32 v19, v8, v9
	v_sub_f32_e32 v6, v7, v19
	v_mul_f32_e32 v7, 0x3fb8aa3b, v6
	v_fma_f32 v8, v6, s10, -v7
	v_rndne_f32_e32 v9, v7
	v_fmac_f32_e32 v8, 0x32a5705f, v6
	v_sub_f32_e32 v7, v7, v9
	v_add_f32_e32 v7, v7, v8
	v_exp_f32_e32 v7, v7
	v_cvt_i32_f32_e32 v8, v9
	v_mov_b32_e32 v9, 0x4800
	v_sub_f32_e32 v4, v4, v19
	v_cmp_ngt_f32_e64 s[6:7], s11, v6
	v_ldexp_f32 v7, v7, v8
	v_and_b32_e32 v8, 0x1f80, v31
	v_lshl_add_u32 v10, v8, 1, v9
	v_mul_f32_e32 v8, 0x3fb8aa3b, v4
	v_fma_f32 v9, v4, s10, -v8
	v_rndne_f32_e32 v11, v8
	v_fmac_f32_e32 v9, 0x32a5705f, v4
	v_sub_f32_e32 v8, v8, v11
	v_add_f32_e32 v8, v8, v9
	v_exp_f32_e32 v8, v8
	v_cvt_i32_f32_e32 v9, v11
	v_cndmask_b32_e64 v7, 0, v7, s[6:7]
	v_cmp_nlt_f32_e64 s[6:7], s12, v6
	v_mov_b32_e32 v6, 0x7f800000
	v_cndmask_b32_e64 v7, v6, v7, s[6:7]
	v_cndmask_b32_e32 v7, 0, v7, vcc
	v_ldexp_f32 v8, v8, v9
	v_cmp_ngt_f32_e32 vcc, s11, v4
	v_cndmask_b32_e32 v8, 0, v8, vcc
	v_cmp_nlt_f32_e32 vcc, s12, v4
	v_cndmask_b32_e32 v4, v6, v8, vcc
	v_fma_f32 v27, v27, v4, v7
	v_cvt_f16_f32_e32 v4, v4
	v_lshl_or_b32 v5, v5, 1, v10
	v_lshl_add_u32 v5, v0, 1, v5
	v_lshl_add_u32 v39, v1, 1, v28
	v_mul_u32_u24_e32 v40, 0x10001, v4
	v_cvt_f16_f32_e32 v4, v7
	s_lshl_b32 s6, s8, 4
	s_mul_hi_i32 s7, s18, s8
	s_mov_b64 s[10:11], src_private_base
	ds_write_b16 v5, v4
	v_mul_lo_u32 v4, s8, v39
	v_lshl_or_b32 v20, v25, 1, v10
	v_lshlrev_b32_e32 v29, 2, v29
	v_mov_b32_e32 v35, 0
	v_add_u32_e32 v8, s6, v4
	v_add_u32_e32 v41, s6, v8
	;; [unrolled: 1-line block ×3, first 2 shown]
	s_mul_i32 s6, s18, s8
	v_ashrrev_i32_e32 v5, 31, v4
	s_lshl_b64 s[6:7], s[6:7], 2
	s_add_u32 s10, s16, s6
	v_lshlrev_b64 v[10:11], 2, v[4:5]
	s_addc_u32 s12, s17, s7
	v_add_co_u32_e64 v4, s[6:7], s10, v10
	v_mov_b32_e32 v5, s12
	v_addc_co_u32_e64 v5, s[6:7], v5, v11, s[6:7]
	v_add_co_u32_e64 v4, s[6:7], v4, v29
	v_cmp_gt_i32_e32 vcc, s38, v39
	v_addc_co_u32_e64 v5, s[6:7], 0, v5, s[6:7]
	v_mov_b32_e32 v34, s11
	v_mov_b32_e32 v36, 0
	buffer_store_dword v35, off, s[0:3], 0
	buffer_store_dword v35, off, s[0:3], 0 offset:4
	buffer_store_dword v35, off, s[0:3], 0 offset:8
	;; [unrolled: 1-line block ×3, first 2 shown]
	v_cndmask_b32_e32 v5, v34, v5, vcc
	v_cndmask_b32_e32 v4, v36, v4, vcc
	flat_load_dwordx4 v[4:7], v[4:5]
	v_lshl_or_b32 v37, v39, 8, v29
	v_ashrrev_i32_e32 v9, 31, v8
	v_add_u32_e32 v38, 16, v39
	v_cmp_gt_i32_e32 vcc, s38, v38
	v_lshl_or_b32 v32, v38, 8, v29
	v_ashrrev_i32_e32 v42, 31, v41
	v_add_u32_e32 v33, 32, v39
	v_ashrrev_i32_e32 v46, 31, v45
	v_lshl_or_b32 v31, v33, 8, v29
	v_add_u32_e32 v30, 48, v39
	v_lshl_or_b32 v21, v30, 8, v29
	s_waitcnt vmcnt(0) lgkmcnt(0)
	ds_write_b128 v37, v[4:7]
	v_lshlrev_b64 v[4:5], 2, v[8:9]
	v_mov_b32_e32 v7, s12
	v_add_co_u32_e64 v6, s[6:7], s10, v4
	v_addc_co_u32_e64 v7, s[6:7], v7, v5, s[6:7]
	v_add_co_u32_e64 v6, s[6:7], v6, v29
	v_addc_co_u32_e64 v7, s[6:7], 0, v7, s[6:7]
	buffer_store_dword v35, off, s[0:3], 0
	buffer_store_dword v35, off, s[0:3], 0 offset:4
	buffer_store_dword v35, off, s[0:3], 0 offset:8
	;; [unrolled: 1-line block ×3, first 2 shown]
	v_cndmask_b32_e32 v7, v34, v7, vcc
	v_cndmask_b32_e32 v6, v36, v6, vcc
	flat_load_dwordx4 v[6:9], v[6:7]
	v_cmp_gt_i32_e32 vcc, s38, v33
	s_waitcnt vmcnt(0) lgkmcnt(0)
	ds_write_b128 v32, v[6:9]
	v_lshlrev_b64 v[6:7], 2, v[41:42]
	v_mov_b32_e32 v9, s12
	v_add_co_u32_e64 v8, s[6:7], s10, v6
	v_addc_co_u32_e64 v9, s[6:7], v9, v7, s[6:7]
	v_add_co_u32_e64 v8, s[6:7], v8, v29
	v_addc_co_u32_e64 v9, s[6:7], 0, v9, s[6:7]
	buffer_store_dword v35, off, s[0:3], 0
	buffer_store_dword v35, off, s[0:3], 0 offset:4
	buffer_store_dword v35, off, s[0:3], 0 offset:8
	;; [unrolled: 1-line block ×3, first 2 shown]
	v_cndmask_b32_e32 v9, v34, v9, vcc
	v_cndmask_b32_e32 v8, v36, v8, vcc
	flat_load_dwordx4 v[41:44], v[8:9]
	v_lshlrev_b64 v[8:9], 2, v[45:46]
	v_cmp_gt_i32_e32 vcc, s38, v30
	v_add_co_u32_e64 v28, s[6:7], s10, v8
	s_waitcnt vmcnt(0) lgkmcnt(0)
	ds_write_b128 v31, v[41:44]
	v_mov_b32_e32 v41, s12
	v_addc_co_u32_e64 v41, s[6:7], v41, v9, s[6:7]
	v_add_co_u32_e64 v28, s[6:7], v28, v29
	v_addc_co_u32_e64 v41, s[6:7], 0, v41, s[6:7]
	buffer_store_dword v35, off, s[0:3], 0
	buffer_store_dword v35, off, s[0:3], 0 offset:4
	buffer_store_dword v35, off, s[0:3], 0 offset:8
	;; [unrolled: 1-line block ×3, first 2 shown]
	v_cndmask_b32_e32 v42, v34, v41, vcc
	v_cndmask_b32_e32 v41, v36, v28, vcc
	flat_load_dwordx4 v[41:44], v[41:42]
	v_lshl_add_u32 v28, v25, 8, v24
	s_or_b32 s6, s18, 64
	s_mul_hi_i32 s7, s6, s8
	s_mul_i32 s6, s6, s8
	s_lshl_b64 s[6:7], s[6:7], 2
	s_add_u32 s8, s16, s6
	s_addc_u32 s10, s17, s7
	s_sub_i32 s11, s38, 64
	v_cmp_gt_i32_e32 vcc, s11, v39
	v_add_co_u32_e64 v10, s[6:7], s8, v10
	v_mov_b32_e32 v39, s10
	v_addc_co_u32_e64 v11, s[6:7], v39, v11, s[6:7]
	v_add_co_u32_e64 v10, s[6:7], v10, v29
	v_addc_co_u32_e64 v11, s[6:7], 0, v11, s[6:7]
	v_cndmask_b32_e32 v11, v34, v11, vcc
	v_cndmask_b32_e32 v10, v36, v10, vcc
	v_add_co_u32_e64 v4, s[6:7], s8, v4
	v_cmp_gt_i32_e32 vcc, s11, v38
	s_waitcnt vmcnt(0) lgkmcnt(0)
	ds_write_b128 v21, v[41:44]
	s_waitcnt lgkmcnt(0)
	s_barrier
	ds_read2st64_b64 v[41:44], v28 offset1:2
	ds_read_u16 v45, v20
	ds_read_u16 v46, v20 offset:8
	ds_read_u16 v47, v20 offset:16
	;; [unrolled: 1-line block ×7, first 2 shown]
	s_waitcnt lgkmcnt(7)
	v_mul_u32_u24_e32 v45, 0x10001, v45
	v_pk_mul_f16 v41, v41, v45
	v_pk_fma_f16 v2, v2, v40, v41
	v_pk_mul_f16 v41, v42, v45
	v_pk_fma_f16 v3, v3, v40, v41
	s_waitcnt lgkmcnt(6)
	v_mul_u32_u24_e32 v40, 0x10001, v46
	v_pk_fma_f16 v2, v43, v40, v2
	v_pk_fma_f16 v3, v44, v40, v3
	ds_read2st64_b64 v[40:43], v28 offset0:4 offset1:6
	s_waitcnt lgkmcnt(6)
	v_mul_u32_u24_e32 v44, 0x10001, v47
	s_waitcnt lgkmcnt(0)
	v_pk_fma_f16 v2, v40, v44, v2
	v_pk_fma_f16 v3, v41, v44, v3
	v_mul_u32_u24_e32 v40, 0x10001, v48
	v_pk_fma_f16 v2, v42, v40, v2
	v_pk_fma_f16 v3, v43, v40, v3
	ds_read2st64_b64 v[40:43], v28 offset0:8 offset1:10
	v_mul_u32_u24_e32 v44, 0x10001, v49
	s_waitcnt lgkmcnt(0)
	v_pk_fma_f16 v2, v40, v44, v2
	v_pk_fma_f16 v3, v41, v44, v3
	v_mul_u32_u24_e32 v40, 0x10001, v50
	v_pk_fma_f16 v2, v42, v40, v2
	v_pk_fma_f16 v3, v43, v40, v3
	ds_read2st64_b64 v[40:43], v28 offset0:12 offset1:14
	;; [unrolled: 8-line block ×3, first 2 shown]
	ds_read_u16 v44, v20 offset:64
	s_waitcnt lgkmcnt(0)
	v_mul_u32_u24_e32 v44, 0x10001, v44
	v_pk_fma_f16 v2, v40, v44, v2
	ds_read_u16 v40, v20 offset:72
	v_pk_fma_f16 v3, v41, v44, v3
	s_waitcnt lgkmcnt(0)
	v_mul_u32_u24_e32 v40, 0x10001, v40
	v_pk_fma_f16 v2, v42, v40, v2
	v_pk_fma_f16 v3, v43, v40, v3
	ds_read2st64_b64 v[40:43], v28 offset0:20 offset1:22
	ds_read_u16 v44, v20 offset:80
	s_waitcnt lgkmcnt(0)
	v_mul_u32_u24_e32 v44, 0x10001, v44
	v_pk_fma_f16 v2, v40, v44, v2
	ds_read_u16 v40, v20 offset:88
	v_pk_fma_f16 v3, v41, v44, v3
	s_waitcnt lgkmcnt(0)
	v_mul_u32_u24_e32 v40, 0x10001, v40
	v_pk_fma_f16 v2, v42, v40, v2
	v_pk_fma_f16 v3, v43, v40, v3
	ds_read2st64_b64 v[40:43], v28 offset0:24 offset1:26
	;; [unrolled: 11-line block ×3, first 2 shown]
	ds_read_u16 v44, v20 offset:112
	s_waitcnt lgkmcnt(0)
	v_mul_u32_u24_e32 v44, 0x10001, v44
	v_pk_fma_f16 v2, v40, v44, v2
	ds_read_u16 v40, v20 offset:120
	v_pk_fma_f16 v3, v41, v44, v3
	s_waitcnt lgkmcnt(0)
	s_barrier
	v_mul_u32_u24_e32 v40, 0x10001, v40
	buffer_store_dword v35, off, s[0:3], 0
	buffer_store_dword v35, off, s[0:3], 0 offset:4
	buffer_store_dword v35, off, s[0:3], 0 offset:8
	buffer_store_dword v35, off, s[0:3], 0 offset:12
	v_pk_fma_f16 v2, v42, v40, v2
	v_pk_fma_f16 v3, v43, v40, v3
	flat_load_dwordx4 v[39:42], v[10:11]
	v_mov_b32_e32 v10, s10
	v_addc_co_u32_e64 v5, s[6:7], v10, v5, s[6:7]
	v_add_co_u32_e64 v4, s[6:7], v4, v29
	v_addc_co_u32_e64 v5, s[6:7], 0, v5, s[6:7]
	v_cndmask_b32_e32 v5, v34, v5, vcc
	v_cndmask_b32_e32 v4, v36, v4, vcc
	v_cmp_gt_i32_e32 vcc, s11, v33
	s_waitcnt vmcnt(0) lgkmcnt(0)
	ds_write_b128 v37, v[39:42]
	buffer_store_dword v35, off, s[0:3], 0
	buffer_store_dword v35, off, s[0:3], 0 offset:4
	buffer_store_dword v35, off, s[0:3], 0 offset:8
	;; [unrolled: 1-line block ×3, first 2 shown]
	flat_load_dwordx4 v[37:40], v[4:5]
	v_add_co_u32_e64 v4, s[6:7], s8, v6
	v_mov_b32_e32 v5, s10
	v_addc_co_u32_e64 v5, s[6:7], v5, v7, s[6:7]
	v_add_co_u32_e64 v4, s[6:7], v4, v29
	v_addc_co_u32_e64 v5, s[6:7], 0, v5, s[6:7]
	v_cndmask_b32_e32 v5, v34, v5, vcc
	v_cndmask_b32_e32 v4, v36, v4, vcc
	v_cmp_gt_i32_e32 vcc, s11, v30
	s_waitcnt vmcnt(0) lgkmcnt(0)
	ds_write_b128 v32, v[37:40]
	buffer_store_dword v35, off, s[0:3], 0
	buffer_store_dword v35, off, s[0:3], 0 offset:4
	buffer_store_dword v35, off, s[0:3], 0 offset:8
	;; [unrolled: 1-line block ×3, first 2 shown]
	flat_load_dwordx4 v[4:7], v[4:5]
	s_waitcnt vmcnt(0) lgkmcnt(0)
	ds_write_b128 v31, v[4:7]
	v_add_co_u32_e64 v4, s[6:7], s8, v8
	v_mov_b32_e32 v5, s10
	v_addc_co_u32_e64 v5, s[6:7], v5, v9, s[6:7]
	v_add_co_u32_e64 v4, s[6:7], v4, v29
	v_addc_co_u32_e64 v5, s[6:7], 0, v5, s[6:7]
	buffer_store_dword v35, off, s[0:3], 0
	buffer_store_dword v35, off, s[0:3], 0 offset:4
	buffer_store_dword v35, off, s[0:3], 0 offset:8
	;; [unrolled: 1-line block ×3, first 2 shown]
	v_cndmask_b32_e32 v5, v34, v5, vcc
	v_cndmask_b32_e32 v4, v36, v4, vcc
	flat_load_dwordx4 v[4:7], v[4:5]
	s_waitcnt vmcnt(0) lgkmcnt(0)
	ds_write_b128 v21, v[4:7]
	s_waitcnt lgkmcnt(0)
	s_barrier
	ds_read2st64_b64 v[4:7], v28 offset1:2
	ds_read_u16 v8, v20 offset:128
	ds_read_u16 v9, v20 offset:136
	;; [unrolled: 1-line block ×8, first 2 shown]
	s_waitcnt lgkmcnt(7)
	v_mul_u32_u24_e32 v8, 0x10001, v8
	v_pk_fma_f16 v2, v4, v8, v2
	v_pk_fma_f16 v3, v5, v8, v3
	s_waitcnt lgkmcnt(6)
	v_mul_u32_u24_e32 v4, 0x10001, v9
	v_pk_fma_f16 v6, v6, v4, v2
	v_pk_fma_f16 v7, v7, v4, v3
	ds_read2st64_b64 v[2:5], v28 offset0:4 offset1:6
	s_waitcnt lgkmcnt(6)
	v_mul_u32_u24_e32 v8, 0x10001, v10
	s_waitcnt lgkmcnt(0)
	v_pk_fma_f16 v2, v2, v8, v6
	v_pk_fma_f16 v3, v3, v8, v7
	v_mul_u32_u24_e32 v6, 0x10001, v11
	v_pk_fma_f16 v7, v4, v6, v2
	v_pk_fma_f16 v6, v5, v6, v3
	ds_read2st64_b64 v[2:5], v28 offset0:8 offset1:10
	v_mul_u32_u24_e32 v8, 0x10001, v21
	s_waitcnt lgkmcnt(0)
	v_pk_fma_f16 v2, v2, v8, v7
	v_pk_fma_f16 v3, v3, v8, v6
	v_mul_u32_u24_e32 v6, 0x10001, v29
	v_pk_fma_f16 v7, v4, v6, v2
	v_pk_fma_f16 v6, v5, v6, v3
	ds_read2st64_b64 v[2:5], v28 offset0:12 offset1:14
	;; [unrolled: 8-line block ×3, first 2 shown]
	ds_read_u16 v8, v20 offset:192
	s_waitcnt lgkmcnt(0)
	v_mul_u32_u24_e32 v8, 0x10001, v8
	v_pk_fma_f16 v3, v3, v8, v6
	ds_read_u16 v6, v20 offset:200
	v_pk_fma_f16 v2, v2, v8, v7
	s_waitcnt lgkmcnt(0)
	v_mul_u32_u24_e32 v6, 0x10001, v6
	v_pk_fma_f16 v7, v4, v6, v2
	v_pk_fma_f16 v6, v5, v6, v3
	ds_read2st64_b64 v[2:5], v28 offset0:20 offset1:22
	ds_read_u16 v8, v20 offset:208
	s_waitcnt lgkmcnt(0)
	v_mul_u32_u24_e32 v8, 0x10001, v8
	v_pk_fma_f16 v3, v3, v8, v6
	ds_read_u16 v6, v20 offset:216
	v_pk_fma_f16 v2, v2, v8, v7
	s_waitcnt lgkmcnt(0)
	v_mul_u32_u24_e32 v6, 0x10001, v6
	v_pk_fma_f16 v7, v4, v6, v2
	v_pk_fma_f16 v6, v5, v6, v3
	ds_read2st64_b64 v[2:5], v28 offset0:24 offset1:26
	ds_read_u16 v8, v20 offset:224
	s_waitcnt lgkmcnt(0)
	v_mul_u32_u24_e32 v8, 0x10001, v8
	v_pk_fma_f16 v3, v3, v8, v6
	ds_read_u16 v6, v20 offset:232
	v_pk_fma_f16 v2, v2, v8, v7
	s_waitcnt lgkmcnt(0)
	v_mul_u32_u24_e32 v6, 0x10001, v6
	v_pk_fma_f16 v7, v4, v6, v2
	v_pk_fma_f16 v6, v5, v6, v3
	ds_read2st64_b64 v[2:5], v28 offset0:28 offset1:30
	ds_read_u16 v8, v20 offset:240
	s_waitcnt lgkmcnt(0)
	v_mul_u32_u24_e32 v8, 0x10001, v8
	v_pk_fma_f16 v3, v3, v8, v6
	ds_read_u16 v6, v20 offset:248
	v_pk_fma_f16 v2, v2, v8, v7
	s_waitcnt lgkmcnt(0)
	s_barrier
	v_mul_u32_u24_e32 v6, 0x10001, v6
	v_pk_fma_f16 v2, v4, v6, v2
	v_pk_fma_f16 v3, v5, v6, v3
	v_mov_b32_e32 v4, v19
.LBB91_37:
	v_cmp_lt_i32_e32 vcc, v14, v13
	v_cndmask_b32_e32 v5, v12, v14, vcc
	v_lshlrev_b32_e32 v5, 2, v5
	ds_bpermute_b32 v5, v5, v27
	v_cmp_lt_i32_e32 vcc, v15, v13
	v_cndmask_b32_e32 v6, v12, v15, vcc
	v_lshlrev_b32_e32 v6, 2, v6
	v_cmp_lt_i32_e32 vcc, v16, v13
	s_waitcnt lgkmcnt(0)
	v_add_f32_e32 v5, v27, v5
	ds_bpermute_b32 v6, v6, v5
	v_cndmask_b32_e32 v7, v12, v16, vcc
	v_lshlrev_b32_e32 v7, 2, v7
	v_cmp_lt_i32_e32 vcc, v17, v13
	v_cmp_ne_u32_e64 s[6:7], 0, v25
	s_waitcnt lgkmcnt(0)
	v_add_f32_e32 v5, v5, v6
	ds_bpermute_b32 v6, v7, v5
	v_cndmask_b32_e32 v7, v12, v17, vcc
	v_lshlrev_b32_e32 v7, 2, v7
	v_cmp_lt_i32_e32 vcc, v18, v13
	v_lshl_add_u32 v1, v1, 8, v24
	s_waitcnt lgkmcnt(0)
	v_add_f32_e32 v5, v5, v6
	ds_bpermute_b32 v6, v7, v5
	v_cndmask_b32_e32 v7, v12, v18, vcc
	v_lshlrev_b32_e32 v7, 2, v7
	v_cmp_eq_u32_e32 vcc, 0, v25
	s_waitcnt lgkmcnt(0)
	v_add_f32_e32 v5, v5, v6
	ds_bpermute_b32 v6, v7, v5
	s_waitcnt lgkmcnt(0)
	v_add_f32_e32 v5, v5, v6
	s_and_saveexec_b64 s[10:11], s[6:7]
	s_xor_b64 s[10:11], exec, s[10:11]
	s_cbranch_execnz .LBB91_41
; %bb.38:
	s_andn2_saveexec_b64 s[6:7], s[10:11]
	s_cbranch_execnz .LBB91_44
.LBB91_39:
	s_or_b64 exec, exec, s[6:7]
	s_and_saveexec_b64 s[6:7], vcc
	s_cbranch_execnz .LBB91_45
.LBB91_40:
	s_endpgm
.LBB91_41:
	v_cmp_eq_u32_e64 s[6:7], 0, v0
	ds_write_b64 v1, v[2:3]
	s_and_saveexec_b64 s[12:13], s[6:7]
; %bb.42:
	ds_write_b32 v26, v5 offset:18944
; %bb.43:
	s_or_b64 exec, exec, s[12:13]
                                        ; implicit-def: $vgpr1
                                        ; implicit-def: $vgpr26
	s_andn2_saveexec_b64 s[6:7], s[10:11]
	s_cbranch_execz .LBB91_39
.LBB91_44:
	s_waitcnt lgkmcnt(0)
	s_barrier
	ds_read2_b64 v[6:9], v1 offset0:32 offset1:64
	v_add_u32_e32 v10, 0x4a04, v26
	ds_read2_b32 v[10:11], v10 offset1:1
	s_waitcnt lgkmcnt(1)
	v_pk_add_f16 v6, v6, v2
	v_pk_add_f16 v7, v7, v3
	ds_read_b64 v[2:3], v1 offset:768
	ds_read_b32 v1, v26 offset:18956
	s_waitcnt lgkmcnt(2)
	v_add_f32_e32 v5, v5, v10
	v_pk_add_f16 v6, v8, v6
	v_pk_add_f16 v7, v9, v7
	v_add_f32_e32 v5, v5, v11
	s_waitcnt lgkmcnt(1)
	v_pk_add_f16 v2, v2, v6
	v_pk_add_f16 v3, v3, v7
	s_waitcnt lgkmcnt(0)
	v_add_f32_e32 v5, v5, v1
	s_or_b64 exec, exec, s[6:7]
	s_and_saveexec_b64 s[6:7], vcc
	s_cbranch_execz .LBB91_40
.LBB91_45:
	s_cmp_eq_u64 s[20:21], 0
	s_cselect_b64 s[6:7], -1, 0
	s_cmp_lg_u32 s9, 0
	s_cselect_b64 s[10:11], -1, 0
	s_or_b64 s[6:7], s[10:11], s[6:7]
	s_and_b64 vcc, exec, s[6:7]
	s_cbranch_vccnz .LBB91_47
; %bb.46:
	s_lshl_b64 s[6:7], s[34:35], 2
	s_add_u32 s6, s20, s6
	s_addc_u32 s7, s21, s7
	v_mov_b32_e32 v1, 0
	global_load_dword v1, v1, s[6:7]
	v_max_f32_e32 v6, v4, v4
	s_mov_b32 s6, 0x3fb8aa3b
	s_mov_b32 s7, 0xc2ce8ed0
	s_waitcnt vmcnt(0)
	v_max_f32_e32 v7, v1, v1
	v_max_f32_e32 v6, v6, v7
	v_sub_f32_e32 v4, v4, v6
	v_sub_f32_e32 v1, v1, v6
	v_mul_f32_e32 v7, 0x3fb8aa3b, v4
	v_mul_f32_e32 v8, 0x3fb8aa3b, v1
	v_fma_f32 v9, v4, s6, -v7
	v_rndne_f32_e32 v10, v7
	v_fma_f32 v11, v1, s6, -v8
	v_rndne_f32_e32 v12, v8
	v_fmac_f32_e32 v9, 0x32a5705f, v4
	v_sub_f32_e32 v7, v7, v10
	v_fmac_f32_e32 v11, 0x32a5705f, v1
	v_sub_f32_e32 v8, v8, v12
	v_add_f32_e32 v7, v7, v9
	v_cvt_i32_f32_e32 v10, v10
	v_add_f32_e32 v8, v8, v11
	v_exp_f32_e32 v7, v7
	v_cvt_i32_f32_e32 v12, v12
	v_exp_f32_e32 v8, v8
	v_cmp_ngt_f32_e32 vcc, s7, v4
	v_ldexp_f32 v7, v7, v10
	s_mov_b32 s6, 0x42b17218
	v_ldexp_f32 v8, v8, v12
	v_cndmask_b32_e32 v7, 0, v7, vcc
	v_cmp_ngt_f32_e32 vcc, s7, v1
	v_mov_b32_e32 v9, 0x7f800000
	v_cndmask_b32_e32 v8, 0, v8, vcc
	v_cmp_nlt_f32_e32 vcc, s6, v4
	v_cndmask_b32_e32 v4, v9, v7, vcc
	v_cvt_f16_f32_e32 v7, v4
	v_cmp_nlt_f32_e32 vcc, s6, v1
	v_cndmask_b32_e32 v1, v9, v8, vcc
	v_fmac_f32_e32 v1, v5, v4
	v_mov_b32_e32 v5, v1
	v_mul_u32_u24_e32 v1, 0x10001, v7
	v_pk_mul_f16 v2, v2, v1
	v_pk_mul_f16 v3, v3, v1
	v_mov_b32_e32 v4, v6
.LBB91_47:
	v_cmp_gt_i32_e32 vcc, s30, v23
	s_and_b64 exec, exec, vcc
	s_cbranch_execz .LBB91_40
; %bb.48:
	v_div_scale_f32 v1, s[6:7], v5, v5, 1.0
	v_div_scale_f32 v6, vcc, 1.0, v5, 1.0
	s_mul_i32 s33, s33, s30
	v_add_u32_e32 v10, s33, v23
	s_load_dword s4, s[4:5], 0xd4
	v_mul_lo_u32 v10, v10, s31
	v_mov_b32_e32 v7, 0
	v_mov_b32_e32 v9, s25
	s_waitcnt lgkmcnt(0)
	s_cmp_lg_u32 s4, 1
	v_rcp_f32_e32 v8, v1
	v_fma_f32 v11, -v1, v8, 1.0
	v_fmac_f32_e32 v8, v11, v8
	v_mul_f32_e32 v11, v6, v8
	v_fma_f32 v12, -v1, v11, v6
	v_fmac_f32_e32 v11, v12, v8
	v_fma_f32 v1, -v1, v11, v6
	v_div_fmas_f32 v8, v1, v8, v11
	v_cmp_eq_u32_e32 vcc, 0, v0
	v_add_u32_e32 v0, s34, v10
	v_mul_lo_u32 v0, s4, v0
	v_cvt_f32_f16_e32 v11, v2
	v_cvt_f32_f16_sdwa v12, v2 dst_sel:DWORD dst_unused:UNUSED_PAD src0_sel:WORD_1
	v_cvt_f32_f16_e32 v10, v3
	v_add_u32_e32 v0, s9, v0
	v_lshl_add_u32 v6, v0, 7, v22
	v_lshlrev_b64 v[1:2], 2, v[6:7]
	v_cvt_f32_f16_sdwa v3, v3 dst_sel:DWORD dst_unused:UNUSED_PAD src0_sel:WORD_1
	v_add_co_u32_e64 v1, s[4:5], s24, v1
	v_addc_co_u32_e64 v2, s[4:5], v9, v2, s[4:5]
	s_cselect_b64 s[4:5], -1, 0
	v_div_fixup_f32 v6, v8, v5, 1.0
	v_cndmask_b32_e64 v9, v6, 1.0, s[4:5]
	s_and_b64 s[4:5], vcc, s[4:5]
	v_mul_f32_e32 v6, v9, v11
	v_mul_f32_e32 v7, v9, v12
	;; [unrolled: 1-line block ×4, first 2 shown]
	global_store_dwordx4 v[1:2], v[6:9], off
	s_and_b64 exec, exec, s[4:5]
	s_cbranch_execz .LBB91_40
; %bb.49:
	v_ashrrev_i32_e32 v1, 31, v0
	v_lshlrev_b64 v[0:1], 3, v[0:1]
	v_mov_b32_e32 v2, s27
	v_add_co_u32_e32 v0, vcc, s26, v0
	v_addc_co_u32_e32 v1, vcc, v2, v1, vcc
	global_store_dwordx2 v[0:1], v[4:5], off
	s_endpgm
	.section	.rodata,"a",@progbits
	.p2align	6, 0x0
	.amdhsa_kernel _ZL15flash_attn_tileILi128ELi128ELi2ELi1ELb1EEvPKcS1_S1_S1_S1_PKiPfP15HIP_vector_typeIfLj2EEffffjfiS5_IjLj3EEiiiiiiiiiiiliiliiiiil
		.amdhsa_group_segment_fixed_size 19520
		.amdhsa_private_segment_fixed_size 32
		.amdhsa_kernarg_size 464
		.amdhsa_user_sgpr_count 8
		.amdhsa_user_sgpr_private_segment_buffer 1
		.amdhsa_user_sgpr_dispatch_ptr 0
		.amdhsa_user_sgpr_queue_ptr 0
		.amdhsa_user_sgpr_kernarg_segment_ptr 1
		.amdhsa_user_sgpr_dispatch_id 0
		.amdhsa_user_sgpr_flat_scratch_init 1
		.amdhsa_user_sgpr_private_segment_size 0
		.amdhsa_uses_dynamic_stack 0
		.amdhsa_system_sgpr_private_segment_wavefront_offset 1
		.amdhsa_system_sgpr_workgroup_id_x 1
		.amdhsa_system_sgpr_workgroup_id_y 1
		.amdhsa_system_sgpr_workgroup_id_z 1
		.amdhsa_system_sgpr_workgroup_info 0
		.amdhsa_system_vgpr_workitem_id 1
		.amdhsa_next_free_vgpr 84
		.amdhsa_next_free_sgpr 96
		.amdhsa_reserve_vcc 1
		.amdhsa_reserve_flat_scratch 1
		.amdhsa_float_round_mode_32 0
		.amdhsa_float_round_mode_16_64 0
		.amdhsa_float_denorm_mode_32 3
		.amdhsa_float_denorm_mode_16_64 3
		.amdhsa_dx10_clamp 1
		.amdhsa_ieee_mode 1
		.amdhsa_fp16_overflow 0
		.amdhsa_exception_fp_ieee_invalid_op 0
		.amdhsa_exception_fp_denorm_src 0
		.amdhsa_exception_fp_ieee_div_zero 0
		.amdhsa_exception_fp_ieee_overflow 0
		.amdhsa_exception_fp_ieee_underflow 0
		.amdhsa_exception_fp_ieee_inexact 0
		.amdhsa_exception_int_div_zero 0
	.end_amdhsa_kernel
	.section	.text._ZL15flash_attn_tileILi128ELi128ELi2ELi1ELb1EEvPKcS1_S1_S1_S1_PKiPfP15HIP_vector_typeIfLj2EEffffjfiS5_IjLj3EEiiiiiiiiiiiliiliiiiil,"axG",@progbits,_ZL15flash_attn_tileILi128ELi128ELi2ELi1ELb1EEvPKcS1_S1_S1_S1_PKiPfP15HIP_vector_typeIfLj2EEffffjfiS5_IjLj3EEiiiiiiiiiiiliiliiiiil,comdat
.Lfunc_end91:
	.size	_ZL15flash_attn_tileILi128ELi128ELi2ELi1ELb1EEvPKcS1_S1_S1_S1_PKiPfP15HIP_vector_typeIfLj2EEffffjfiS5_IjLj3EEiiiiiiiiiiiliiliiiiil, .Lfunc_end91-_ZL15flash_attn_tileILi128ELi128ELi2ELi1ELb1EEvPKcS1_S1_S1_S1_PKiPfP15HIP_vector_typeIfLj2EEffffjfiS5_IjLj3EEiiiiiiiiiiiliiliiiiil
                                        ; -- End function
	.set _ZL15flash_attn_tileILi128ELi128ELi2ELi1ELb1EEvPKcS1_S1_S1_S1_PKiPfP15HIP_vector_typeIfLj2EEffffjfiS5_IjLj3EEiiiiiiiiiiiliiliiiiil.num_vgpr, 84
	.set _ZL15flash_attn_tileILi128ELi128ELi2ELi1ELb1EEvPKcS1_S1_S1_S1_PKiPfP15HIP_vector_typeIfLj2EEffffjfiS5_IjLj3EEiiiiiiiiiiiliiliiiiil.num_agpr, 0
	.set _ZL15flash_attn_tileILi128ELi128ELi2ELi1ELb1EEvPKcS1_S1_S1_S1_PKiPfP15HIP_vector_typeIfLj2EEffffjfiS5_IjLj3EEiiiiiiiiiiiliiliiiiil.numbered_sgpr, 52
	.set _ZL15flash_attn_tileILi128ELi128ELi2ELi1ELb1EEvPKcS1_S1_S1_S1_PKiPfP15HIP_vector_typeIfLj2EEffffjfiS5_IjLj3EEiiiiiiiiiiiliiliiiiil.num_named_barrier, 0
	.set _ZL15flash_attn_tileILi128ELi128ELi2ELi1ELb1EEvPKcS1_S1_S1_S1_PKiPfP15HIP_vector_typeIfLj2EEffffjfiS5_IjLj3EEiiiiiiiiiiiliiliiiiil.private_seg_size, 32
	.set _ZL15flash_attn_tileILi128ELi128ELi2ELi1ELb1EEvPKcS1_S1_S1_S1_PKiPfP15HIP_vector_typeIfLj2EEffffjfiS5_IjLj3EEiiiiiiiiiiiliiliiiiil.uses_vcc, 1
	.set _ZL15flash_attn_tileILi128ELi128ELi2ELi1ELb1EEvPKcS1_S1_S1_S1_PKiPfP15HIP_vector_typeIfLj2EEffffjfiS5_IjLj3EEiiiiiiiiiiiliiliiiiil.uses_flat_scratch, 1
	.set _ZL15flash_attn_tileILi128ELi128ELi2ELi1ELb1EEvPKcS1_S1_S1_S1_PKiPfP15HIP_vector_typeIfLj2EEffffjfiS5_IjLj3EEiiiiiiiiiiiliiliiiiil.has_dyn_sized_stack, 0
	.set _ZL15flash_attn_tileILi128ELi128ELi2ELi1ELb1EEvPKcS1_S1_S1_S1_PKiPfP15HIP_vector_typeIfLj2EEffffjfiS5_IjLj3EEiiiiiiiiiiiliiliiiiil.has_recursion, 0
	.set _ZL15flash_attn_tileILi128ELi128ELi2ELi1ELb1EEvPKcS1_S1_S1_S1_PKiPfP15HIP_vector_typeIfLj2EEffffjfiS5_IjLj3EEiiiiiiiiiiiliiliiiiil.has_indirect_call, 0
	.section	.AMDGPU.csdata,"",@progbits
; Kernel info:
; codeLenInByte = 12280
; TotalNumSgprs: 58
; NumVgprs: 84
; ScratchSize: 32
; MemoryBound: 0
; FloatMode: 240
; IeeeMode: 1
; LDSByteSize: 19520 bytes/workgroup (compile time only)
; SGPRBlocks: 12
; VGPRBlocks: 20
; NumSGPRsForWavesPerEU: 102
; NumVGPRsForWavesPerEU: 84
; Occupancy: 3
; WaveLimiterHint : 1
; COMPUTE_PGM_RSRC2:SCRATCH_EN: 1
; COMPUTE_PGM_RSRC2:USER_SGPR: 8
; COMPUTE_PGM_RSRC2:TRAP_HANDLER: 0
; COMPUTE_PGM_RSRC2:TGID_X_EN: 1
; COMPUTE_PGM_RSRC2:TGID_Y_EN: 1
; COMPUTE_PGM_RSRC2:TGID_Z_EN: 1
; COMPUTE_PGM_RSRC2:TIDIG_COMP_CNT: 1
	.section	.AMDGPU.gpr_maximums,"",@progbits
	.set amdgpu.max_num_vgpr, 0
	.set amdgpu.max_num_agpr, 0
	.set amdgpu.max_num_sgpr, 0
	.section	.AMDGPU.csdata,"",@progbits
	.type	__hip_cuid_3bd71dd44f4972d9,@object ; @__hip_cuid_3bd71dd44f4972d9
	.section	.bss,"aw",@nobits
	.globl	__hip_cuid_3bd71dd44f4972d9
__hip_cuid_3bd71dd44f4972d9:
	.byte	0                               ; 0x0
	.size	__hip_cuid_3bd71dd44f4972d9, 1

	.ident	"AMD clang version 22.0.0git (https://github.com/RadeonOpenCompute/llvm-project roc-7.2.4 26084 f58b06dce1f9c15707c5f808fd002e18c2accf7e)"
	.section	".note.GNU-stack","",@progbits
	.addrsig
	.addrsig_sym __hip_cuid_3bd71dd44f4972d9
	.amdgpu_metadata
---
amdhsa.kernels:
  - .args:
      - .address_space:  global
        .offset:         0
        .size:           8
        .value_kind:     global_buffer
      - .address_space:  global
        .offset:         8
        .size:           8
        .value_kind:     global_buffer
      - .address_space:  global
        .offset:         16
        .size:           8
        .value_kind:     global_buffer
      - .address_space:  global
        .offset:         24
        .size:           8
        .value_kind:     global_buffer
      - .address_space:  global
        .offset:         32
        .size:           8
        .value_kind:     global_buffer
      - .address_space:  global
        .offset:         40
        .size:           8
        .value_kind:     global_buffer
      - .address_space:  global
        .offset:         48
        .size:           8
        .value_kind:     global_buffer
      - .address_space:  global
        .offset:         56
        .size:           8
        .value_kind:     global_buffer
      - .offset:         64
        .size:           4
        .value_kind:     by_value
      - .offset:         68
        .size:           4
        .value_kind:     by_value
      - .offset:         72
        .size:           4
        .value_kind:     by_value
      - .offset:         76
        .size:           4
        .value_kind:     by_value
      - .offset:         80
        .size:           4
        .value_kind:     by_value
      - .offset:         84
        .size:           4
        .value_kind:     by_value
      - .offset:         88
        .size:           4
        .value_kind:     by_value
      - .offset:         92
        .size:           12
        .value_kind:     by_value
      - .offset:         104
        .size:           4
        .value_kind:     by_value
      - .offset:         108
        .size:           4
        .value_kind:     by_value
      - .offset:         112
        .size:           4
        .value_kind:     by_value
      - .offset:         116
        .size:           4
        .value_kind:     by_value
      - .offset:         120
        .size:           4
        .value_kind:     by_value
      - .offset:         124
        .size:           4
        .value_kind:     by_value
      - .offset:         128
        .size:           4
        .value_kind:     by_value
      - .offset:         132
        .size:           4
        .value_kind:     by_value
      - .offset:         136
        .size:           4
        .value_kind:     by_value
      - .offset:         140
        .size:           4
        .value_kind:     by_value
      - .offset:         144
        .size:           4
        .value_kind:     by_value
      - .offset:         152
        .size:           8
        .value_kind:     by_value
      - .offset:         160
        .size:           4
        .value_kind:     by_value
      - .offset:         164
        .size:           4
        .value_kind:     by_value
      - .offset:         168
        .size:           8
        .value_kind:     by_value
      - .offset:         176
        .size:           4
        .value_kind:     by_value
      - .offset:         180
        .size:           4
        .value_kind:     by_value
      - .offset:         184
        .size:           4
        .value_kind:     by_value
      - .offset:         188
        .size:           4
        .value_kind:     by_value
      - .offset:         192
        .size:           4
        .value_kind:     by_value
      - .offset:         200
        .size:           8
        .value_kind:     by_value
      - .offset:         208
        .size:           4
        .value_kind:     hidden_block_count_x
      - .offset:         212
        .size:           4
        .value_kind:     hidden_block_count_y
      - .offset:         216
        .size:           4
        .value_kind:     hidden_block_count_z
      - .offset:         220
        .size:           2
        .value_kind:     hidden_group_size_x
      - .offset:         222
        .size:           2
        .value_kind:     hidden_group_size_y
      - .offset:         224
        .size:           2
        .value_kind:     hidden_group_size_z
      - .offset:         226
        .size:           2
        .value_kind:     hidden_remainder_x
      - .offset:         228
        .size:           2
        .value_kind:     hidden_remainder_y
      - .offset:         230
        .size:           2
        .value_kind:     hidden_remainder_z
      - .offset:         248
        .size:           8
        .value_kind:     hidden_global_offset_x
      - .offset:         256
        .size:           8
        .value_kind:     hidden_global_offset_y
      - .offset:         264
        .size:           8
        .value_kind:     hidden_global_offset_z
      - .offset:         272
        .size:           2
        .value_kind:     hidden_grid_dims
    .group_segment_fixed_size: 29696
    .kernarg_segment_align: 8
    .kernarg_segment_size: 464
    .language:       OpenCL C
    .language_version:
      - 2
      - 0
    .max_flat_workgroup_size: 256
    .name:           _ZL15flash_attn_tileILi128ELi128ELi8ELi8ELb0EEvPKcS1_S1_S1_S1_PKiPfP15HIP_vector_typeIfLj2EEffffjfiS5_IjLj3EEiiiiiiiiiiiliiliiiiil
    .private_segment_fixed_size: 40
    .sgpr_count:     48
    .sgpr_spill_count: 0
    .symbol:         _ZL15flash_attn_tileILi128ELi128ELi8ELi8ELb0EEvPKcS1_S1_S1_S1_PKiPfP15HIP_vector_typeIfLj2EEffffjfiS5_IjLj3EEiiiiiiiiiiiliiliiiiil.kd
    .uniform_work_group_size: 1
    .uses_dynamic_stack: false
    .vgpr_count:     128
    .vgpr_spill_count: 9
    .wavefront_size: 64
  - .args:
      - .actual_access:  read_only
        .address_space:  global
        .offset:         0
        .size:           8
        .value_kind:     global_buffer
      - .actual_access:  write_only
        .address_space:  global
        .offset:         8
        .size:           8
        .value_kind:     global_buffer
      - .offset:         16
        .size:           4
        .value_kind:     by_value
      - .offset:         20
        .size:           4
        .value_kind:     by_value
      - .offset:         24
        .size:           4
        .value_kind:     by_value
      - .offset:         32
        .size:           4
        .value_kind:     hidden_block_count_x
      - .offset:         36
        .size:           4
        .value_kind:     hidden_block_count_y
      - .offset:         40
        .size:           4
        .value_kind:     hidden_block_count_z
      - .offset:         44
        .size:           2
        .value_kind:     hidden_group_size_x
      - .offset:         46
        .size:           2
        .value_kind:     hidden_group_size_y
      - .offset:         48
        .size:           2
        .value_kind:     hidden_group_size_z
      - .offset:         50
        .size:           2
        .value_kind:     hidden_remainder_x
      - .offset:         52
        .size:           2
        .value_kind:     hidden_remainder_y
      - .offset:         54
        .size:           2
        .value_kind:     hidden_remainder_z
      - .offset:         72
        .size:           8
        .value_kind:     hidden_global_offset_x
      - .offset:         80
        .size:           8
        .value_kind:     hidden_global_offset_y
      - .offset:         88
        .size:           8
        .value_kind:     hidden_global_offset_z
      - .offset:         96
        .size:           2
        .value_kind:     hidden_grid_dims
    .group_segment_fixed_size: 128
    .kernarg_segment_align: 8
    .kernarg_segment_size: 288
    .language:       OpenCL C
    .language_version:
      - 2
      - 0
    .max_flat_workgroup_size: 128
    .name:           _ZL25flash_attn_mask_to_KV_maxILi8EEvPK7__half2Piiii
    .private_segment_fixed_size: 0
    .sgpr_count:     50
    .sgpr_spill_count: 0
    .symbol:         _ZL25flash_attn_mask_to_KV_maxILi8EEvPK7__half2Piiii.kd
    .uniform_work_group_size: 1
    .uses_dynamic_stack: false
    .vgpr_count:     12
    .vgpr_spill_count: 0
    .wavefront_size: 64
  - .args:
      - .address_space:  global
        .offset:         0
        .size:           8
        .value_kind:     global_buffer
      - .address_space:  global
        .offset:         8
        .size:           8
        .value_kind:     global_buffer
      - .offset:         16
        .size:           4
        .value_kind:     by_value
      - .offset:         20
        .size:           4
        .value_kind:     by_value
      - .offset:         24
        .size:           4
        .value_kind:     by_value
      - .offset:         28
        .size:           4
        .value_kind:     by_value
      - .offset:         32
        .size:           4
        .value_kind:     by_value
      - .offset:         36
        .size:           4
        .value_kind:     by_value
      - .offset:         40
        .size:           12
        .value_kind:     by_value
      - .offset:         52
        .size:           12
        .value_kind:     by_value
      - .offset:         64
        .size:           12
        .value_kind:     by_value
    .group_segment_fixed_size: 0
    .kernarg_segment_align: 8
    .kernarg_segment_size: 76
    .language:       OpenCL C
    .language_version:
      - 2
      - 0
    .max_flat_workgroup_size: 128
    .name:           _ZL33flash_attn_stream_k_fixup_uniformILi128ELi8ELi8EEvPfPK15HIP_vector_typeIfLj2EEiiiiiiS1_IjLj3EES5_S5_
    .private_segment_fixed_size: 0
    .sgpr_count:     24
    .sgpr_spill_count: 0
    .symbol:         _ZL33flash_attn_stream_k_fixup_uniformILi128ELi8ELi8EEvPfPK15HIP_vector_typeIfLj2EEiiiiiiS1_IjLj3EES5_S5_.kd
    .uniform_work_group_size: 1
    .uses_dynamic_stack: false
    .vgpr_count:     17
    .vgpr_spill_count: 0
    .wavefront_size: 64
  - .args:
      - .address_space:  global
        .offset:         0
        .size:           8
        .value_kind:     global_buffer
      - .address_space:  global
        .offset:         8
        .size:           8
        .value_kind:     global_buffer
      - .offset:         16
        .size:           4
        .value_kind:     by_value
      - .offset:         20
        .size:           4
        .value_kind:     by_value
      - .offset:         24
        .size:           4
        .value_kind:     by_value
      - .offset:         28
        .size:           4
        .value_kind:     by_value
      - .offset:         32
        .size:           12
        .value_kind:     by_value
      - .offset:         44
        .size:           12
        .value_kind:     by_value
      - .offset:         56
        .size:           12
        .value_kind:     by_value
      - .offset:         68
        .size:           12
        .value_kind:     by_value
      - .offset:         80
        .size:           4
        .value_kind:     hidden_block_count_x
      - .offset:         84
        .size:           4
        .value_kind:     hidden_block_count_y
      - .offset:         88
        .size:           4
        .value_kind:     hidden_block_count_z
      - .offset:         92
        .size:           2
        .value_kind:     hidden_group_size_x
      - .offset:         94
        .size:           2
        .value_kind:     hidden_group_size_y
      - .offset:         96
        .size:           2
        .value_kind:     hidden_group_size_z
      - .offset:         98
        .size:           2
        .value_kind:     hidden_remainder_x
      - .offset:         100
        .size:           2
        .value_kind:     hidden_remainder_y
      - .offset:         102
        .size:           2
        .value_kind:     hidden_remainder_z
      - .offset:         120
        .size:           8
        .value_kind:     hidden_global_offset_x
      - .offset:         128
        .size:           8
        .value_kind:     hidden_global_offset_y
      - .offset:         136
        .size:           8
        .value_kind:     hidden_global_offset_z
      - .offset:         144
        .size:           2
        .value_kind:     hidden_grid_dims
    .group_segment_fixed_size: 0
    .kernarg_segment_align: 8
    .kernarg_segment_size: 336
    .language:       OpenCL C
    .language_version:
      - 2
      - 0
    .max_flat_workgroup_size: 128
    .name:           _ZL33flash_attn_stream_k_fixup_generalILi128ELi8ELi8EEvPfPK15HIP_vector_typeIfLj2EEiiiiS1_IjLj3EES5_S5_S5_
    .private_segment_fixed_size: 0
    .sgpr_count:     40
    .sgpr_spill_count: 0
    .symbol:         _ZL33flash_attn_stream_k_fixup_generalILi128ELi8ELi8EEvPfPK15HIP_vector_typeIfLj2EEiiiiS1_IjLj3EES5_S5_S5_.kd
    .uniform_work_group_size: 1
    .uses_dynamic_stack: false
    .vgpr_count:     18
    .vgpr_spill_count: 0
    .wavefront_size: 64
  - .args:
      - .address_space:  global
        .offset:         0
        .size:           8
        .value_kind:     global_buffer
      - .address_space:  global
        .offset:         8
        .size:           8
        .value_kind:     global_buffer
      - .address_space:  global
        .offset:         16
        .size:           8
        .value_kind:     global_buffer
      - .offset:         24
        .size:           4
        .value_kind:     by_value
      - .offset:         32
        .size:           4
        .value_kind:     hidden_block_count_x
      - .offset:         36
        .size:           4
        .value_kind:     hidden_block_count_y
      - .offset:         40
        .size:           4
        .value_kind:     hidden_block_count_z
      - .offset:         44
        .size:           2
        .value_kind:     hidden_group_size_x
      - .offset:         46
        .size:           2
        .value_kind:     hidden_group_size_y
      - .offset:         48
        .size:           2
        .value_kind:     hidden_group_size_z
      - .offset:         50
        .size:           2
        .value_kind:     hidden_remainder_x
      - .offset:         52
        .size:           2
        .value_kind:     hidden_remainder_y
      - .offset:         54
        .size:           2
        .value_kind:     hidden_remainder_z
      - .offset:         72
        .size:           8
        .value_kind:     hidden_global_offset_x
      - .offset:         80
        .size:           8
        .value_kind:     hidden_global_offset_y
      - .offset:         88
        .size:           8
        .value_kind:     hidden_global_offset_z
      - .offset:         96
        .size:           2
        .value_kind:     hidden_grid_dims
      - .offset:         152
        .size:           4
        .value_kind:     hidden_dynamic_lds_size
    .group_segment_fixed_size: 0
    .kernarg_segment_align: 8
    .kernarg_segment_size: 288
    .language:       OpenCL C
    .language_version:
      - 2
      - 0
    .max_flat_workgroup_size: 128
    .name:           _ZL26flash_attn_combine_resultsILi128EEvPKfPK15HIP_vector_typeIfLj2EEPfi
    .private_segment_fixed_size: 0
    .sgpr_count:     20
    .sgpr_spill_count: 0
    .symbol:         _ZL26flash_attn_combine_resultsILi128EEvPKfPK15HIP_vector_typeIfLj2EEPfi.kd
    .uniform_work_group_size: 1
    .uses_dynamic_stack: false
    .vgpr_count:     17
    .vgpr_spill_count: 0
    .wavefront_size: 64
  - .args:
      - .address_space:  global
        .offset:         0
        .size:           8
        .value_kind:     global_buffer
      - .address_space:  global
        .offset:         8
        .size:           8
        .value_kind:     global_buffer
      - .address_space:  global
        .offset:         16
        .size:           8
        .value_kind:     global_buffer
      - .address_space:  global
        .offset:         24
        .size:           8
        .value_kind:     global_buffer
      - .address_space:  global
        .offset:         32
        .size:           8
        .value_kind:     global_buffer
      - .address_space:  global
        .offset:         40
        .size:           8
        .value_kind:     global_buffer
      - .address_space:  global
        .offset:         48
        .size:           8
        .value_kind:     global_buffer
      - .address_space:  global
        .offset:         56
        .size:           8
        .value_kind:     global_buffer
      - .offset:         64
        .size:           4
        .value_kind:     by_value
      - .offset:         68
        .size:           4
        .value_kind:     by_value
      - .offset:         72
        .size:           4
        .value_kind:     by_value
      - .offset:         76
        .size:           4
        .value_kind:     by_value
      - .offset:         80
        .size:           4
        .value_kind:     by_value
      - .offset:         84
        .size:           4
        .value_kind:     by_value
      - .offset:         88
        .size:           4
        .value_kind:     by_value
      - .offset:         92
        .size:           12
        .value_kind:     by_value
      - .offset:         104
        .size:           4
        .value_kind:     by_value
      - .offset:         108
        .size:           4
        .value_kind:     by_value
      - .offset:         112
        .size:           4
        .value_kind:     by_value
      - .offset:         116
        .size:           4
        .value_kind:     by_value
      - .offset:         120
        .size:           4
        .value_kind:     by_value
      - .offset:         124
        .size:           4
        .value_kind:     by_value
      - .offset:         128
        .size:           4
        .value_kind:     by_value
      - .offset:         132
        .size:           4
        .value_kind:     by_value
      - .offset:         136
        .size:           4
        .value_kind:     by_value
      - .offset:         140
        .size:           4
        .value_kind:     by_value
      - .offset:         144
        .size:           4
        .value_kind:     by_value
      - .offset:         152
        .size:           8
        .value_kind:     by_value
      - .offset:         160
        .size:           4
        .value_kind:     by_value
      - .offset:         164
        .size:           4
        .value_kind:     by_value
      - .offset:         168
        .size:           8
        .value_kind:     by_value
      - .offset:         176
        .size:           4
        .value_kind:     by_value
      - .offset:         180
        .size:           4
        .value_kind:     by_value
      - .offset:         184
        .size:           4
        .value_kind:     by_value
      - .offset:         188
        .size:           4
        .value_kind:     by_value
      - .offset:         192
        .size:           4
        .value_kind:     by_value
      - .offset:         200
        .size:           8
        .value_kind:     by_value
      - .offset:         208
        .size:           4
        .value_kind:     hidden_block_count_x
      - .offset:         212
        .size:           4
        .value_kind:     hidden_block_count_y
      - .offset:         216
        .size:           4
        .value_kind:     hidden_block_count_z
      - .offset:         220
        .size:           2
        .value_kind:     hidden_group_size_x
      - .offset:         222
        .size:           2
        .value_kind:     hidden_group_size_y
      - .offset:         224
        .size:           2
        .value_kind:     hidden_group_size_z
      - .offset:         226
        .size:           2
        .value_kind:     hidden_remainder_x
      - .offset:         228
        .size:           2
        .value_kind:     hidden_remainder_y
      - .offset:         230
        .size:           2
        .value_kind:     hidden_remainder_z
      - .offset:         248
        .size:           8
        .value_kind:     hidden_global_offset_x
      - .offset:         256
        .size:           8
        .value_kind:     hidden_global_offset_y
      - .offset:         264
        .size:           8
        .value_kind:     hidden_global_offset_z
      - .offset:         272
        .size:           2
        .value_kind:     hidden_grid_dims
    .group_segment_fixed_size: 21504
    .kernarg_segment_align: 8
    .kernarg_segment_size: 464
    .language:       OpenCL C
    .language_version:
      - 2
      - 0
    .max_flat_workgroup_size: 256
    .name:           _ZL15flash_attn_tileILi128ELi128ELi4ELi8ELb0EEvPKcS1_S1_S1_S1_PKiPfP15HIP_vector_typeIfLj2EEffffjfiS5_IjLj3EEiiiiiiiiiiiliiliiiiil
    .private_segment_fixed_size: 0
    .sgpr_count:     79
    .sgpr_spill_count: 0
    .symbol:         _ZL15flash_attn_tileILi128ELi128ELi4ELi8ELb0EEvPKcS1_S1_S1_S1_PKiPfP15HIP_vector_typeIfLj2EEffffjfiS5_IjLj3EEiiiiiiiiiiiliiliiiiil.kd
    .uniform_work_group_size: 1
    .uses_dynamic_stack: false
    .vgpr_count:     94
    .vgpr_spill_count: 0
    .wavefront_size: 64
  - .args:
      - .actual_access:  read_only
        .address_space:  global
        .offset:         0
        .size:           8
        .value_kind:     global_buffer
      - .actual_access:  write_only
        .address_space:  global
        .offset:         8
        .size:           8
        .value_kind:     global_buffer
      - .offset:         16
        .size:           4
        .value_kind:     by_value
      - .offset:         20
        .size:           4
        .value_kind:     by_value
      - .offset:         24
        .size:           4
        .value_kind:     by_value
      - .offset:         32
        .size:           4
        .value_kind:     hidden_block_count_x
      - .offset:         36
        .size:           4
        .value_kind:     hidden_block_count_y
      - .offset:         40
        .size:           4
        .value_kind:     hidden_block_count_z
      - .offset:         44
        .size:           2
        .value_kind:     hidden_group_size_x
      - .offset:         46
        .size:           2
        .value_kind:     hidden_group_size_y
      - .offset:         48
        .size:           2
        .value_kind:     hidden_group_size_z
      - .offset:         50
        .size:           2
        .value_kind:     hidden_remainder_x
      - .offset:         52
        .size:           2
        .value_kind:     hidden_remainder_y
      - .offset:         54
        .size:           2
        .value_kind:     hidden_remainder_z
      - .offset:         72
        .size:           8
        .value_kind:     hidden_global_offset_x
      - .offset:         80
        .size:           8
        .value_kind:     hidden_global_offset_y
      - .offset:         88
        .size:           8
        .value_kind:     hidden_global_offset_z
      - .offset:         96
        .size:           2
        .value_kind:     hidden_grid_dims
    .group_segment_fixed_size: 128
    .kernarg_segment_align: 8
    .kernarg_segment_size: 288
    .language:       OpenCL C
    .language_version:
      - 2
      - 0
    .max_flat_workgroup_size: 128
    .name:           _ZL25flash_attn_mask_to_KV_maxILi4EEvPK7__half2Piiii
    .private_segment_fixed_size: 0
    .sgpr_count:     34
    .sgpr_spill_count: 0
    .symbol:         _ZL25flash_attn_mask_to_KV_maxILi4EEvPK7__half2Piiii.kd
    .uniform_work_group_size: 1
    .uses_dynamic_stack: false
    .vgpr_count:     12
    .vgpr_spill_count: 0
    .wavefront_size: 64
  - .args:
      - .address_space:  global
        .offset:         0
        .size:           8
        .value_kind:     global_buffer
      - .address_space:  global
        .offset:         8
        .size:           8
        .value_kind:     global_buffer
      - .offset:         16
        .size:           4
        .value_kind:     by_value
      - .offset:         20
        .size:           4
        .value_kind:     by_value
      - .offset:         24
        .size:           4
        .value_kind:     by_value
      - .offset:         28
        .size:           4
        .value_kind:     by_value
      - .offset:         32
        .size:           4
        .value_kind:     by_value
      - .offset:         36
        .size:           4
        .value_kind:     by_value
      - .offset:         40
        .size:           12
        .value_kind:     by_value
      - .offset:         52
        .size:           12
        .value_kind:     by_value
      - .offset:         64
        .size:           12
        .value_kind:     by_value
    .group_segment_fixed_size: 0
    .kernarg_segment_align: 8
    .kernarg_segment_size: 76
    .language:       OpenCL C
    .language_version:
      - 2
      - 0
    .max_flat_workgroup_size: 128
    .name:           _ZL33flash_attn_stream_k_fixup_uniformILi128ELi4ELi8EEvPfPK15HIP_vector_typeIfLj2EEiiiiiiS1_IjLj3EES5_S5_
    .private_segment_fixed_size: 0
    .sgpr_count:     24
    .sgpr_spill_count: 0
    .symbol:         _ZL33flash_attn_stream_k_fixup_uniformILi128ELi4ELi8EEvPfPK15HIP_vector_typeIfLj2EEiiiiiiS1_IjLj3EES5_S5_.kd
    .uniform_work_group_size: 1
    .uses_dynamic_stack: false
    .vgpr_count:     17
    .vgpr_spill_count: 0
    .wavefront_size: 64
  - .args:
      - .address_space:  global
        .offset:         0
        .size:           8
        .value_kind:     global_buffer
      - .address_space:  global
        .offset:         8
        .size:           8
        .value_kind:     global_buffer
      - .offset:         16
        .size:           4
        .value_kind:     by_value
      - .offset:         20
        .size:           4
        .value_kind:     by_value
      - .offset:         24
        .size:           4
        .value_kind:     by_value
      - .offset:         28
        .size:           4
        .value_kind:     by_value
      - .offset:         32
        .size:           12
        .value_kind:     by_value
      - .offset:         44
        .size:           12
        .value_kind:     by_value
      - .offset:         56
        .size:           12
        .value_kind:     by_value
      - .offset:         68
        .size:           12
        .value_kind:     by_value
      - .offset:         80
        .size:           4
        .value_kind:     hidden_block_count_x
      - .offset:         84
        .size:           4
        .value_kind:     hidden_block_count_y
      - .offset:         88
        .size:           4
        .value_kind:     hidden_block_count_z
      - .offset:         92
        .size:           2
        .value_kind:     hidden_group_size_x
      - .offset:         94
        .size:           2
        .value_kind:     hidden_group_size_y
      - .offset:         96
        .size:           2
        .value_kind:     hidden_group_size_z
      - .offset:         98
        .size:           2
        .value_kind:     hidden_remainder_x
      - .offset:         100
        .size:           2
        .value_kind:     hidden_remainder_y
      - .offset:         102
        .size:           2
        .value_kind:     hidden_remainder_z
      - .offset:         120
        .size:           8
        .value_kind:     hidden_global_offset_x
      - .offset:         128
        .size:           8
        .value_kind:     hidden_global_offset_y
      - .offset:         136
        .size:           8
        .value_kind:     hidden_global_offset_z
      - .offset:         144
        .size:           2
        .value_kind:     hidden_grid_dims
    .group_segment_fixed_size: 0
    .kernarg_segment_align: 8
    .kernarg_segment_size: 336
    .language:       OpenCL C
    .language_version:
      - 2
      - 0
    .max_flat_workgroup_size: 128
    .name:           _ZL33flash_attn_stream_k_fixup_generalILi128ELi4ELi8EEvPfPK15HIP_vector_typeIfLj2EEiiiiS1_IjLj3EES5_S5_S5_
    .private_segment_fixed_size: 0
    .sgpr_count:     40
    .sgpr_spill_count: 0
    .symbol:         _ZL33flash_attn_stream_k_fixup_generalILi128ELi4ELi8EEvPfPK15HIP_vector_typeIfLj2EEiiiiS1_IjLj3EES5_S5_S5_.kd
    .uniform_work_group_size: 1
    .uses_dynamic_stack: false
    .vgpr_count:     18
    .vgpr_spill_count: 0
    .wavefront_size: 64
  - .args:
      - .address_space:  global
        .offset:         0
        .size:           8
        .value_kind:     global_buffer
      - .address_space:  global
        .offset:         8
        .size:           8
        .value_kind:     global_buffer
      - .address_space:  global
        .offset:         16
        .size:           8
        .value_kind:     global_buffer
      - .address_space:  global
        .offset:         24
        .size:           8
        .value_kind:     global_buffer
      - .address_space:  global
        .offset:         32
        .size:           8
        .value_kind:     global_buffer
      - .address_space:  global
        .offset:         40
        .size:           8
        .value_kind:     global_buffer
      - .address_space:  global
        .offset:         48
        .size:           8
        .value_kind:     global_buffer
      - .address_space:  global
        .offset:         56
        .size:           8
        .value_kind:     global_buffer
      - .offset:         64
        .size:           4
        .value_kind:     by_value
      - .offset:         68
        .size:           4
        .value_kind:     by_value
      - .offset:         72
        .size:           4
        .value_kind:     by_value
      - .offset:         76
        .size:           4
        .value_kind:     by_value
      - .offset:         80
        .size:           4
        .value_kind:     by_value
      - .offset:         84
        .size:           4
        .value_kind:     by_value
      - .offset:         88
        .size:           4
        .value_kind:     by_value
      - .offset:         92
        .size:           12
        .value_kind:     by_value
      - .offset:         104
        .size:           4
        .value_kind:     by_value
      - .offset:         108
        .size:           4
        .value_kind:     by_value
      - .offset:         112
        .size:           4
        .value_kind:     by_value
      - .offset:         116
        .size:           4
        .value_kind:     by_value
      - .offset:         120
        .size:           4
        .value_kind:     by_value
      - .offset:         124
        .size:           4
        .value_kind:     by_value
      - .offset:         128
        .size:           4
        .value_kind:     by_value
      - .offset:         132
        .size:           4
        .value_kind:     by_value
      - .offset:         136
        .size:           4
        .value_kind:     by_value
      - .offset:         140
        .size:           4
        .value_kind:     by_value
      - .offset:         144
        .size:           4
        .value_kind:     by_value
      - .offset:         152
        .size:           8
        .value_kind:     by_value
      - .offset:         160
        .size:           4
        .value_kind:     by_value
      - .offset:         164
        .size:           4
        .value_kind:     by_value
      - .offset:         168
        .size:           8
        .value_kind:     by_value
      - .offset:         176
        .size:           4
        .value_kind:     by_value
      - .offset:         180
        .size:           4
        .value_kind:     by_value
      - .offset:         184
        .size:           4
        .value_kind:     by_value
      - .offset:         188
        .size:           4
        .value_kind:     by_value
      - .offset:         192
        .size:           4
        .value_kind:     by_value
      - .offset:         200
        .size:           8
        .value_kind:     by_value
      - .offset:         208
        .size:           4
        .value_kind:     hidden_block_count_x
      - .offset:         212
        .size:           4
        .value_kind:     hidden_block_count_y
      - .offset:         216
        .size:           4
        .value_kind:     hidden_block_count_z
      - .offset:         220
        .size:           2
        .value_kind:     hidden_group_size_x
      - .offset:         222
        .size:           2
        .value_kind:     hidden_group_size_y
      - .offset:         224
        .size:           2
        .value_kind:     hidden_group_size_z
      - .offset:         226
        .size:           2
        .value_kind:     hidden_remainder_x
      - .offset:         228
        .size:           2
        .value_kind:     hidden_remainder_y
      - .offset:         230
        .size:           2
        .value_kind:     hidden_remainder_z
      - .offset:         248
        .size:           8
        .value_kind:     hidden_global_offset_x
      - .offset:         256
        .size:           8
        .value_kind:     hidden_global_offset_y
      - .offset:         264
        .size:           8
        .value_kind:     hidden_global_offset_z
      - .offset:         272
        .size:           2
        .value_kind:     hidden_grid_dims
    .group_segment_fixed_size: 23552
    .kernarg_segment_align: 8
    .kernarg_segment_size: 464
    .language:       OpenCL C
    .language_version:
      - 2
      - 0
    .max_flat_workgroup_size: 256
    .name:           _ZL15flash_attn_tileILi128ELi128ELi2ELi8ELb0EEvPKcS1_S1_S1_S1_PKiPfP15HIP_vector_typeIfLj2EEffffjfiS5_IjLj3EEiiiiiiiiiiiliiliiiiil
    .private_segment_fixed_size: 24
    .sgpr_count:     52
    .sgpr_spill_count: 0
    .symbol:         _ZL15flash_attn_tileILi128ELi128ELi2ELi8ELb0EEvPKcS1_S1_S1_S1_PKiPfP15HIP_vector_typeIfLj2EEffffjfiS5_IjLj3EEiiiiiiiiiiiliiliiiiil.kd
    .uniform_work_group_size: 1
    .uses_dynamic_stack: false
    .vgpr_count:     128
    .vgpr_spill_count: 5
    .wavefront_size: 64
  - .args:
      - .actual_access:  read_only
        .address_space:  global
        .offset:         0
        .size:           8
        .value_kind:     global_buffer
      - .actual_access:  write_only
        .address_space:  global
        .offset:         8
        .size:           8
        .value_kind:     global_buffer
      - .offset:         16
        .size:           4
        .value_kind:     by_value
      - .offset:         20
        .size:           4
        .value_kind:     by_value
      - .offset:         24
        .size:           4
        .value_kind:     by_value
      - .offset:         32
        .size:           4
        .value_kind:     hidden_block_count_x
      - .offset:         36
        .size:           4
        .value_kind:     hidden_block_count_y
      - .offset:         40
        .size:           4
        .value_kind:     hidden_block_count_z
      - .offset:         44
        .size:           2
        .value_kind:     hidden_group_size_x
      - .offset:         46
        .size:           2
        .value_kind:     hidden_group_size_y
      - .offset:         48
        .size:           2
        .value_kind:     hidden_group_size_z
      - .offset:         50
        .size:           2
        .value_kind:     hidden_remainder_x
      - .offset:         52
        .size:           2
        .value_kind:     hidden_remainder_y
      - .offset:         54
        .size:           2
        .value_kind:     hidden_remainder_z
      - .offset:         72
        .size:           8
        .value_kind:     hidden_global_offset_x
      - .offset:         80
        .size:           8
        .value_kind:     hidden_global_offset_y
      - .offset:         88
        .size:           8
        .value_kind:     hidden_global_offset_z
      - .offset:         96
        .size:           2
        .value_kind:     hidden_grid_dims
    .group_segment_fixed_size: 128
    .kernarg_segment_align: 8
    .kernarg_segment_size: 288
    .language:       OpenCL C
    .language_version:
      - 2
      - 0
    .max_flat_workgroup_size: 128
    .name:           _ZL25flash_attn_mask_to_KV_maxILi2EEvPK7__half2Piiii
    .private_segment_fixed_size: 0
    .sgpr_count:     26
    .sgpr_spill_count: 0
    .symbol:         _ZL25flash_attn_mask_to_KV_maxILi2EEvPK7__half2Piiii.kd
    .uniform_work_group_size: 1
    .uses_dynamic_stack: false
    .vgpr_count:     17
    .vgpr_spill_count: 0
    .wavefront_size: 64
  - .args:
      - .address_space:  global
        .offset:         0
        .size:           8
        .value_kind:     global_buffer
      - .address_space:  global
        .offset:         8
        .size:           8
        .value_kind:     global_buffer
      - .offset:         16
        .size:           4
        .value_kind:     by_value
      - .offset:         20
        .size:           4
        .value_kind:     by_value
      - .offset:         24
        .size:           4
        .value_kind:     by_value
      - .offset:         28
        .size:           4
        .value_kind:     by_value
      - .offset:         32
        .size:           4
        .value_kind:     by_value
      - .offset:         36
        .size:           4
        .value_kind:     by_value
      - .offset:         40
        .size:           12
        .value_kind:     by_value
      - .offset:         52
        .size:           12
        .value_kind:     by_value
      - .offset:         64
        .size:           12
        .value_kind:     by_value
    .group_segment_fixed_size: 0
    .kernarg_segment_align: 8
    .kernarg_segment_size: 76
    .language:       OpenCL C
    .language_version:
      - 2
      - 0
    .max_flat_workgroup_size: 128
    .name:           _ZL33flash_attn_stream_k_fixup_uniformILi128ELi2ELi8EEvPfPK15HIP_vector_typeIfLj2EEiiiiiiS1_IjLj3EES5_S5_
    .private_segment_fixed_size: 0
    .sgpr_count:     24
    .sgpr_spill_count: 0
    .symbol:         _ZL33flash_attn_stream_k_fixup_uniformILi128ELi2ELi8EEvPfPK15HIP_vector_typeIfLj2EEiiiiiiS1_IjLj3EES5_S5_.kd
    .uniform_work_group_size: 1
    .uses_dynamic_stack: false
    .vgpr_count:     17
    .vgpr_spill_count: 0
    .wavefront_size: 64
  - .args:
      - .address_space:  global
        .offset:         0
        .size:           8
        .value_kind:     global_buffer
      - .address_space:  global
        .offset:         8
        .size:           8
        .value_kind:     global_buffer
      - .offset:         16
        .size:           4
        .value_kind:     by_value
      - .offset:         20
        .size:           4
        .value_kind:     by_value
      - .offset:         24
        .size:           4
        .value_kind:     by_value
      - .offset:         28
        .size:           4
        .value_kind:     by_value
      - .offset:         32
        .size:           12
        .value_kind:     by_value
      - .offset:         44
        .size:           12
        .value_kind:     by_value
      - .offset:         56
        .size:           12
        .value_kind:     by_value
      - .offset:         68
        .size:           12
        .value_kind:     by_value
      - .offset:         80
        .size:           4
        .value_kind:     hidden_block_count_x
      - .offset:         84
        .size:           4
        .value_kind:     hidden_block_count_y
      - .offset:         88
        .size:           4
        .value_kind:     hidden_block_count_z
      - .offset:         92
        .size:           2
        .value_kind:     hidden_group_size_x
      - .offset:         94
        .size:           2
        .value_kind:     hidden_group_size_y
      - .offset:         96
        .size:           2
        .value_kind:     hidden_group_size_z
      - .offset:         98
        .size:           2
        .value_kind:     hidden_remainder_x
      - .offset:         100
        .size:           2
        .value_kind:     hidden_remainder_y
      - .offset:         102
        .size:           2
        .value_kind:     hidden_remainder_z
      - .offset:         120
        .size:           8
        .value_kind:     hidden_global_offset_x
      - .offset:         128
        .size:           8
        .value_kind:     hidden_global_offset_y
      - .offset:         136
        .size:           8
        .value_kind:     hidden_global_offset_z
      - .offset:         144
        .size:           2
        .value_kind:     hidden_grid_dims
    .group_segment_fixed_size: 0
    .kernarg_segment_align: 8
    .kernarg_segment_size: 336
    .language:       OpenCL C
    .language_version:
      - 2
      - 0
    .max_flat_workgroup_size: 128
    .name:           _ZL33flash_attn_stream_k_fixup_generalILi128ELi2ELi8EEvPfPK15HIP_vector_typeIfLj2EEiiiiS1_IjLj3EES5_S5_S5_
    .private_segment_fixed_size: 0
    .sgpr_count:     40
    .sgpr_spill_count: 0
    .symbol:         _ZL33flash_attn_stream_k_fixup_generalILi128ELi2ELi8EEvPfPK15HIP_vector_typeIfLj2EEiiiiS1_IjLj3EES5_S5_S5_.kd
    .uniform_work_group_size: 1
    .uses_dynamic_stack: false
    .vgpr_count:     18
    .vgpr_spill_count: 0
    .wavefront_size: 64
  - .args:
      - .address_space:  global
        .offset:         0
        .size:           8
        .value_kind:     global_buffer
      - .address_space:  global
        .offset:         8
        .size:           8
        .value_kind:     global_buffer
      - .address_space:  global
        .offset:         16
        .size:           8
        .value_kind:     global_buffer
      - .address_space:  global
        .offset:         24
        .size:           8
        .value_kind:     global_buffer
      - .address_space:  global
        .offset:         32
        .size:           8
        .value_kind:     global_buffer
      - .address_space:  global
        .offset:         40
        .size:           8
        .value_kind:     global_buffer
      - .address_space:  global
        .offset:         48
        .size:           8
        .value_kind:     global_buffer
      - .address_space:  global
        .offset:         56
        .size:           8
        .value_kind:     global_buffer
      - .offset:         64
        .size:           4
        .value_kind:     by_value
      - .offset:         68
        .size:           4
        .value_kind:     by_value
      - .offset:         72
        .size:           4
        .value_kind:     by_value
      - .offset:         76
        .size:           4
        .value_kind:     by_value
      - .offset:         80
        .size:           4
        .value_kind:     by_value
      - .offset:         84
        .size:           4
        .value_kind:     by_value
      - .offset:         88
        .size:           4
        .value_kind:     by_value
      - .offset:         92
        .size:           12
        .value_kind:     by_value
      - .offset:         104
        .size:           4
        .value_kind:     by_value
      - .offset:         108
        .size:           4
        .value_kind:     by_value
      - .offset:         112
        .size:           4
        .value_kind:     by_value
      - .offset:         116
        .size:           4
        .value_kind:     by_value
      - .offset:         120
        .size:           4
        .value_kind:     by_value
      - .offset:         124
        .size:           4
        .value_kind:     by_value
      - .offset:         128
        .size:           4
        .value_kind:     by_value
      - .offset:         132
        .size:           4
        .value_kind:     by_value
      - .offset:         136
        .size:           4
        .value_kind:     by_value
      - .offset:         140
        .size:           4
        .value_kind:     by_value
      - .offset:         144
        .size:           4
        .value_kind:     by_value
      - .offset:         152
        .size:           8
        .value_kind:     by_value
      - .offset:         160
        .size:           4
        .value_kind:     by_value
      - .offset:         164
        .size:           4
        .value_kind:     by_value
      - .offset:         168
        .size:           8
        .value_kind:     by_value
      - .offset:         176
        .size:           4
        .value_kind:     by_value
      - .offset:         180
        .size:           4
        .value_kind:     by_value
      - .offset:         184
        .size:           4
        .value_kind:     by_value
      - .offset:         188
        .size:           4
        .value_kind:     by_value
      - .offset:         192
        .size:           4
        .value_kind:     by_value
      - .offset:         200
        .size:           8
        .value_kind:     by_value
      - .offset:         208
        .size:           4
        .value_kind:     hidden_block_count_x
      - .offset:         212
        .size:           4
        .value_kind:     hidden_block_count_y
      - .offset:         216
        .size:           4
        .value_kind:     hidden_block_count_z
      - .offset:         220
        .size:           2
        .value_kind:     hidden_group_size_x
      - .offset:         222
        .size:           2
        .value_kind:     hidden_group_size_y
      - .offset:         224
        .size:           2
        .value_kind:     hidden_group_size_z
      - .offset:         226
        .size:           2
        .value_kind:     hidden_remainder_x
      - .offset:         228
        .size:           2
        .value_kind:     hidden_remainder_y
      - .offset:         230
        .size:           2
        .value_kind:     hidden_remainder_z
      - .offset:         248
        .size:           8
        .value_kind:     hidden_global_offset_x
      - .offset:         256
        .size:           8
        .value_kind:     hidden_global_offset_y
      - .offset:         264
        .size:           8
        .value_kind:     hidden_global_offset_z
      - .offset:         272
        .size:           2
        .value_kind:     hidden_grid_dims
    .group_segment_fixed_size: 20480
    .kernarg_segment_align: 8
    .kernarg_segment_size: 464
    .language:       OpenCL C
    .language_version:
      - 2
      - 0
    .max_flat_workgroup_size: 256
    .name:           _ZL15flash_attn_tileILi128ELi128ELi1ELi8ELb0EEvPKcS1_S1_S1_S1_PKiPfP15HIP_vector_typeIfLj2EEffffjfiS5_IjLj3EEiiiiiiiiiiiliiliiiiil
    .private_segment_fixed_size: 0
    .sgpr_count:     43
    .sgpr_spill_count: 0
    .symbol:         _ZL15flash_attn_tileILi128ELi128ELi1ELi8ELb0EEvPKcS1_S1_S1_S1_PKiPfP15HIP_vector_typeIfLj2EEffffjfiS5_IjLj3EEiiiiiiiiiiiliiliiiiil.kd
    .uniform_work_group_size: 1
    .uses_dynamic_stack: false
    .vgpr_count:     77
    .vgpr_spill_count: 0
    .wavefront_size: 64
  - .args:
      - .actual_access:  read_only
        .address_space:  global
        .offset:         0
        .size:           8
        .value_kind:     global_buffer
      - .actual_access:  write_only
        .address_space:  global
        .offset:         8
        .size:           8
        .value_kind:     global_buffer
      - .offset:         16
        .size:           4
        .value_kind:     by_value
      - .offset:         20
        .size:           4
        .value_kind:     by_value
      - .offset:         24
        .size:           4
        .value_kind:     by_value
      - .offset:         32
        .size:           4
        .value_kind:     hidden_block_count_x
      - .offset:         36
        .size:           4
        .value_kind:     hidden_block_count_y
      - .offset:         40
        .size:           4
        .value_kind:     hidden_block_count_z
      - .offset:         44
        .size:           2
        .value_kind:     hidden_group_size_x
      - .offset:         46
        .size:           2
        .value_kind:     hidden_group_size_y
      - .offset:         48
        .size:           2
        .value_kind:     hidden_group_size_z
      - .offset:         50
        .size:           2
        .value_kind:     hidden_remainder_x
      - .offset:         52
        .size:           2
        .value_kind:     hidden_remainder_y
      - .offset:         54
        .size:           2
        .value_kind:     hidden_remainder_z
      - .offset:         72
        .size:           8
        .value_kind:     hidden_global_offset_x
      - .offset:         80
        .size:           8
        .value_kind:     hidden_global_offset_y
      - .offset:         88
        .size:           8
        .value_kind:     hidden_global_offset_z
      - .offset:         96
        .size:           2
        .value_kind:     hidden_grid_dims
    .group_segment_fixed_size: 128
    .kernarg_segment_align: 8
    .kernarg_segment_size: 288
    .language:       OpenCL C
    .language_version:
      - 2
      - 0
    .max_flat_workgroup_size: 128
    .name:           _ZL25flash_attn_mask_to_KV_maxILi1EEvPK7__half2Piiii
    .private_segment_fixed_size: 0
    .sgpr_count:     22
    .sgpr_spill_count: 0
    .symbol:         _ZL25flash_attn_mask_to_KV_maxILi1EEvPK7__half2Piiii.kd
    .uniform_work_group_size: 1
    .uses_dynamic_stack: false
    .vgpr_count:     17
    .vgpr_spill_count: 0
    .wavefront_size: 64
  - .args:
      - .address_space:  global
        .offset:         0
        .size:           8
        .value_kind:     global_buffer
      - .address_space:  global
        .offset:         8
        .size:           8
        .value_kind:     global_buffer
      - .offset:         16
        .size:           4
        .value_kind:     by_value
      - .offset:         20
        .size:           4
        .value_kind:     by_value
      - .offset:         24
        .size:           4
        .value_kind:     by_value
      - .offset:         28
        .size:           4
        .value_kind:     by_value
      - .offset:         32
        .size:           4
        .value_kind:     by_value
      - .offset:         36
        .size:           4
        .value_kind:     by_value
      - .offset:         40
        .size:           12
        .value_kind:     by_value
      - .offset:         52
        .size:           12
        .value_kind:     by_value
      - .offset:         64
        .size:           12
        .value_kind:     by_value
    .group_segment_fixed_size: 0
    .kernarg_segment_align: 8
    .kernarg_segment_size: 76
    .language:       OpenCL C
    .language_version:
      - 2
      - 0
    .max_flat_workgroup_size: 128
    .name:           _ZL33flash_attn_stream_k_fixup_uniformILi128ELi1ELi8EEvPfPK15HIP_vector_typeIfLj2EEiiiiiiS1_IjLj3EES5_S5_
    .private_segment_fixed_size: 0
    .sgpr_count:     24
    .sgpr_spill_count: 0
    .symbol:         _ZL33flash_attn_stream_k_fixup_uniformILi128ELi1ELi8EEvPfPK15HIP_vector_typeIfLj2EEiiiiiiS1_IjLj3EES5_S5_.kd
    .uniform_work_group_size: 1
    .uses_dynamic_stack: false
    .vgpr_count:     17
    .vgpr_spill_count: 0
    .wavefront_size: 64
  - .args:
      - .address_space:  global
        .offset:         0
        .size:           8
        .value_kind:     global_buffer
      - .address_space:  global
        .offset:         8
        .size:           8
        .value_kind:     global_buffer
      - .offset:         16
        .size:           4
        .value_kind:     by_value
      - .offset:         20
        .size:           4
        .value_kind:     by_value
      - .offset:         24
        .size:           4
        .value_kind:     by_value
      - .offset:         28
        .size:           4
        .value_kind:     by_value
      - .offset:         32
        .size:           12
        .value_kind:     by_value
      - .offset:         44
        .size:           12
        .value_kind:     by_value
      - .offset:         56
        .size:           12
        .value_kind:     by_value
      - .offset:         68
        .size:           12
        .value_kind:     by_value
      - .offset:         80
        .size:           4
        .value_kind:     hidden_block_count_x
      - .offset:         84
        .size:           4
        .value_kind:     hidden_block_count_y
      - .offset:         88
        .size:           4
        .value_kind:     hidden_block_count_z
      - .offset:         92
        .size:           2
        .value_kind:     hidden_group_size_x
      - .offset:         94
        .size:           2
        .value_kind:     hidden_group_size_y
      - .offset:         96
        .size:           2
        .value_kind:     hidden_group_size_z
      - .offset:         98
        .size:           2
        .value_kind:     hidden_remainder_x
      - .offset:         100
        .size:           2
        .value_kind:     hidden_remainder_y
      - .offset:         102
        .size:           2
        .value_kind:     hidden_remainder_z
      - .offset:         120
        .size:           8
        .value_kind:     hidden_global_offset_x
      - .offset:         128
        .size:           8
        .value_kind:     hidden_global_offset_y
      - .offset:         136
        .size:           8
        .value_kind:     hidden_global_offset_z
      - .offset:         144
        .size:           2
        .value_kind:     hidden_grid_dims
    .group_segment_fixed_size: 0
    .kernarg_segment_align: 8
    .kernarg_segment_size: 336
    .language:       OpenCL C
    .language_version:
      - 2
      - 0
    .max_flat_workgroup_size: 128
    .name:           _ZL33flash_attn_stream_k_fixup_generalILi128ELi1ELi8EEvPfPK15HIP_vector_typeIfLj2EEiiiiS1_IjLj3EES5_S5_S5_
    .private_segment_fixed_size: 0
    .sgpr_count:     41
    .sgpr_spill_count: 0
    .symbol:         _ZL33flash_attn_stream_k_fixup_generalILi128ELi1ELi8EEvPfPK15HIP_vector_typeIfLj2EEiiiiS1_IjLj3EES5_S5_S5_.kd
    .uniform_work_group_size: 1
    .uses_dynamic_stack: false
    .vgpr_count:     18
    .vgpr_spill_count: 0
    .wavefront_size: 64
  - .args:
      - .address_space:  global
        .offset:         0
        .size:           8
        .value_kind:     global_buffer
      - .address_space:  global
        .offset:         8
        .size:           8
        .value_kind:     global_buffer
      - .address_space:  global
        .offset:         16
        .size:           8
        .value_kind:     global_buffer
      - .address_space:  global
        .offset:         24
        .size:           8
        .value_kind:     global_buffer
      - .address_space:  global
        .offset:         32
        .size:           8
        .value_kind:     global_buffer
      - .address_space:  global
        .offset:         40
        .size:           8
        .value_kind:     global_buffer
      - .address_space:  global
        .offset:         48
        .size:           8
        .value_kind:     global_buffer
      - .address_space:  global
        .offset:         56
        .size:           8
        .value_kind:     global_buffer
      - .offset:         64
        .size:           4
        .value_kind:     by_value
      - .offset:         68
        .size:           4
        .value_kind:     by_value
      - .offset:         72
        .size:           4
        .value_kind:     by_value
      - .offset:         76
        .size:           4
        .value_kind:     by_value
      - .offset:         80
        .size:           4
        .value_kind:     by_value
      - .offset:         84
        .size:           4
        .value_kind:     by_value
      - .offset:         88
        .size:           4
        .value_kind:     by_value
      - .offset:         92
        .size:           12
        .value_kind:     by_value
      - .offset:         104
        .size:           4
        .value_kind:     by_value
      - .offset:         108
        .size:           4
        .value_kind:     by_value
      - .offset:         112
        .size:           4
        .value_kind:     by_value
      - .offset:         116
        .size:           4
        .value_kind:     by_value
      - .offset:         120
        .size:           4
        .value_kind:     by_value
      - .offset:         124
        .size:           4
        .value_kind:     by_value
      - .offset:         128
        .size:           4
        .value_kind:     by_value
      - .offset:         132
        .size:           4
        .value_kind:     by_value
      - .offset:         136
        .size:           4
        .value_kind:     by_value
      - .offset:         140
        .size:           4
        .value_kind:     by_value
      - .offset:         144
        .size:           4
        .value_kind:     by_value
      - .offset:         152
        .size:           8
        .value_kind:     by_value
      - .offset:         160
        .size:           4
        .value_kind:     by_value
      - .offset:         164
        .size:           4
        .value_kind:     by_value
      - .offset:         168
        .size:           8
        .value_kind:     by_value
      - .offset:         176
        .size:           4
        .value_kind:     by_value
      - .offset:         180
        .size:           4
        .value_kind:     by_value
      - .offset:         184
        .size:           4
        .value_kind:     by_value
      - .offset:         188
        .size:           4
        .value_kind:     by_value
      - .offset:         192
        .size:           4
        .value_kind:     by_value
      - .offset:         200
        .size:           8
        .value_kind:     by_value
      - .offset:         208
        .size:           4
        .value_kind:     hidden_block_count_x
      - .offset:         212
        .size:           4
        .value_kind:     hidden_block_count_y
      - .offset:         216
        .size:           4
        .value_kind:     hidden_block_count_z
      - .offset:         220
        .size:           2
        .value_kind:     hidden_group_size_x
      - .offset:         222
        .size:           2
        .value_kind:     hidden_group_size_y
      - .offset:         224
        .size:           2
        .value_kind:     hidden_group_size_z
      - .offset:         226
        .size:           2
        .value_kind:     hidden_remainder_x
      - .offset:         228
        .size:           2
        .value_kind:     hidden_remainder_y
      - .offset:         230
        .size:           2
        .value_kind:     hidden_remainder_z
      - .offset:         248
        .size:           8
        .value_kind:     hidden_global_offset_x
      - .offset:         256
        .size:           8
        .value_kind:     hidden_global_offset_y
      - .offset:         264
        .size:           8
        .value_kind:     hidden_global_offset_z
      - .offset:         272
        .size:           2
        .value_kind:     hidden_grid_dims
    .group_segment_fixed_size: 29696
    .kernarg_segment_align: 8
    .kernarg_segment_size: 464
    .language:       OpenCL C
    .language_version:
      - 2
      - 0
    .max_flat_workgroup_size: 256
    .name:           _ZL15flash_attn_tileILi128ELi128ELi16ELi4ELb0EEvPKcS1_S1_S1_S1_PKiPfP15HIP_vector_typeIfLj2EEffffjfiS5_IjLj3EEiiiiiiiiiiiliiliiiiil
    .private_segment_fixed_size: 68
    .sgpr_count:     56
    .sgpr_spill_count: 0
    .symbol:         _ZL15flash_attn_tileILi128ELi128ELi16ELi4ELb0EEvPKcS1_S1_S1_S1_PKiPfP15HIP_vector_typeIfLj2EEffffjfiS5_IjLj3EEiiiiiiiiiiiliiliiiiil.kd
    .uniform_work_group_size: 1
    .uses_dynamic_stack: false
    .vgpr_count:     128
    .vgpr_spill_count: 16
    .wavefront_size: 64
  - .args:
      - .actual_access:  read_only
        .address_space:  global
        .offset:         0
        .size:           8
        .value_kind:     global_buffer
      - .actual_access:  write_only
        .address_space:  global
        .offset:         8
        .size:           8
        .value_kind:     global_buffer
      - .offset:         16
        .size:           4
        .value_kind:     by_value
      - .offset:         20
        .size:           4
        .value_kind:     by_value
      - .offset:         24
        .size:           4
        .value_kind:     by_value
      - .offset:         32
        .size:           4
        .value_kind:     hidden_block_count_x
      - .offset:         36
        .size:           4
        .value_kind:     hidden_block_count_y
      - .offset:         40
        .size:           4
        .value_kind:     hidden_block_count_z
      - .offset:         44
        .size:           2
        .value_kind:     hidden_group_size_x
      - .offset:         46
        .size:           2
        .value_kind:     hidden_group_size_y
      - .offset:         48
        .size:           2
        .value_kind:     hidden_group_size_z
      - .offset:         50
        .size:           2
        .value_kind:     hidden_remainder_x
      - .offset:         52
        .size:           2
        .value_kind:     hidden_remainder_y
      - .offset:         54
        .size:           2
        .value_kind:     hidden_remainder_z
      - .offset:         72
        .size:           8
        .value_kind:     hidden_global_offset_x
      - .offset:         80
        .size:           8
        .value_kind:     hidden_global_offset_y
      - .offset:         88
        .size:           8
        .value_kind:     hidden_global_offset_z
      - .offset:         96
        .size:           2
        .value_kind:     hidden_grid_dims
    .group_segment_fixed_size: 128
    .kernarg_segment_align: 8
    .kernarg_segment_size: 288
    .language:       OpenCL C
    .language_version:
      - 2
      - 0
    .max_flat_workgroup_size: 128
    .name:           _ZL25flash_attn_mask_to_KV_maxILi16EEvPK7__half2Piiii
    .private_segment_fixed_size: 0
    .sgpr_count:     82
    .sgpr_spill_count: 0
    .symbol:         _ZL25flash_attn_mask_to_KV_maxILi16EEvPK7__half2Piiii.kd
    .uniform_work_group_size: 1
    .uses_dynamic_stack: false
    .vgpr_count:     12
    .vgpr_spill_count: 0
    .wavefront_size: 64
  - .args:
      - .address_space:  global
        .offset:         0
        .size:           8
        .value_kind:     global_buffer
      - .address_space:  global
        .offset:         8
        .size:           8
        .value_kind:     global_buffer
      - .offset:         16
        .size:           4
        .value_kind:     by_value
      - .offset:         20
        .size:           4
        .value_kind:     by_value
      - .offset:         24
        .size:           4
        .value_kind:     by_value
      - .offset:         28
        .size:           4
        .value_kind:     by_value
      - .offset:         32
        .size:           4
        .value_kind:     by_value
      - .offset:         36
        .size:           4
        .value_kind:     by_value
      - .offset:         40
        .size:           12
        .value_kind:     by_value
      - .offset:         52
        .size:           12
        .value_kind:     by_value
      - .offset:         64
        .size:           12
        .value_kind:     by_value
    .group_segment_fixed_size: 0
    .kernarg_segment_align: 8
    .kernarg_segment_size: 76
    .language:       OpenCL C
    .language_version:
      - 2
      - 0
    .max_flat_workgroup_size: 128
    .name:           _ZL33flash_attn_stream_k_fixup_uniformILi128ELi16ELi4EEvPfPK15HIP_vector_typeIfLj2EEiiiiiiS1_IjLj3EES5_S5_
    .private_segment_fixed_size: 0
    .sgpr_count:     24
    .sgpr_spill_count: 0
    .symbol:         _ZL33flash_attn_stream_k_fixup_uniformILi128ELi16ELi4EEvPfPK15HIP_vector_typeIfLj2EEiiiiiiS1_IjLj3EES5_S5_.kd
    .uniform_work_group_size: 1
    .uses_dynamic_stack: false
    .vgpr_count:     17
    .vgpr_spill_count: 0
    .wavefront_size: 64
  - .args:
      - .address_space:  global
        .offset:         0
        .size:           8
        .value_kind:     global_buffer
      - .address_space:  global
        .offset:         8
        .size:           8
        .value_kind:     global_buffer
      - .offset:         16
        .size:           4
        .value_kind:     by_value
      - .offset:         20
        .size:           4
        .value_kind:     by_value
      - .offset:         24
        .size:           4
        .value_kind:     by_value
      - .offset:         28
        .size:           4
        .value_kind:     by_value
      - .offset:         32
        .size:           12
        .value_kind:     by_value
      - .offset:         44
        .size:           12
        .value_kind:     by_value
      - .offset:         56
        .size:           12
        .value_kind:     by_value
      - .offset:         68
        .size:           12
        .value_kind:     by_value
      - .offset:         80
        .size:           4
        .value_kind:     hidden_block_count_x
      - .offset:         84
        .size:           4
        .value_kind:     hidden_block_count_y
      - .offset:         88
        .size:           4
        .value_kind:     hidden_block_count_z
      - .offset:         92
        .size:           2
        .value_kind:     hidden_group_size_x
      - .offset:         94
        .size:           2
        .value_kind:     hidden_group_size_y
      - .offset:         96
        .size:           2
        .value_kind:     hidden_group_size_z
      - .offset:         98
        .size:           2
        .value_kind:     hidden_remainder_x
      - .offset:         100
        .size:           2
        .value_kind:     hidden_remainder_y
      - .offset:         102
        .size:           2
        .value_kind:     hidden_remainder_z
      - .offset:         120
        .size:           8
        .value_kind:     hidden_global_offset_x
      - .offset:         128
        .size:           8
        .value_kind:     hidden_global_offset_y
      - .offset:         136
        .size:           8
        .value_kind:     hidden_global_offset_z
      - .offset:         144
        .size:           2
        .value_kind:     hidden_grid_dims
    .group_segment_fixed_size: 0
    .kernarg_segment_align: 8
    .kernarg_segment_size: 336
    .language:       OpenCL C
    .language_version:
      - 2
      - 0
    .max_flat_workgroup_size: 128
    .name:           _ZL33flash_attn_stream_k_fixup_generalILi128ELi16ELi4EEvPfPK15HIP_vector_typeIfLj2EEiiiiS1_IjLj3EES5_S5_S5_
    .private_segment_fixed_size: 0
    .sgpr_count:     40
    .sgpr_spill_count: 0
    .symbol:         _ZL33flash_attn_stream_k_fixup_generalILi128ELi16ELi4EEvPfPK15HIP_vector_typeIfLj2EEiiiiS1_IjLj3EES5_S5_S5_.kd
    .uniform_work_group_size: 1
    .uses_dynamic_stack: false
    .vgpr_count:     18
    .vgpr_spill_count: 0
    .wavefront_size: 64
  - .args:
      - .address_space:  global
        .offset:         0
        .size:           8
        .value_kind:     global_buffer
      - .address_space:  global
        .offset:         8
        .size:           8
        .value_kind:     global_buffer
      - .address_space:  global
        .offset:         16
        .size:           8
        .value_kind:     global_buffer
      - .address_space:  global
        .offset:         24
        .size:           8
        .value_kind:     global_buffer
      - .address_space:  global
        .offset:         32
        .size:           8
        .value_kind:     global_buffer
      - .address_space:  global
        .offset:         40
        .size:           8
        .value_kind:     global_buffer
      - .address_space:  global
        .offset:         48
        .size:           8
        .value_kind:     global_buffer
      - .address_space:  global
        .offset:         56
        .size:           8
        .value_kind:     global_buffer
      - .offset:         64
        .size:           4
        .value_kind:     by_value
      - .offset:         68
        .size:           4
        .value_kind:     by_value
      - .offset:         72
        .size:           4
        .value_kind:     by_value
      - .offset:         76
        .size:           4
        .value_kind:     by_value
      - .offset:         80
        .size:           4
        .value_kind:     by_value
      - .offset:         84
        .size:           4
        .value_kind:     by_value
      - .offset:         88
        .size:           4
        .value_kind:     by_value
      - .offset:         92
        .size:           12
        .value_kind:     by_value
      - .offset:         104
        .size:           4
        .value_kind:     by_value
      - .offset:         108
        .size:           4
        .value_kind:     by_value
      - .offset:         112
        .size:           4
        .value_kind:     by_value
      - .offset:         116
        .size:           4
        .value_kind:     by_value
      - .offset:         120
        .size:           4
        .value_kind:     by_value
      - .offset:         124
        .size:           4
        .value_kind:     by_value
      - .offset:         128
        .size:           4
        .value_kind:     by_value
      - .offset:         132
        .size:           4
        .value_kind:     by_value
      - .offset:         136
        .size:           4
        .value_kind:     by_value
      - .offset:         140
        .size:           4
        .value_kind:     by_value
      - .offset:         144
        .size:           4
        .value_kind:     by_value
      - .offset:         152
        .size:           8
        .value_kind:     by_value
      - .offset:         160
        .size:           4
        .value_kind:     by_value
      - .offset:         164
        .size:           4
        .value_kind:     by_value
      - .offset:         168
        .size:           8
        .value_kind:     by_value
      - .offset:         176
        .size:           4
        .value_kind:     by_value
      - .offset:         180
        .size:           4
        .value_kind:     by_value
      - .offset:         184
        .size:           4
        .value_kind:     by_value
      - .offset:         188
        .size:           4
        .value_kind:     by_value
      - .offset:         192
        .size:           4
        .value_kind:     by_value
      - .offset:         200
        .size:           8
        .value_kind:     by_value
      - .offset:         208
        .size:           4
        .value_kind:     hidden_block_count_x
      - .offset:         212
        .size:           4
        .value_kind:     hidden_block_count_y
      - .offset:         216
        .size:           4
        .value_kind:     hidden_block_count_z
      - .offset:         220
        .size:           2
        .value_kind:     hidden_group_size_x
      - .offset:         222
        .size:           2
        .value_kind:     hidden_group_size_y
      - .offset:         224
        .size:           2
        .value_kind:     hidden_group_size_z
      - .offset:         226
        .size:           2
        .value_kind:     hidden_remainder_x
      - .offset:         228
        .size:           2
        .value_kind:     hidden_remainder_y
      - .offset:         230
        .size:           2
        .value_kind:     hidden_remainder_z
      - .offset:         248
        .size:           8
        .value_kind:     hidden_global_offset_x
      - .offset:         256
        .size:           8
        .value_kind:     hidden_global_offset_y
      - .offset:         264
        .size:           8
        .value_kind:     hidden_global_offset_z
      - .offset:         272
        .size:           2
        .value_kind:     hidden_grid_dims
    .group_segment_fixed_size: 21504
    .kernarg_segment_align: 8
    .kernarg_segment_size: 464
    .language:       OpenCL C
    .language_version:
      - 2
      - 0
    .max_flat_workgroup_size: 256
    .name:           _ZL15flash_attn_tileILi128ELi128ELi8ELi4ELb0EEvPKcS1_S1_S1_S1_PKiPfP15HIP_vector_typeIfLj2EEffffjfiS5_IjLj3EEiiiiiiiiiiiliiliiiiil
    .private_segment_fixed_size: 88
    .sgpr_count:     60
    .sgpr_spill_count: 0
    .symbol:         _ZL15flash_attn_tileILi128ELi128ELi8ELi4ELb0EEvPKcS1_S1_S1_S1_PKiPfP15HIP_vector_typeIfLj2EEffffjfiS5_IjLj3EEiiiiiiiiiiiliiliiiiil.kd
    .uniform_work_group_size: 1
    .uses_dynamic_stack: false
    .vgpr_count:     128
    .vgpr_spill_count: 21
    .wavefront_size: 64
  - .args:
      - .address_space:  global
        .offset:         0
        .size:           8
        .value_kind:     global_buffer
      - .address_space:  global
        .offset:         8
        .size:           8
        .value_kind:     global_buffer
      - .offset:         16
        .size:           4
        .value_kind:     by_value
      - .offset:         20
        .size:           4
        .value_kind:     by_value
      - .offset:         24
        .size:           4
        .value_kind:     by_value
      - .offset:         28
        .size:           4
        .value_kind:     by_value
      - .offset:         32
        .size:           4
        .value_kind:     by_value
      - .offset:         36
        .size:           4
        .value_kind:     by_value
      - .offset:         40
        .size:           12
        .value_kind:     by_value
      - .offset:         52
        .size:           12
        .value_kind:     by_value
      - .offset:         64
        .size:           12
        .value_kind:     by_value
    .group_segment_fixed_size: 0
    .kernarg_segment_align: 8
    .kernarg_segment_size: 76
    .language:       OpenCL C
    .language_version:
      - 2
      - 0
    .max_flat_workgroup_size: 128
    .name:           _ZL33flash_attn_stream_k_fixup_uniformILi128ELi8ELi4EEvPfPK15HIP_vector_typeIfLj2EEiiiiiiS1_IjLj3EES5_S5_
    .private_segment_fixed_size: 0
    .sgpr_count:     24
    .sgpr_spill_count: 0
    .symbol:         _ZL33flash_attn_stream_k_fixup_uniformILi128ELi8ELi4EEvPfPK15HIP_vector_typeIfLj2EEiiiiiiS1_IjLj3EES5_S5_.kd
    .uniform_work_group_size: 1
    .uses_dynamic_stack: false
    .vgpr_count:     17
    .vgpr_spill_count: 0
    .wavefront_size: 64
  - .args:
      - .address_space:  global
        .offset:         0
        .size:           8
        .value_kind:     global_buffer
      - .address_space:  global
        .offset:         8
        .size:           8
        .value_kind:     global_buffer
      - .offset:         16
        .size:           4
        .value_kind:     by_value
      - .offset:         20
        .size:           4
        .value_kind:     by_value
      - .offset:         24
        .size:           4
        .value_kind:     by_value
      - .offset:         28
        .size:           4
        .value_kind:     by_value
      - .offset:         32
        .size:           12
        .value_kind:     by_value
      - .offset:         44
        .size:           12
        .value_kind:     by_value
      - .offset:         56
        .size:           12
        .value_kind:     by_value
      - .offset:         68
        .size:           12
        .value_kind:     by_value
      - .offset:         80
        .size:           4
        .value_kind:     hidden_block_count_x
      - .offset:         84
        .size:           4
        .value_kind:     hidden_block_count_y
      - .offset:         88
        .size:           4
        .value_kind:     hidden_block_count_z
      - .offset:         92
        .size:           2
        .value_kind:     hidden_group_size_x
      - .offset:         94
        .size:           2
        .value_kind:     hidden_group_size_y
      - .offset:         96
        .size:           2
        .value_kind:     hidden_group_size_z
      - .offset:         98
        .size:           2
        .value_kind:     hidden_remainder_x
      - .offset:         100
        .size:           2
        .value_kind:     hidden_remainder_y
      - .offset:         102
        .size:           2
        .value_kind:     hidden_remainder_z
      - .offset:         120
        .size:           8
        .value_kind:     hidden_global_offset_x
      - .offset:         128
        .size:           8
        .value_kind:     hidden_global_offset_y
      - .offset:         136
        .size:           8
        .value_kind:     hidden_global_offset_z
      - .offset:         144
        .size:           2
        .value_kind:     hidden_grid_dims
    .group_segment_fixed_size: 0
    .kernarg_segment_align: 8
    .kernarg_segment_size: 336
    .language:       OpenCL C
    .language_version:
      - 2
      - 0
    .max_flat_workgroup_size: 128
    .name:           _ZL33flash_attn_stream_k_fixup_generalILi128ELi8ELi4EEvPfPK15HIP_vector_typeIfLj2EEiiiiS1_IjLj3EES5_S5_S5_
    .private_segment_fixed_size: 0
    .sgpr_count:     40
    .sgpr_spill_count: 0
    .symbol:         _ZL33flash_attn_stream_k_fixup_generalILi128ELi8ELi4EEvPfPK15HIP_vector_typeIfLj2EEiiiiS1_IjLj3EES5_S5_S5_.kd
    .uniform_work_group_size: 1
    .uses_dynamic_stack: false
    .vgpr_count:     18
    .vgpr_spill_count: 0
    .wavefront_size: 64
  - .args:
      - .address_space:  global
        .offset:         0
        .size:           8
        .value_kind:     global_buffer
      - .address_space:  global
        .offset:         8
        .size:           8
        .value_kind:     global_buffer
      - .address_space:  global
        .offset:         16
        .size:           8
        .value_kind:     global_buffer
      - .address_space:  global
        .offset:         24
        .size:           8
        .value_kind:     global_buffer
      - .address_space:  global
        .offset:         32
        .size:           8
        .value_kind:     global_buffer
      - .address_space:  global
        .offset:         40
        .size:           8
        .value_kind:     global_buffer
      - .address_space:  global
        .offset:         48
        .size:           8
        .value_kind:     global_buffer
      - .address_space:  global
        .offset:         56
        .size:           8
        .value_kind:     global_buffer
      - .offset:         64
        .size:           4
        .value_kind:     by_value
      - .offset:         68
        .size:           4
        .value_kind:     by_value
      - .offset:         72
        .size:           4
        .value_kind:     by_value
      - .offset:         76
        .size:           4
        .value_kind:     by_value
      - .offset:         80
        .size:           4
        .value_kind:     by_value
      - .offset:         84
        .size:           4
        .value_kind:     by_value
      - .offset:         88
        .size:           4
        .value_kind:     by_value
      - .offset:         92
        .size:           12
        .value_kind:     by_value
      - .offset:         104
        .size:           4
        .value_kind:     by_value
      - .offset:         108
        .size:           4
        .value_kind:     by_value
      - .offset:         112
        .size:           4
        .value_kind:     by_value
      - .offset:         116
        .size:           4
        .value_kind:     by_value
      - .offset:         120
        .size:           4
        .value_kind:     by_value
      - .offset:         124
        .size:           4
        .value_kind:     by_value
      - .offset:         128
        .size:           4
        .value_kind:     by_value
      - .offset:         132
        .size:           4
        .value_kind:     by_value
      - .offset:         136
        .size:           4
        .value_kind:     by_value
      - .offset:         140
        .size:           4
        .value_kind:     by_value
      - .offset:         144
        .size:           4
        .value_kind:     by_value
      - .offset:         152
        .size:           8
        .value_kind:     by_value
      - .offset:         160
        .size:           4
        .value_kind:     by_value
      - .offset:         164
        .size:           4
        .value_kind:     by_value
      - .offset:         168
        .size:           8
        .value_kind:     by_value
      - .offset:         176
        .size:           4
        .value_kind:     by_value
      - .offset:         180
        .size:           4
        .value_kind:     by_value
      - .offset:         184
        .size:           4
        .value_kind:     by_value
      - .offset:         188
        .size:           4
        .value_kind:     by_value
      - .offset:         192
        .size:           4
        .value_kind:     by_value
      - .offset:         200
        .size:           8
        .value_kind:     by_value
      - .offset:         208
        .size:           4
        .value_kind:     hidden_block_count_x
      - .offset:         212
        .size:           4
        .value_kind:     hidden_block_count_y
      - .offset:         216
        .size:           4
        .value_kind:     hidden_block_count_z
      - .offset:         220
        .size:           2
        .value_kind:     hidden_group_size_x
      - .offset:         222
        .size:           2
        .value_kind:     hidden_group_size_y
      - .offset:         224
        .size:           2
        .value_kind:     hidden_group_size_z
      - .offset:         226
        .size:           2
        .value_kind:     hidden_remainder_x
      - .offset:         228
        .size:           2
        .value_kind:     hidden_remainder_y
      - .offset:         230
        .size:           2
        .value_kind:     hidden_remainder_z
      - .offset:         248
        .size:           8
        .value_kind:     hidden_global_offset_x
      - .offset:         256
        .size:           8
        .value_kind:     hidden_global_offset_y
      - .offset:         264
        .size:           8
        .value_kind:     hidden_global_offset_z
      - .offset:         272
        .size:           2
        .value_kind:     hidden_grid_dims
    .group_segment_fixed_size: 23552
    .kernarg_segment_align: 8
    .kernarg_segment_size: 464
    .language:       OpenCL C
    .language_version:
      - 2
      - 0
    .max_flat_workgroup_size: 256
    .name:           _ZL15flash_attn_tileILi128ELi128ELi4ELi4ELb0EEvPKcS1_S1_S1_S1_PKiPfP15HIP_vector_typeIfLj2EEffffjfiS5_IjLj3EEiiiiiiiiiiiliiliiiiil
    .private_segment_fixed_size: 24
    .sgpr_count:     52
    .sgpr_spill_count: 0
    .symbol:         _ZL15flash_attn_tileILi128ELi128ELi4ELi4ELb0EEvPKcS1_S1_S1_S1_PKiPfP15HIP_vector_typeIfLj2EEffffjfiS5_IjLj3EEiiiiiiiiiiiliiliiiiil.kd
    .uniform_work_group_size: 1
    .uses_dynamic_stack: false
    .vgpr_count:     128
    .vgpr_spill_count: 5
    .wavefront_size: 64
  - .args:
      - .address_space:  global
        .offset:         0
        .size:           8
        .value_kind:     global_buffer
      - .address_space:  global
        .offset:         8
        .size:           8
        .value_kind:     global_buffer
      - .offset:         16
        .size:           4
        .value_kind:     by_value
      - .offset:         20
        .size:           4
        .value_kind:     by_value
      - .offset:         24
        .size:           4
        .value_kind:     by_value
      - .offset:         28
        .size:           4
        .value_kind:     by_value
      - .offset:         32
        .size:           4
        .value_kind:     by_value
      - .offset:         36
        .size:           4
        .value_kind:     by_value
      - .offset:         40
        .size:           12
        .value_kind:     by_value
      - .offset:         52
        .size:           12
        .value_kind:     by_value
      - .offset:         64
        .size:           12
        .value_kind:     by_value
    .group_segment_fixed_size: 0
    .kernarg_segment_align: 8
    .kernarg_segment_size: 76
    .language:       OpenCL C
    .language_version:
      - 2
      - 0
    .max_flat_workgroup_size: 128
    .name:           _ZL33flash_attn_stream_k_fixup_uniformILi128ELi4ELi4EEvPfPK15HIP_vector_typeIfLj2EEiiiiiiS1_IjLj3EES5_S5_
    .private_segment_fixed_size: 0
    .sgpr_count:     24
    .sgpr_spill_count: 0
    .symbol:         _ZL33flash_attn_stream_k_fixup_uniformILi128ELi4ELi4EEvPfPK15HIP_vector_typeIfLj2EEiiiiiiS1_IjLj3EES5_S5_.kd
    .uniform_work_group_size: 1
    .uses_dynamic_stack: false
    .vgpr_count:     17
    .vgpr_spill_count: 0
    .wavefront_size: 64
  - .args:
      - .address_space:  global
        .offset:         0
        .size:           8
        .value_kind:     global_buffer
      - .address_space:  global
        .offset:         8
        .size:           8
        .value_kind:     global_buffer
      - .offset:         16
        .size:           4
        .value_kind:     by_value
      - .offset:         20
        .size:           4
        .value_kind:     by_value
      - .offset:         24
        .size:           4
        .value_kind:     by_value
      - .offset:         28
        .size:           4
        .value_kind:     by_value
      - .offset:         32
        .size:           12
        .value_kind:     by_value
      - .offset:         44
        .size:           12
        .value_kind:     by_value
      - .offset:         56
        .size:           12
        .value_kind:     by_value
      - .offset:         68
        .size:           12
        .value_kind:     by_value
      - .offset:         80
        .size:           4
        .value_kind:     hidden_block_count_x
      - .offset:         84
        .size:           4
        .value_kind:     hidden_block_count_y
      - .offset:         88
        .size:           4
        .value_kind:     hidden_block_count_z
      - .offset:         92
        .size:           2
        .value_kind:     hidden_group_size_x
      - .offset:         94
        .size:           2
        .value_kind:     hidden_group_size_y
      - .offset:         96
        .size:           2
        .value_kind:     hidden_group_size_z
      - .offset:         98
        .size:           2
        .value_kind:     hidden_remainder_x
      - .offset:         100
        .size:           2
        .value_kind:     hidden_remainder_y
      - .offset:         102
        .size:           2
        .value_kind:     hidden_remainder_z
      - .offset:         120
        .size:           8
        .value_kind:     hidden_global_offset_x
      - .offset:         128
        .size:           8
        .value_kind:     hidden_global_offset_y
      - .offset:         136
        .size:           8
        .value_kind:     hidden_global_offset_z
      - .offset:         144
        .size:           2
        .value_kind:     hidden_grid_dims
    .group_segment_fixed_size: 0
    .kernarg_segment_align: 8
    .kernarg_segment_size: 336
    .language:       OpenCL C
    .language_version:
      - 2
      - 0
    .max_flat_workgroup_size: 128
    .name:           _ZL33flash_attn_stream_k_fixup_generalILi128ELi4ELi4EEvPfPK15HIP_vector_typeIfLj2EEiiiiS1_IjLj3EES5_S5_S5_
    .private_segment_fixed_size: 0
    .sgpr_count:     40
    .sgpr_spill_count: 0
    .symbol:         _ZL33flash_attn_stream_k_fixup_generalILi128ELi4ELi4EEvPfPK15HIP_vector_typeIfLj2EEiiiiS1_IjLj3EES5_S5_S5_.kd
    .uniform_work_group_size: 1
    .uses_dynamic_stack: false
    .vgpr_count:     18
    .vgpr_spill_count: 0
    .wavefront_size: 64
  - .args:
      - .address_space:  global
        .offset:         0
        .size:           8
        .value_kind:     global_buffer
      - .address_space:  global
        .offset:         8
        .size:           8
        .value_kind:     global_buffer
      - .address_space:  global
        .offset:         16
        .size:           8
        .value_kind:     global_buffer
      - .address_space:  global
        .offset:         24
        .size:           8
        .value_kind:     global_buffer
      - .address_space:  global
        .offset:         32
        .size:           8
        .value_kind:     global_buffer
      - .address_space:  global
        .offset:         40
        .size:           8
        .value_kind:     global_buffer
      - .address_space:  global
        .offset:         48
        .size:           8
        .value_kind:     global_buffer
      - .address_space:  global
        .offset:         56
        .size:           8
        .value_kind:     global_buffer
      - .offset:         64
        .size:           4
        .value_kind:     by_value
      - .offset:         68
        .size:           4
        .value_kind:     by_value
      - .offset:         72
        .size:           4
        .value_kind:     by_value
      - .offset:         76
        .size:           4
        .value_kind:     by_value
      - .offset:         80
        .size:           4
        .value_kind:     by_value
      - .offset:         84
        .size:           4
        .value_kind:     by_value
      - .offset:         88
        .size:           4
        .value_kind:     by_value
      - .offset:         92
        .size:           12
        .value_kind:     by_value
      - .offset:         104
        .size:           4
        .value_kind:     by_value
      - .offset:         108
        .size:           4
        .value_kind:     by_value
      - .offset:         112
        .size:           4
        .value_kind:     by_value
      - .offset:         116
        .size:           4
        .value_kind:     by_value
      - .offset:         120
        .size:           4
        .value_kind:     by_value
      - .offset:         124
        .size:           4
        .value_kind:     by_value
      - .offset:         128
        .size:           4
        .value_kind:     by_value
      - .offset:         132
        .size:           4
        .value_kind:     by_value
      - .offset:         136
        .size:           4
        .value_kind:     by_value
      - .offset:         140
        .size:           4
        .value_kind:     by_value
      - .offset:         144
        .size:           4
        .value_kind:     by_value
      - .offset:         152
        .size:           8
        .value_kind:     by_value
      - .offset:         160
        .size:           4
        .value_kind:     by_value
      - .offset:         164
        .size:           4
        .value_kind:     by_value
      - .offset:         168
        .size:           8
        .value_kind:     by_value
      - .offset:         176
        .size:           4
        .value_kind:     by_value
      - .offset:         180
        .size:           4
        .value_kind:     by_value
      - .offset:         184
        .size:           4
        .value_kind:     by_value
      - .offset:         188
        .size:           4
        .value_kind:     by_value
      - .offset:         192
        .size:           4
        .value_kind:     by_value
      - .offset:         200
        .size:           8
        .value_kind:     by_value
      - .offset:         208
        .size:           4
        .value_kind:     hidden_block_count_x
      - .offset:         212
        .size:           4
        .value_kind:     hidden_block_count_y
      - .offset:         216
        .size:           4
        .value_kind:     hidden_block_count_z
      - .offset:         220
        .size:           2
        .value_kind:     hidden_group_size_x
      - .offset:         222
        .size:           2
        .value_kind:     hidden_group_size_y
      - .offset:         224
        .size:           2
        .value_kind:     hidden_group_size_z
      - .offset:         226
        .size:           2
        .value_kind:     hidden_remainder_x
      - .offset:         228
        .size:           2
        .value_kind:     hidden_remainder_y
      - .offset:         230
        .size:           2
        .value_kind:     hidden_remainder_z
      - .offset:         248
        .size:           8
        .value_kind:     hidden_global_offset_x
      - .offset:         256
        .size:           8
        .value_kind:     hidden_global_offset_y
      - .offset:         264
        .size:           8
        .value_kind:     hidden_global_offset_z
      - .offset:         272
        .size:           2
        .value_kind:     hidden_grid_dims
    .group_segment_fixed_size: 20480
    .kernarg_segment_align: 8
    .kernarg_segment_size: 464
    .language:       OpenCL C
    .language_version:
      - 2
      - 0
    .max_flat_workgroup_size: 256
    .name:           _ZL15flash_attn_tileILi128ELi128ELi2ELi4ELb0EEvPKcS1_S1_S1_S1_PKiPfP15HIP_vector_typeIfLj2EEffffjfiS5_IjLj3EEiiiiiiiiiiiliiliiiiil
    .private_segment_fixed_size: 0
    .sgpr_count:     43
    .sgpr_spill_count: 0
    .symbol:         _ZL15flash_attn_tileILi128ELi128ELi2ELi4ELb0EEvPKcS1_S1_S1_S1_PKiPfP15HIP_vector_typeIfLj2EEffffjfiS5_IjLj3EEiiiiiiiiiiiliiliiiiil.kd
    .uniform_work_group_size: 1
    .uses_dynamic_stack: false
    .vgpr_count:     77
    .vgpr_spill_count: 0
    .wavefront_size: 64
  - .args:
      - .address_space:  global
        .offset:         0
        .size:           8
        .value_kind:     global_buffer
      - .address_space:  global
        .offset:         8
        .size:           8
        .value_kind:     global_buffer
      - .offset:         16
        .size:           4
        .value_kind:     by_value
      - .offset:         20
        .size:           4
        .value_kind:     by_value
      - .offset:         24
        .size:           4
        .value_kind:     by_value
      - .offset:         28
        .size:           4
        .value_kind:     by_value
      - .offset:         32
        .size:           4
        .value_kind:     by_value
      - .offset:         36
        .size:           4
        .value_kind:     by_value
      - .offset:         40
        .size:           12
        .value_kind:     by_value
      - .offset:         52
        .size:           12
        .value_kind:     by_value
      - .offset:         64
        .size:           12
        .value_kind:     by_value
    .group_segment_fixed_size: 0
    .kernarg_segment_align: 8
    .kernarg_segment_size: 76
    .language:       OpenCL C
    .language_version:
      - 2
      - 0
    .max_flat_workgroup_size: 128
    .name:           _ZL33flash_attn_stream_k_fixup_uniformILi128ELi2ELi4EEvPfPK15HIP_vector_typeIfLj2EEiiiiiiS1_IjLj3EES5_S5_
    .private_segment_fixed_size: 0
    .sgpr_count:     24
    .sgpr_spill_count: 0
    .symbol:         _ZL33flash_attn_stream_k_fixup_uniformILi128ELi2ELi4EEvPfPK15HIP_vector_typeIfLj2EEiiiiiiS1_IjLj3EES5_S5_.kd
    .uniform_work_group_size: 1
    .uses_dynamic_stack: false
    .vgpr_count:     17
    .vgpr_spill_count: 0
    .wavefront_size: 64
  - .args:
      - .address_space:  global
        .offset:         0
        .size:           8
        .value_kind:     global_buffer
      - .address_space:  global
        .offset:         8
        .size:           8
        .value_kind:     global_buffer
      - .offset:         16
        .size:           4
        .value_kind:     by_value
      - .offset:         20
        .size:           4
        .value_kind:     by_value
      - .offset:         24
        .size:           4
        .value_kind:     by_value
      - .offset:         28
        .size:           4
        .value_kind:     by_value
      - .offset:         32
        .size:           12
        .value_kind:     by_value
      - .offset:         44
        .size:           12
        .value_kind:     by_value
      - .offset:         56
        .size:           12
        .value_kind:     by_value
      - .offset:         68
        .size:           12
        .value_kind:     by_value
      - .offset:         80
        .size:           4
        .value_kind:     hidden_block_count_x
      - .offset:         84
        .size:           4
        .value_kind:     hidden_block_count_y
      - .offset:         88
        .size:           4
        .value_kind:     hidden_block_count_z
      - .offset:         92
        .size:           2
        .value_kind:     hidden_group_size_x
      - .offset:         94
        .size:           2
        .value_kind:     hidden_group_size_y
      - .offset:         96
        .size:           2
        .value_kind:     hidden_group_size_z
      - .offset:         98
        .size:           2
        .value_kind:     hidden_remainder_x
      - .offset:         100
        .size:           2
        .value_kind:     hidden_remainder_y
      - .offset:         102
        .size:           2
        .value_kind:     hidden_remainder_z
      - .offset:         120
        .size:           8
        .value_kind:     hidden_global_offset_x
      - .offset:         128
        .size:           8
        .value_kind:     hidden_global_offset_y
      - .offset:         136
        .size:           8
        .value_kind:     hidden_global_offset_z
      - .offset:         144
        .size:           2
        .value_kind:     hidden_grid_dims
    .group_segment_fixed_size: 0
    .kernarg_segment_align: 8
    .kernarg_segment_size: 336
    .language:       OpenCL C
    .language_version:
      - 2
      - 0
    .max_flat_workgroup_size: 128
    .name:           _ZL33flash_attn_stream_k_fixup_generalILi128ELi2ELi4EEvPfPK15HIP_vector_typeIfLj2EEiiiiS1_IjLj3EES5_S5_S5_
    .private_segment_fixed_size: 0
    .sgpr_count:     40
    .sgpr_spill_count: 0
    .symbol:         _ZL33flash_attn_stream_k_fixup_generalILi128ELi2ELi4EEvPfPK15HIP_vector_typeIfLj2EEiiiiS1_IjLj3EES5_S5_S5_.kd
    .uniform_work_group_size: 1
    .uses_dynamic_stack: false
    .vgpr_count:     18
    .vgpr_spill_count: 0
    .wavefront_size: 64
  - .args:
      - .address_space:  global
        .offset:         0
        .size:           8
        .value_kind:     global_buffer
      - .address_space:  global
        .offset:         8
        .size:           8
        .value_kind:     global_buffer
      - .address_space:  global
        .offset:         16
        .size:           8
        .value_kind:     global_buffer
      - .address_space:  global
        .offset:         24
        .size:           8
        .value_kind:     global_buffer
      - .address_space:  global
        .offset:         32
        .size:           8
        .value_kind:     global_buffer
      - .address_space:  global
        .offset:         40
        .size:           8
        .value_kind:     global_buffer
      - .address_space:  global
        .offset:         48
        .size:           8
        .value_kind:     global_buffer
      - .address_space:  global
        .offset:         56
        .size:           8
        .value_kind:     global_buffer
      - .offset:         64
        .size:           4
        .value_kind:     by_value
      - .offset:         68
        .size:           4
        .value_kind:     by_value
      - .offset:         72
        .size:           4
        .value_kind:     by_value
      - .offset:         76
        .size:           4
        .value_kind:     by_value
      - .offset:         80
        .size:           4
        .value_kind:     by_value
      - .offset:         84
        .size:           4
        .value_kind:     by_value
      - .offset:         88
        .size:           4
        .value_kind:     by_value
      - .offset:         92
        .size:           12
        .value_kind:     by_value
      - .offset:         104
        .size:           4
        .value_kind:     by_value
      - .offset:         108
        .size:           4
        .value_kind:     by_value
      - .offset:         112
        .size:           4
        .value_kind:     by_value
      - .offset:         116
        .size:           4
        .value_kind:     by_value
      - .offset:         120
        .size:           4
        .value_kind:     by_value
      - .offset:         124
        .size:           4
        .value_kind:     by_value
      - .offset:         128
        .size:           4
        .value_kind:     by_value
      - .offset:         132
        .size:           4
        .value_kind:     by_value
      - .offset:         136
        .size:           4
        .value_kind:     by_value
      - .offset:         140
        .size:           4
        .value_kind:     by_value
      - .offset:         144
        .size:           4
        .value_kind:     by_value
      - .offset:         152
        .size:           8
        .value_kind:     by_value
      - .offset:         160
        .size:           4
        .value_kind:     by_value
      - .offset:         164
        .size:           4
        .value_kind:     by_value
      - .offset:         168
        .size:           8
        .value_kind:     by_value
      - .offset:         176
        .size:           4
        .value_kind:     by_value
      - .offset:         180
        .size:           4
        .value_kind:     by_value
      - .offset:         184
        .size:           4
        .value_kind:     by_value
      - .offset:         188
        .size:           4
        .value_kind:     by_value
      - .offset:         192
        .size:           4
        .value_kind:     by_value
      - .offset:         200
        .size:           8
        .value_kind:     by_value
      - .offset:         208
        .size:           4
        .value_kind:     hidden_block_count_x
      - .offset:         212
        .size:           4
        .value_kind:     hidden_block_count_y
      - .offset:         216
        .size:           4
        .value_kind:     hidden_block_count_z
      - .offset:         220
        .size:           2
        .value_kind:     hidden_group_size_x
      - .offset:         222
        .size:           2
        .value_kind:     hidden_group_size_y
      - .offset:         224
        .size:           2
        .value_kind:     hidden_group_size_z
      - .offset:         226
        .size:           2
        .value_kind:     hidden_remainder_x
      - .offset:         228
        .size:           2
        .value_kind:     hidden_remainder_y
      - .offset:         230
        .size:           2
        .value_kind:     hidden_remainder_z
      - .offset:         248
        .size:           8
        .value_kind:     hidden_global_offset_x
      - .offset:         256
        .size:           8
        .value_kind:     hidden_global_offset_y
      - .offset:         264
        .size:           8
        .value_kind:     hidden_global_offset_z
      - .offset:         272
        .size:           2
        .value_kind:     hidden_grid_dims
    .group_segment_fixed_size: 18944
    .kernarg_segment_align: 8
    .kernarg_segment_size: 464
    .language:       OpenCL C
    .language_version:
      - 2
      - 0
    .max_flat_workgroup_size: 128
    .name:           _ZL15flash_attn_tileILi128ELi128ELi1ELi4ELb0EEvPKcS1_S1_S1_S1_PKiPfP15HIP_vector_typeIfLj2EEffffjfiS5_IjLj3EEiiiiiiiiiiiliiliiiiil
    .private_segment_fixed_size: 24
    .sgpr_count:     56
    .sgpr_spill_count: 0
    .symbol:         _ZL15flash_attn_tileILi128ELi128ELi1ELi4ELb0EEvPKcS1_S1_S1_S1_PKiPfP15HIP_vector_typeIfLj2EEffffjfiS5_IjLj3EEiiiiiiiiiiiliiliiiiil.kd
    .uniform_work_group_size: 1
    .uses_dynamic_stack: false
    .vgpr_count:     128
    .vgpr_spill_count: 5
    .wavefront_size: 64
  - .args:
      - .address_space:  global
        .offset:         0
        .size:           8
        .value_kind:     global_buffer
      - .address_space:  global
        .offset:         8
        .size:           8
        .value_kind:     global_buffer
      - .offset:         16
        .size:           4
        .value_kind:     by_value
      - .offset:         20
        .size:           4
        .value_kind:     by_value
      - .offset:         24
        .size:           4
        .value_kind:     by_value
      - .offset:         28
        .size:           4
        .value_kind:     by_value
      - .offset:         32
        .size:           4
        .value_kind:     by_value
      - .offset:         36
        .size:           4
        .value_kind:     by_value
      - .offset:         40
        .size:           12
        .value_kind:     by_value
      - .offset:         52
        .size:           12
        .value_kind:     by_value
      - .offset:         64
        .size:           12
        .value_kind:     by_value
    .group_segment_fixed_size: 0
    .kernarg_segment_align: 8
    .kernarg_segment_size: 76
    .language:       OpenCL C
    .language_version:
      - 2
      - 0
    .max_flat_workgroup_size: 128
    .name:           _ZL33flash_attn_stream_k_fixup_uniformILi128ELi1ELi4EEvPfPK15HIP_vector_typeIfLj2EEiiiiiiS1_IjLj3EES5_S5_
    .private_segment_fixed_size: 0
    .sgpr_count:     24
    .sgpr_spill_count: 0
    .symbol:         _ZL33flash_attn_stream_k_fixup_uniformILi128ELi1ELi4EEvPfPK15HIP_vector_typeIfLj2EEiiiiiiS1_IjLj3EES5_S5_.kd
    .uniform_work_group_size: 1
    .uses_dynamic_stack: false
    .vgpr_count:     17
    .vgpr_spill_count: 0
    .wavefront_size: 64
  - .args:
      - .address_space:  global
        .offset:         0
        .size:           8
        .value_kind:     global_buffer
      - .address_space:  global
        .offset:         8
        .size:           8
        .value_kind:     global_buffer
      - .offset:         16
        .size:           4
        .value_kind:     by_value
      - .offset:         20
        .size:           4
        .value_kind:     by_value
      - .offset:         24
        .size:           4
        .value_kind:     by_value
      - .offset:         28
        .size:           4
        .value_kind:     by_value
      - .offset:         32
        .size:           12
        .value_kind:     by_value
      - .offset:         44
        .size:           12
        .value_kind:     by_value
      - .offset:         56
        .size:           12
        .value_kind:     by_value
      - .offset:         68
        .size:           12
        .value_kind:     by_value
      - .offset:         80
        .size:           4
        .value_kind:     hidden_block_count_x
      - .offset:         84
        .size:           4
        .value_kind:     hidden_block_count_y
      - .offset:         88
        .size:           4
        .value_kind:     hidden_block_count_z
      - .offset:         92
        .size:           2
        .value_kind:     hidden_group_size_x
      - .offset:         94
        .size:           2
        .value_kind:     hidden_group_size_y
      - .offset:         96
        .size:           2
        .value_kind:     hidden_group_size_z
      - .offset:         98
        .size:           2
        .value_kind:     hidden_remainder_x
      - .offset:         100
        .size:           2
        .value_kind:     hidden_remainder_y
      - .offset:         102
        .size:           2
        .value_kind:     hidden_remainder_z
      - .offset:         120
        .size:           8
        .value_kind:     hidden_global_offset_x
      - .offset:         128
        .size:           8
        .value_kind:     hidden_global_offset_y
      - .offset:         136
        .size:           8
        .value_kind:     hidden_global_offset_z
      - .offset:         144
        .size:           2
        .value_kind:     hidden_grid_dims
    .group_segment_fixed_size: 0
    .kernarg_segment_align: 8
    .kernarg_segment_size: 336
    .language:       OpenCL C
    .language_version:
      - 2
      - 0
    .max_flat_workgroup_size: 128
    .name:           _ZL33flash_attn_stream_k_fixup_generalILi128ELi1ELi4EEvPfPK15HIP_vector_typeIfLj2EEiiiiS1_IjLj3EES5_S5_S5_
    .private_segment_fixed_size: 0
    .sgpr_count:     41
    .sgpr_spill_count: 0
    .symbol:         _ZL33flash_attn_stream_k_fixup_generalILi128ELi1ELi4EEvPfPK15HIP_vector_typeIfLj2EEiiiiS1_IjLj3EES5_S5_S5_.kd
    .uniform_work_group_size: 1
    .uses_dynamic_stack: false
    .vgpr_count:     18
    .vgpr_spill_count: 0
    .wavefront_size: 64
  - .args:
      - .address_space:  global
        .offset:         0
        .size:           8
        .value_kind:     global_buffer
      - .address_space:  global
        .offset:         8
        .size:           8
        .value_kind:     global_buffer
      - .address_space:  global
        .offset:         16
        .size:           8
        .value_kind:     global_buffer
      - .address_space:  global
        .offset:         24
        .size:           8
        .value_kind:     global_buffer
      - .address_space:  global
        .offset:         32
        .size:           8
        .value_kind:     global_buffer
      - .address_space:  global
        .offset:         40
        .size:           8
        .value_kind:     global_buffer
      - .address_space:  global
        .offset:         48
        .size:           8
        .value_kind:     global_buffer
      - .address_space:  global
        .offset:         56
        .size:           8
        .value_kind:     global_buffer
      - .offset:         64
        .size:           4
        .value_kind:     by_value
      - .offset:         68
        .size:           4
        .value_kind:     by_value
      - .offset:         72
        .size:           4
        .value_kind:     by_value
      - .offset:         76
        .size:           4
        .value_kind:     by_value
      - .offset:         80
        .size:           4
        .value_kind:     by_value
      - .offset:         84
        .size:           4
        .value_kind:     by_value
      - .offset:         88
        .size:           4
        .value_kind:     by_value
      - .offset:         92
        .size:           12
        .value_kind:     by_value
      - .offset:         104
        .size:           4
        .value_kind:     by_value
      - .offset:         108
        .size:           4
        .value_kind:     by_value
      - .offset:         112
        .size:           4
        .value_kind:     by_value
      - .offset:         116
        .size:           4
        .value_kind:     by_value
      - .offset:         120
        .size:           4
        .value_kind:     by_value
      - .offset:         124
        .size:           4
        .value_kind:     by_value
      - .offset:         128
        .size:           4
        .value_kind:     by_value
      - .offset:         132
        .size:           4
        .value_kind:     by_value
      - .offset:         136
        .size:           4
        .value_kind:     by_value
      - .offset:         140
        .size:           4
        .value_kind:     by_value
      - .offset:         144
        .size:           4
        .value_kind:     by_value
      - .offset:         152
        .size:           8
        .value_kind:     by_value
      - .offset:         160
        .size:           4
        .value_kind:     by_value
      - .offset:         164
        .size:           4
        .value_kind:     by_value
      - .offset:         168
        .size:           8
        .value_kind:     by_value
      - .offset:         176
        .size:           4
        .value_kind:     by_value
      - .offset:         180
        .size:           4
        .value_kind:     by_value
      - .offset:         184
        .size:           4
        .value_kind:     by_value
      - .offset:         188
        .size:           4
        .value_kind:     by_value
      - .offset:         192
        .size:           4
        .value_kind:     by_value
      - .offset:         200
        .size:           8
        .value_kind:     by_value
      - .offset:         208
        .size:           4
        .value_kind:     hidden_block_count_x
      - .offset:         212
        .size:           4
        .value_kind:     hidden_block_count_y
      - .offset:         216
        .size:           4
        .value_kind:     hidden_block_count_z
      - .offset:         220
        .size:           2
        .value_kind:     hidden_group_size_x
      - .offset:         222
        .size:           2
        .value_kind:     hidden_group_size_y
      - .offset:         224
        .size:           2
        .value_kind:     hidden_group_size_z
      - .offset:         226
        .size:           2
        .value_kind:     hidden_remainder_x
      - .offset:         228
        .size:           2
        .value_kind:     hidden_remainder_y
      - .offset:         230
        .size:           2
        .value_kind:     hidden_remainder_z
      - .offset:         248
        .size:           8
        .value_kind:     hidden_global_offset_x
      - .offset:         256
        .size:           8
        .value_kind:     hidden_global_offset_y
      - .offset:         264
        .size:           8
        .value_kind:     hidden_global_offset_z
      - .offset:         272
        .size:           2
        .value_kind:     hidden_grid_dims
    .group_segment_fixed_size: 29696
    .kernarg_segment_align: 8
    .kernarg_segment_size: 464
    .language:       OpenCL C
    .language_version:
      - 2
      - 0
    .max_flat_workgroup_size: 256
    .name:           _ZL15flash_attn_tileILi128ELi128ELi32ELi2ELb0EEvPKcS1_S1_S1_S1_PKiPfP15HIP_vector_typeIfLj2EEffffjfiS5_IjLj3EEiiiiiiiiiiiliiliiiiil
    .private_segment_fixed_size: 92
    .sgpr_count:     52
    .sgpr_spill_count: 0
    .symbol:         _ZL15flash_attn_tileILi128ELi128ELi32ELi2ELb0EEvPKcS1_S1_S1_S1_PKiPfP15HIP_vector_typeIfLj2EEffffjfiS5_IjLj3EEiiiiiiiiiiiliiliiiiil.kd
    .uniform_work_group_size: 1
    .uses_dynamic_stack: false
    .vgpr_count:     128
    .vgpr_spill_count: 22
    .wavefront_size: 64
  - .args:
      - .actual_access:  read_only
        .address_space:  global
        .offset:         0
        .size:           8
        .value_kind:     global_buffer
      - .actual_access:  write_only
        .address_space:  global
        .offset:         8
        .size:           8
        .value_kind:     global_buffer
      - .offset:         16
        .size:           4
        .value_kind:     by_value
      - .offset:         20
        .size:           4
        .value_kind:     by_value
      - .offset:         24
        .size:           4
        .value_kind:     by_value
      - .offset:         32
        .size:           4
        .value_kind:     hidden_block_count_x
      - .offset:         36
        .size:           4
        .value_kind:     hidden_block_count_y
      - .offset:         40
        .size:           4
        .value_kind:     hidden_block_count_z
      - .offset:         44
        .size:           2
        .value_kind:     hidden_group_size_x
      - .offset:         46
        .size:           2
        .value_kind:     hidden_group_size_y
      - .offset:         48
        .size:           2
        .value_kind:     hidden_group_size_z
      - .offset:         50
        .size:           2
        .value_kind:     hidden_remainder_x
      - .offset:         52
        .size:           2
        .value_kind:     hidden_remainder_y
      - .offset:         54
        .size:           2
        .value_kind:     hidden_remainder_z
      - .offset:         72
        .size:           8
        .value_kind:     hidden_global_offset_x
      - .offset:         80
        .size:           8
        .value_kind:     hidden_global_offset_y
      - .offset:         88
        .size:           8
        .value_kind:     hidden_global_offset_z
      - .offset:         96
        .size:           2
        .value_kind:     hidden_grid_dims
    .group_segment_fixed_size: 128
    .kernarg_segment_align: 8
    .kernarg_segment_size: 288
    .language:       OpenCL C
    .language_version:
      - 2
      - 0
    .max_flat_workgroup_size: 128
    .name:           _ZL25flash_attn_mask_to_KV_maxILi32EEvPK7__half2Piiii
    .private_segment_fixed_size: 0
    .sgpr_count:     100
    .sgpr_spill_count: 46
    .symbol:         _ZL25flash_attn_mask_to_KV_maxILi32EEvPK7__half2Piiii.kd
    .uniform_work_group_size: 1
    .uses_dynamic_stack: false
    .vgpr_count:     13
    .vgpr_spill_count: 0
    .wavefront_size: 64
  - .args:
      - .address_space:  global
        .offset:         0
        .size:           8
        .value_kind:     global_buffer
      - .address_space:  global
        .offset:         8
        .size:           8
        .value_kind:     global_buffer
      - .offset:         16
        .size:           4
        .value_kind:     by_value
      - .offset:         20
        .size:           4
        .value_kind:     by_value
      - .offset:         24
        .size:           4
        .value_kind:     by_value
      - .offset:         28
        .size:           4
        .value_kind:     by_value
      - .offset:         32
        .size:           4
        .value_kind:     by_value
      - .offset:         36
        .size:           4
        .value_kind:     by_value
      - .offset:         40
        .size:           12
        .value_kind:     by_value
      - .offset:         52
        .size:           12
        .value_kind:     by_value
      - .offset:         64
        .size:           12
        .value_kind:     by_value
    .group_segment_fixed_size: 0
    .kernarg_segment_align: 8
    .kernarg_segment_size: 76
    .language:       OpenCL C
    .language_version:
      - 2
      - 0
    .max_flat_workgroup_size: 128
    .name:           _ZL33flash_attn_stream_k_fixup_uniformILi128ELi32ELi2EEvPfPK15HIP_vector_typeIfLj2EEiiiiiiS1_IjLj3EES5_S5_
    .private_segment_fixed_size: 0
    .sgpr_count:     24
    .sgpr_spill_count: 0
    .symbol:         _ZL33flash_attn_stream_k_fixup_uniformILi128ELi32ELi2EEvPfPK15HIP_vector_typeIfLj2EEiiiiiiS1_IjLj3EES5_S5_.kd
    .uniform_work_group_size: 1
    .uses_dynamic_stack: false
    .vgpr_count:     17
    .vgpr_spill_count: 0
    .wavefront_size: 64
  - .args:
      - .address_space:  global
        .offset:         0
        .size:           8
        .value_kind:     global_buffer
      - .address_space:  global
        .offset:         8
        .size:           8
        .value_kind:     global_buffer
      - .offset:         16
        .size:           4
        .value_kind:     by_value
      - .offset:         20
        .size:           4
        .value_kind:     by_value
      - .offset:         24
        .size:           4
        .value_kind:     by_value
      - .offset:         28
        .size:           4
        .value_kind:     by_value
      - .offset:         32
        .size:           12
        .value_kind:     by_value
      - .offset:         44
        .size:           12
        .value_kind:     by_value
      - .offset:         56
        .size:           12
        .value_kind:     by_value
      - .offset:         68
        .size:           12
        .value_kind:     by_value
      - .offset:         80
        .size:           4
        .value_kind:     hidden_block_count_x
      - .offset:         84
        .size:           4
        .value_kind:     hidden_block_count_y
      - .offset:         88
        .size:           4
        .value_kind:     hidden_block_count_z
      - .offset:         92
        .size:           2
        .value_kind:     hidden_group_size_x
      - .offset:         94
        .size:           2
        .value_kind:     hidden_group_size_y
      - .offset:         96
        .size:           2
        .value_kind:     hidden_group_size_z
      - .offset:         98
        .size:           2
        .value_kind:     hidden_remainder_x
      - .offset:         100
        .size:           2
        .value_kind:     hidden_remainder_y
      - .offset:         102
        .size:           2
        .value_kind:     hidden_remainder_z
      - .offset:         120
        .size:           8
        .value_kind:     hidden_global_offset_x
      - .offset:         128
        .size:           8
        .value_kind:     hidden_global_offset_y
      - .offset:         136
        .size:           8
        .value_kind:     hidden_global_offset_z
      - .offset:         144
        .size:           2
        .value_kind:     hidden_grid_dims
    .group_segment_fixed_size: 0
    .kernarg_segment_align: 8
    .kernarg_segment_size: 336
    .language:       OpenCL C
    .language_version:
      - 2
      - 0
    .max_flat_workgroup_size: 128
    .name:           _ZL33flash_attn_stream_k_fixup_generalILi128ELi32ELi2EEvPfPK15HIP_vector_typeIfLj2EEiiiiS1_IjLj3EES5_S5_S5_
    .private_segment_fixed_size: 0
    .sgpr_count:     40
    .sgpr_spill_count: 0
    .symbol:         _ZL33flash_attn_stream_k_fixup_generalILi128ELi32ELi2EEvPfPK15HIP_vector_typeIfLj2EEiiiiS1_IjLj3EES5_S5_S5_.kd
    .uniform_work_group_size: 1
    .uses_dynamic_stack: false
    .vgpr_count:     18
    .vgpr_spill_count: 0
    .wavefront_size: 64
  - .args:
      - .address_space:  global
        .offset:         0
        .size:           8
        .value_kind:     global_buffer
      - .address_space:  global
        .offset:         8
        .size:           8
        .value_kind:     global_buffer
      - .address_space:  global
        .offset:         16
        .size:           8
        .value_kind:     global_buffer
      - .address_space:  global
        .offset:         24
        .size:           8
        .value_kind:     global_buffer
      - .address_space:  global
        .offset:         32
        .size:           8
        .value_kind:     global_buffer
      - .address_space:  global
        .offset:         40
        .size:           8
        .value_kind:     global_buffer
      - .address_space:  global
        .offset:         48
        .size:           8
        .value_kind:     global_buffer
      - .address_space:  global
        .offset:         56
        .size:           8
        .value_kind:     global_buffer
      - .offset:         64
        .size:           4
        .value_kind:     by_value
      - .offset:         68
        .size:           4
        .value_kind:     by_value
      - .offset:         72
        .size:           4
        .value_kind:     by_value
      - .offset:         76
        .size:           4
        .value_kind:     by_value
      - .offset:         80
        .size:           4
        .value_kind:     by_value
      - .offset:         84
        .size:           4
        .value_kind:     by_value
      - .offset:         88
        .size:           4
        .value_kind:     by_value
      - .offset:         92
        .size:           12
        .value_kind:     by_value
      - .offset:         104
        .size:           4
        .value_kind:     by_value
      - .offset:         108
        .size:           4
        .value_kind:     by_value
      - .offset:         112
        .size:           4
        .value_kind:     by_value
      - .offset:         116
        .size:           4
        .value_kind:     by_value
      - .offset:         120
        .size:           4
        .value_kind:     by_value
      - .offset:         124
        .size:           4
        .value_kind:     by_value
      - .offset:         128
        .size:           4
        .value_kind:     by_value
      - .offset:         132
        .size:           4
        .value_kind:     by_value
      - .offset:         136
        .size:           4
        .value_kind:     by_value
      - .offset:         140
        .size:           4
        .value_kind:     by_value
      - .offset:         144
        .size:           4
        .value_kind:     by_value
      - .offset:         152
        .size:           8
        .value_kind:     by_value
      - .offset:         160
        .size:           4
        .value_kind:     by_value
      - .offset:         164
        .size:           4
        .value_kind:     by_value
      - .offset:         168
        .size:           8
        .value_kind:     by_value
      - .offset:         176
        .size:           4
        .value_kind:     by_value
      - .offset:         180
        .size:           4
        .value_kind:     by_value
      - .offset:         184
        .size:           4
        .value_kind:     by_value
      - .offset:         188
        .size:           4
        .value_kind:     by_value
      - .offset:         192
        .size:           4
        .value_kind:     by_value
      - .offset:         200
        .size:           8
        .value_kind:     by_value
      - .offset:         208
        .size:           4
        .value_kind:     hidden_block_count_x
      - .offset:         212
        .size:           4
        .value_kind:     hidden_block_count_y
      - .offset:         216
        .size:           4
        .value_kind:     hidden_block_count_z
      - .offset:         220
        .size:           2
        .value_kind:     hidden_group_size_x
      - .offset:         222
        .size:           2
        .value_kind:     hidden_group_size_y
      - .offset:         224
        .size:           2
        .value_kind:     hidden_group_size_z
      - .offset:         226
        .size:           2
        .value_kind:     hidden_remainder_x
      - .offset:         228
        .size:           2
        .value_kind:     hidden_remainder_y
      - .offset:         230
        .size:           2
        .value_kind:     hidden_remainder_z
      - .offset:         248
        .size:           8
        .value_kind:     hidden_global_offset_x
      - .offset:         256
        .size:           8
        .value_kind:     hidden_global_offset_y
      - .offset:         264
        .size:           8
        .value_kind:     hidden_global_offset_z
      - .offset:         272
        .size:           2
        .value_kind:     hidden_grid_dims
    .group_segment_fixed_size: 21504
    .kernarg_segment_align: 8
    .kernarg_segment_size: 464
    .language:       OpenCL C
    .language_version:
      - 2
      - 0
    .max_flat_workgroup_size: 256
    .name:           _ZL15flash_attn_tileILi128ELi128ELi16ELi2ELb0EEvPKcS1_S1_S1_S1_PKiPfP15HIP_vector_typeIfLj2EEffffjfiS5_IjLj3EEiiiiiiiiiiiliiliiiiil
    .private_segment_fixed_size: 0
    .sgpr_count:     80
    .sgpr_spill_count: 0
    .symbol:         _ZL15flash_attn_tileILi128ELi128ELi16ELi2ELb0EEvPKcS1_S1_S1_S1_PKiPfP15HIP_vector_typeIfLj2EEffffjfiS5_IjLj3EEiiiiiiiiiiiliiliiiiil.kd
    .uniform_work_group_size: 1
    .uses_dynamic_stack: false
    .vgpr_count:     97
    .vgpr_spill_count: 0
    .wavefront_size: 64
  - .args:
      - .address_space:  global
        .offset:         0
        .size:           8
        .value_kind:     global_buffer
      - .address_space:  global
        .offset:         8
        .size:           8
        .value_kind:     global_buffer
      - .offset:         16
        .size:           4
        .value_kind:     by_value
      - .offset:         20
        .size:           4
        .value_kind:     by_value
      - .offset:         24
        .size:           4
        .value_kind:     by_value
      - .offset:         28
        .size:           4
        .value_kind:     by_value
      - .offset:         32
        .size:           4
        .value_kind:     by_value
      - .offset:         36
        .size:           4
        .value_kind:     by_value
      - .offset:         40
        .size:           12
        .value_kind:     by_value
      - .offset:         52
        .size:           12
        .value_kind:     by_value
      - .offset:         64
        .size:           12
        .value_kind:     by_value
    .group_segment_fixed_size: 0
    .kernarg_segment_align: 8
    .kernarg_segment_size: 76
    .language:       OpenCL C
    .language_version:
      - 2
      - 0
    .max_flat_workgroup_size: 128
    .name:           _ZL33flash_attn_stream_k_fixup_uniformILi128ELi16ELi2EEvPfPK15HIP_vector_typeIfLj2EEiiiiiiS1_IjLj3EES5_S5_
    .private_segment_fixed_size: 0
    .sgpr_count:     24
    .sgpr_spill_count: 0
    .symbol:         _ZL33flash_attn_stream_k_fixup_uniformILi128ELi16ELi2EEvPfPK15HIP_vector_typeIfLj2EEiiiiiiS1_IjLj3EES5_S5_.kd
    .uniform_work_group_size: 1
    .uses_dynamic_stack: false
    .vgpr_count:     17
    .vgpr_spill_count: 0
    .wavefront_size: 64
  - .args:
      - .address_space:  global
        .offset:         0
        .size:           8
        .value_kind:     global_buffer
      - .address_space:  global
        .offset:         8
        .size:           8
        .value_kind:     global_buffer
      - .offset:         16
        .size:           4
        .value_kind:     by_value
      - .offset:         20
        .size:           4
        .value_kind:     by_value
      - .offset:         24
        .size:           4
        .value_kind:     by_value
      - .offset:         28
        .size:           4
        .value_kind:     by_value
      - .offset:         32
        .size:           12
        .value_kind:     by_value
      - .offset:         44
        .size:           12
        .value_kind:     by_value
      - .offset:         56
        .size:           12
        .value_kind:     by_value
      - .offset:         68
        .size:           12
        .value_kind:     by_value
      - .offset:         80
        .size:           4
        .value_kind:     hidden_block_count_x
      - .offset:         84
        .size:           4
        .value_kind:     hidden_block_count_y
      - .offset:         88
        .size:           4
        .value_kind:     hidden_block_count_z
      - .offset:         92
        .size:           2
        .value_kind:     hidden_group_size_x
      - .offset:         94
        .size:           2
        .value_kind:     hidden_group_size_y
      - .offset:         96
        .size:           2
        .value_kind:     hidden_group_size_z
      - .offset:         98
        .size:           2
        .value_kind:     hidden_remainder_x
      - .offset:         100
        .size:           2
        .value_kind:     hidden_remainder_y
      - .offset:         102
        .size:           2
        .value_kind:     hidden_remainder_z
      - .offset:         120
        .size:           8
        .value_kind:     hidden_global_offset_x
      - .offset:         128
        .size:           8
        .value_kind:     hidden_global_offset_y
      - .offset:         136
        .size:           8
        .value_kind:     hidden_global_offset_z
      - .offset:         144
        .size:           2
        .value_kind:     hidden_grid_dims
    .group_segment_fixed_size: 0
    .kernarg_segment_align: 8
    .kernarg_segment_size: 336
    .language:       OpenCL C
    .language_version:
      - 2
      - 0
    .max_flat_workgroup_size: 128
    .name:           _ZL33flash_attn_stream_k_fixup_generalILi128ELi16ELi2EEvPfPK15HIP_vector_typeIfLj2EEiiiiS1_IjLj3EES5_S5_S5_
    .private_segment_fixed_size: 0
    .sgpr_count:     40
    .sgpr_spill_count: 0
    .symbol:         _ZL33flash_attn_stream_k_fixup_generalILi128ELi16ELi2EEvPfPK15HIP_vector_typeIfLj2EEiiiiS1_IjLj3EES5_S5_S5_.kd
    .uniform_work_group_size: 1
    .uses_dynamic_stack: false
    .vgpr_count:     18
    .vgpr_spill_count: 0
    .wavefront_size: 64
  - .args:
      - .address_space:  global
        .offset:         0
        .size:           8
        .value_kind:     global_buffer
      - .address_space:  global
        .offset:         8
        .size:           8
        .value_kind:     global_buffer
      - .address_space:  global
        .offset:         16
        .size:           8
        .value_kind:     global_buffer
      - .address_space:  global
        .offset:         24
        .size:           8
        .value_kind:     global_buffer
      - .address_space:  global
        .offset:         32
        .size:           8
        .value_kind:     global_buffer
      - .address_space:  global
        .offset:         40
        .size:           8
        .value_kind:     global_buffer
      - .address_space:  global
        .offset:         48
        .size:           8
        .value_kind:     global_buffer
      - .address_space:  global
        .offset:         56
        .size:           8
        .value_kind:     global_buffer
      - .offset:         64
        .size:           4
        .value_kind:     by_value
      - .offset:         68
        .size:           4
        .value_kind:     by_value
      - .offset:         72
        .size:           4
        .value_kind:     by_value
      - .offset:         76
        .size:           4
        .value_kind:     by_value
      - .offset:         80
        .size:           4
        .value_kind:     by_value
      - .offset:         84
        .size:           4
        .value_kind:     by_value
      - .offset:         88
        .size:           4
        .value_kind:     by_value
      - .offset:         92
        .size:           12
        .value_kind:     by_value
      - .offset:         104
        .size:           4
        .value_kind:     by_value
      - .offset:         108
        .size:           4
        .value_kind:     by_value
      - .offset:         112
        .size:           4
        .value_kind:     by_value
      - .offset:         116
        .size:           4
        .value_kind:     by_value
      - .offset:         120
        .size:           4
        .value_kind:     by_value
      - .offset:         124
        .size:           4
        .value_kind:     by_value
      - .offset:         128
        .size:           4
        .value_kind:     by_value
      - .offset:         132
        .size:           4
        .value_kind:     by_value
      - .offset:         136
        .size:           4
        .value_kind:     by_value
      - .offset:         140
        .size:           4
        .value_kind:     by_value
      - .offset:         144
        .size:           4
        .value_kind:     by_value
      - .offset:         152
        .size:           8
        .value_kind:     by_value
      - .offset:         160
        .size:           4
        .value_kind:     by_value
      - .offset:         164
        .size:           4
        .value_kind:     by_value
      - .offset:         168
        .size:           8
        .value_kind:     by_value
      - .offset:         176
        .size:           4
        .value_kind:     by_value
      - .offset:         180
        .size:           4
        .value_kind:     by_value
      - .offset:         184
        .size:           4
        .value_kind:     by_value
      - .offset:         188
        .size:           4
        .value_kind:     by_value
      - .offset:         192
        .size:           4
        .value_kind:     by_value
      - .offset:         200
        .size:           8
        .value_kind:     by_value
      - .offset:         208
        .size:           4
        .value_kind:     hidden_block_count_x
      - .offset:         212
        .size:           4
        .value_kind:     hidden_block_count_y
      - .offset:         216
        .size:           4
        .value_kind:     hidden_block_count_z
      - .offset:         220
        .size:           2
        .value_kind:     hidden_group_size_x
      - .offset:         222
        .size:           2
        .value_kind:     hidden_group_size_y
      - .offset:         224
        .size:           2
        .value_kind:     hidden_group_size_z
      - .offset:         226
        .size:           2
        .value_kind:     hidden_remainder_x
      - .offset:         228
        .size:           2
        .value_kind:     hidden_remainder_y
      - .offset:         230
        .size:           2
        .value_kind:     hidden_remainder_z
      - .offset:         248
        .size:           8
        .value_kind:     hidden_global_offset_x
      - .offset:         256
        .size:           8
        .value_kind:     hidden_global_offset_y
      - .offset:         264
        .size:           8
        .value_kind:     hidden_global_offset_z
      - .offset:         272
        .size:           2
        .value_kind:     hidden_grid_dims
    .group_segment_fixed_size: 23552
    .kernarg_segment_align: 8
    .kernarg_segment_size: 464
    .language:       OpenCL C
    .language_version:
      - 2
      - 0
    .max_flat_workgroup_size: 256
    .name:           _ZL15flash_attn_tileILi128ELi128ELi8ELi2ELb0EEvPKcS1_S1_S1_S1_PKiPfP15HIP_vector_typeIfLj2EEffffjfiS5_IjLj3EEiiiiiiiiiiiliiliiiiil
    .private_segment_fixed_size: 20
    .sgpr_count:     48
    .sgpr_spill_count: 0
    .symbol:         _ZL15flash_attn_tileILi128ELi128ELi8ELi2ELb0EEvPKcS1_S1_S1_S1_PKiPfP15HIP_vector_typeIfLj2EEffffjfiS5_IjLj3EEiiiiiiiiiiiliiliiiiil.kd
    .uniform_work_group_size: 1
    .uses_dynamic_stack: false
    .vgpr_count:     128
    .vgpr_spill_count: 4
    .wavefront_size: 64
  - .args:
      - .address_space:  global
        .offset:         0
        .size:           8
        .value_kind:     global_buffer
      - .address_space:  global
        .offset:         8
        .size:           8
        .value_kind:     global_buffer
      - .offset:         16
        .size:           4
        .value_kind:     by_value
      - .offset:         20
        .size:           4
        .value_kind:     by_value
      - .offset:         24
        .size:           4
        .value_kind:     by_value
      - .offset:         28
        .size:           4
        .value_kind:     by_value
      - .offset:         32
        .size:           4
        .value_kind:     by_value
      - .offset:         36
        .size:           4
        .value_kind:     by_value
      - .offset:         40
        .size:           12
        .value_kind:     by_value
      - .offset:         52
        .size:           12
        .value_kind:     by_value
      - .offset:         64
        .size:           12
        .value_kind:     by_value
    .group_segment_fixed_size: 0
    .kernarg_segment_align: 8
    .kernarg_segment_size: 76
    .language:       OpenCL C
    .language_version:
      - 2
      - 0
    .max_flat_workgroup_size: 128
    .name:           _ZL33flash_attn_stream_k_fixup_uniformILi128ELi8ELi2EEvPfPK15HIP_vector_typeIfLj2EEiiiiiiS1_IjLj3EES5_S5_
    .private_segment_fixed_size: 0
    .sgpr_count:     24
    .sgpr_spill_count: 0
    .symbol:         _ZL33flash_attn_stream_k_fixup_uniformILi128ELi8ELi2EEvPfPK15HIP_vector_typeIfLj2EEiiiiiiS1_IjLj3EES5_S5_.kd
    .uniform_work_group_size: 1
    .uses_dynamic_stack: false
    .vgpr_count:     17
    .vgpr_spill_count: 0
    .wavefront_size: 64
  - .args:
      - .address_space:  global
        .offset:         0
        .size:           8
        .value_kind:     global_buffer
      - .address_space:  global
        .offset:         8
        .size:           8
        .value_kind:     global_buffer
      - .offset:         16
        .size:           4
        .value_kind:     by_value
      - .offset:         20
        .size:           4
        .value_kind:     by_value
      - .offset:         24
        .size:           4
        .value_kind:     by_value
      - .offset:         28
        .size:           4
        .value_kind:     by_value
      - .offset:         32
        .size:           12
        .value_kind:     by_value
      - .offset:         44
        .size:           12
        .value_kind:     by_value
      - .offset:         56
        .size:           12
        .value_kind:     by_value
      - .offset:         68
        .size:           12
        .value_kind:     by_value
      - .offset:         80
        .size:           4
        .value_kind:     hidden_block_count_x
      - .offset:         84
        .size:           4
        .value_kind:     hidden_block_count_y
      - .offset:         88
        .size:           4
        .value_kind:     hidden_block_count_z
      - .offset:         92
        .size:           2
        .value_kind:     hidden_group_size_x
      - .offset:         94
        .size:           2
        .value_kind:     hidden_group_size_y
      - .offset:         96
        .size:           2
        .value_kind:     hidden_group_size_z
      - .offset:         98
        .size:           2
        .value_kind:     hidden_remainder_x
      - .offset:         100
        .size:           2
        .value_kind:     hidden_remainder_y
      - .offset:         102
        .size:           2
        .value_kind:     hidden_remainder_z
      - .offset:         120
        .size:           8
        .value_kind:     hidden_global_offset_x
      - .offset:         128
        .size:           8
        .value_kind:     hidden_global_offset_y
      - .offset:         136
        .size:           8
        .value_kind:     hidden_global_offset_z
      - .offset:         144
        .size:           2
        .value_kind:     hidden_grid_dims
    .group_segment_fixed_size: 0
    .kernarg_segment_align: 8
    .kernarg_segment_size: 336
    .language:       OpenCL C
    .language_version:
      - 2
      - 0
    .max_flat_workgroup_size: 128
    .name:           _ZL33flash_attn_stream_k_fixup_generalILi128ELi8ELi2EEvPfPK15HIP_vector_typeIfLj2EEiiiiS1_IjLj3EES5_S5_S5_
    .private_segment_fixed_size: 0
    .sgpr_count:     40
    .sgpr_spill_count: 0
    .symbol:         _ZL33flash_attn_stream_k_fixup_generalILi128ELi8ELi2EEvPfPK15HIP_vector_typeIfLj2EEiiiiS1_IjLj3EES5_S5_S5_.kd
    .uniform_work_group_size: 1
    .uses_dynamic_stack: false
    .vgpr_count:     18
    .vgpr_spill_count: 0
    .wavefront_size: 64
  - .args:
      - .address_space:  global
        .offset:         0
        .size:           8
        .value_kind:     global_buffer
      - .address_space:  global
        .offset:         8
        .size:           8
        .value_kind:     global_buffer
      - .address_space:  global
        .offset:         16
        .size:           8
        .value_kind:     global_buffer
      - .address_space:  global
        .offset:         24
        .size:           8
        .value_kind:     global_buffer
      - .address_space:  global
        .offset:         32
        .size:           8
        .value_kind:     global_buffer
      - .address_space:  global
        .offset:         40
        .size:           8
        .value_kind:     global_buffer
      - .address_space:  global
        .offset:         48
        .size:           8
        .value_kind:     global_buffer
      - .address_space:  global
        .offset:         56
        .size:           8
        .value_kind:     global_buffer
      - .offset:         64
        .size:           4
        .value_kind:     by_value
      - .offset:         68
        .size:           4
        .value_kind:     by_value
      - .offset:         72
        .size:           4
        .value_kind:     by_value
      - .offset:         76
        .size:           4
        .value_kind:     by_value
      - .offset:         80
        .size:           4
        .value_kind:     by_value
      - .offset:         84
        .size:           4
        .value_kind:     by_value
      - .offset:         88
        .size:           4
        .value_kind:     by_value
      - .offset:         92
        .size:           12
        .value_kind:     by_value
      - .offset:         104
        .size:           4
        .value_kind:     by_value
      - .offset:         108
        .size:           4
        .value_kind:     by_value
      - .offset:         112
        .size:           4
        .value_kind:     by_value
      - .offset:         116
        .size:           4
        .value_kind:     by_value
      - .offset:         120
        .size:           4
        .value_kind:     by_value
      - .offset:         124
        .size:           4
        .value_kind:     by_value
      - .offset:         128
        .size:           4
        .value_kind:     by_value
      - .offset:         132
        .size:           4
        .value_kind:     by_value
      - .offset:         136
        .size:           4
        .value_kind:     by_value
      - .offset:         140
        .size:           4
        .value_kind:     by_value
      - .offset:         144
        .size:           4
        .value_kind:     by_value
      - .offset:         152
        .size:           8
        .value_kind:     by_value
      - .offset:         160
        .size:           4
        .value_kind:     by_value
      - .offset:         164
        .size:           4
        .value_kind:     by_value
      - .offset:         168
        .size:           8
        .value_kind:     by_value
      - .offset:         176
        .size:           4
        .value_kind:     by_value
      - .offset:         180
        .size:           4
        .value_kind:     by_value
      - .offset:         184
        .size:           4
        .value_kind:     by_value
      - .offset:         188
        .size:           4
        .value_kind:     by_value
      - .offset:         192
        .size:           4
        .value_kind:     by_value
      - .offset:         200
        .size:           8
        .value_kind:     by_value
      - .offset:         208
        .size:           4
        .value_kind:     hidden_block_count_x
      - .offset:         212
        .size:           4
        .value_kind:     hidden_block_count_y
      - .offset:         216
        .size:           4
        .value_kind:     hidden_block_count_z
      - .offset:         220
        .size:           2
        .value_kind:     hidden_group_size_x
      - .offset:         222
        .size:           2
        .value_kind:     hidden_group_size_y
      - .offset:         224
        .size:           2
        .value_kind:     hidden_group_size_z
      - .offset:         226
        .size:           2
        .value_kind:     hidden_remainder_x
      - .offset:         228
        .size:           2
        .value_kind:     hidden_remainder_y
      - .offset:         230
        .size:           2
        .value_kind:     hidden_remainder_z
      - .offset:         248
        .size:           8
        .value_kind:     hidden_global_offset_x
      - .offset:         256
        .size:           8
        .value_kind:     hidden_global_offset_y
      - .offset:         264
        .size:           8
        .value_kind:     hidden_global_offset_z
      - .offset:         272
        .size:           2
        .value_kind:     hidden_grid_dims
    .group_segment_fixed_size: 20480
    .kernarg_segment_align: 8
    .kernarg_segment_size: 464
    .language:       OpenCL C
    .language_version:
      - 2
      - 0
    .max_flat_workgroup_size: 256
    .name:           _ZL15flash_attn_tileILi128ELi128ELi4ELi2ELb0EEvPKcS1_S1_S1_S1_PKiPfP15HIP_vector_typeIfLj2EEffffjfiS5_IjLj3EEiiiiiiiiiiiliiliiiiil
    .private_segment_fixed_size: 0
    .sgpr_count:     43
    .sgpr_spill_count: 0
    .symbol:         _ZL15flash_attn_tileILi128ELi128ELi4ELi2ELb0EEvPKcS1_S1_S1_S1_PKiPfP15HIP_vector_typeIfLj2EEffffjfiS5_IjLj3EEiiiiiiiiiiiliiliiiiil.kd
    .uniform_work_group_size: 1
    .uses_dynamic_stack: false
    .vgpr_count:     77
    .vgpr_spill_count: 0
    .wavefront_size: 64
  - .args:
      - .address_space:  global
        .offset:         0
        .size:           8
        .value_kind:     global_buffer
      - .address_space:  global
        .offset:         8
        .size:           8
        .value_kind:     global_buffer
      - .offset:         16
        .size:           4
        .value_kind:     by_value
      - .offset:         20
        .size:           4
        .value_kind:     by_value
      - .offset:         24
        .size:           4
        .value_kind:     by_value
      - .offset:         28
        .size:           4
        .value_kind:     by_value
      - .offset:         32
        .size:           4
        .value_kind:     by_value
      - .offset:         36
        .size:           4
        .value_kind:     by_value
      - .offset:         40
        .size:           12
        .value_kind:     by_value
      - .offset:         52
        .size:           12
        .value_kind:     by_value
      - .offset:         64
        .size:           12
        .value_kind:     by_value
    .group_segment_fixed_size: 0
    .kernarg_segment_align: 8
    .kernarg_segment_size: 76
    .language:       OpenCL C
    .language_version:
      - 2
      - 0
    .max_flat_workgroup_size: 128
    .name:           _ZL33flash_attn_stream_k_fixup_uniformILi128ELi4ELi2EEvPfPK15HIP_vector_typeIfLj2EEiiiiiiS1_IjLj3EES5_S5_
    .private_segment_fixed_size: 0
    .sgpr_count:     24
    .sgpr_spill_count: 0
    .symbol:         _ZL33flash_attn_stream_k_fixup_uniformILi128ELi4ELi2EEvPfPK15HIP_vector_typeIfLj2EEiiiiiiS1_IjLj3EES5_S5_.kd
    .uniform_work_group_size: 1
    .uses_dynamic_stack: false
    .vgpr_count:     17
    .vgpr_spill_count: 0
    .wavefront_size: 64
  - .args:
      - .address_space:  global
        .offset:         0
        .size:           8
        .value_kind:     global_buffer
      - .address_space:  global
        .offset:         8
        .size:           8
        .value_kind:     global_buffer
      - .offset:         16
        .size:           4
        .value_kind:     by_value
      - .offset:         20
        .size:           4
        .value_kind:     by_value
      - .offset:         24
        .size:           4
        .value_kind:     by_value
      - .offset:         28
        .size:           4
        .value_kind:     by_value
      - .offset:         32
        .size:           12
        .value_kind:     by_value
      - .offset:         44
        .size:           12
        .value_kind:     by_value
      - .offset:         56
        .size:           12
        .value_kind:     by_value
      - .offset:         68
        .size:           12
        .value_kind:     by_value
      - .offset:         80
        .size:           4
        .value_kind:     hidden_block_count_x
      - .offset:         84
        .size:           4
        .value_kind:     hidden_block_count_y
      - .offset:         88
        .size:           4
        .value_kind:     hidden_block_count_z
      - .offset:         92
        .size:           2
        .value_kind:     hidden_group_size_x
      - .offset:         94
        .size:           2
        .value_kind:     hidden_group_size_y
      - .offset:         96
        .size:           2
        .value_kind:     hidden_group_size_z
      - .offset:         98
        .size:           2
        .value_kind:     hidden_remainder_x
      - .offset:         100
        .size:           2
        .value_kind:     hidden_remainder_y
      - .offset:         102
        .size:           2
        .value_kind:     hidden_remainder_z
      - .offset:         120
        .size:           8
        .value_kind:     hidden_global_offset_x
      - .offset:         128
        .size:           8
        .value_kind:     hidden_global_offset_y
      - .offset:         136
        .size:           8
        .value_kind:     hidden_global_offset_z
      - .offset:         144
        .size:           2
        .value_kind:     hidden_grid_dims
    .group_segment_fixed_size: 0
    .kernarg_segment_align: 8
    .kernarg_segment_size: 336
    .language:       OpenCL C
    .language_version:
      - 2
      - 0
    .max_flat_workgroup_size: 128
    .name:           _ZL33flash_attn_stream_k_fixup_generalILi128ELi4ELi2EEvPfPK15HIP_vector_typeIfLj2EEiiiiS1_IjLj3EES5_S5_S5_
    .private_segment_fixed_size: 0
    .sgpr_count:     40
    .sgpr_spill_count: 0
    .symbol:         _ZL33flash_attn_stream_k_fixup_generalILi128ELi4ELi2EEvPfPK15HIP_vector_typeIfLj2EEiiiiS1_IjLj3EES5_S5_S5_.kd
    .uniform_work_group_size: 1
    .uses_dynamic_stack: false
    .vgpr_count:     18
    .vgpr_spill_count: 0
    .wavefront_size: 64
  - .args:
      - .address_space:  global
        .offset:         0
        .size:           8
        .value_kind:     global_buffer
      - .address_space:  global
        .offset:         8
        .size:           8
        .value_kind:     global_buffer
      - .address_space:  global
        .offset:         16
        .size:           8
        .value_kind:     global_buffer
      - .address_space:  global
        .offset:         24
        .size:           8
        .value_kind:     global_buffer
      - .address_space:  global
        .offset:         32
        .size:           8
        .value_kind:     global_buffer
      - .address_space:  global
        .offset:         40
        .size:           8
        .value_kind:     global_buffer
      - .address_space:  global
        .offset:         48
        .size:           8
        .value_kind:     global_buffer
      - .address_space:  global
        .offset:         56
        .size:           8
        .value_kind:     global_buffer
      - .offset:         64
        .size:           4
        .value_kind:     by_value
      - .offset:         68
        .size:           4
        .value_kind:     by_value
      - .offset:         72
        .size:           4
        .value_kind:     by_value
      - .offset:         76
        .size:           4
        .value_kind:     by_value
      - .offset:         80
        .size:           4
        .value_kind:     by_value
      - .offset:         84
        .size:           4
        .value_kind:     by_value
      - .offset:         88
        .size:           4
        .value_kind:     by_value
      - .offset:         92
        .size:           12
        .value_kind:     by_value
      - .offset:         104
        .size:           4
        .value_kind:     by_value
      - .offset:         108
        .size:           4
        .value_kind:     by_value
      - .offset:         112
        .size:           4
        .value_kind:     by_value
      - .offset:         116
        .size:           4
        .value_kind:     by_value
      - .offset:         120
        .size:           4
        .value_kind:     by_value
      - .offset:         124
        .size:           4
        .value_kind:     by_value
      - .offset:         128
        .size:           4
        .value_kind:     by_value
      - .offset:         132
        .size:           4
        .value_kind:     by_value
      - .offset:         136
        .size:           4
        .value_kind:     by_value
      - .offset:         140
        .size:           4
        .value_kind:     by_value
      - .offset:         144
        .size:           4
        .value_kind:     by_value
      - .offset:         152
        .size:           8
        .value_kind:     by_value
      - .offset:         160
        .size:           4
        .value_kind:     by_value
      - .offset:         164
        .size:           4
        .value_kind:     by_value
      - .offset:         168
        .size:           8
        .value_kind:     by_value
      - .offset:         176
        .size:           4
        .value_kind:     by_value
      - .offset:         180
        .size:           4
        .value_kind:     by_value
      - .offset:         184
        .size:           4
        .value_kind:     by_value
      - .offset:         188
        .size:           4
        .value_kind:     by_value
      - .offset:         192
        .size:           4
        .value_kind:     by_value
      - .offset:         200
        .size:           8
        .value_kind:     by_value
      - .offset:         208
        .size:           4
        .value_kind:     hidden_block_count_x
      - .offset:         212
        .size:           4
        .value_kind:     hidden_block_count_y
      - .offset:         216
        .size:           4
        .value_kind:     hidden_block_count_z
      - .offset:         220
        .size:           2
        .value_kind:     hidden_group_size_x
      - .offset:         222
        .size:           2
        .value_kind:     hidden_group_size_y
      - .offset:         224
        .size:           2
        .value_kind:     hidden_group_size_z
      - .offset:         226
        .size:           2
        .value_kind:     hidden_remainder_x
      - .offset:         228
        .size:           2
        .value_kind:     hidden_remainder_y
      - .offset:         230
        .size:           2
        .value_kind:     hidden_remainder_z
      - .offset:         248
        .size:           8
        .value_kind:     hidden_global_offset_x
      - .offset:         256
        .size:           8
        .value_kind:     hidden_global_offset_y
      - .offset:         264
        .size:           8
        .value_kind:     hidden_global_offset_z
      - .offset:         272
        .size:           2
        .value_kind:     hidden_grid_dims
    .group_segment_fixed_size: 18944
    .kernarg_segment_align: 8
    .kernarg_segment_size: 464
    .language:       OpenCL C
    .language_version:
      - 2
      - 0
    .max_flat_workgroup_size: 128
    .name:           _ZL15flash_attn_tileILi128ELi128ELi2ELi2ELb0EEvPKcS1_S1_S1_S1_PKiPfP15HIP_vector_typeIfLj2EEffffjfiS5_IjLj3EEiiiiiiiiiiiliiliiiiil
    .private_segment_fixed_size: 24
    .sgpr_count:     56
    .sgpr_spill_count: 0
    .symbol:         _ZL15flash_attn_tileILi128ELi128ELi2ELi2ELb0EEvPKcS1_S1_S1_S1_PKiPfP15HIP_vector_typeIfLj2EEffffjfiS5_IjLj3EEiiiiiiiiiiiliiliiiiil.kd
    .uniform_work_group_size: 1
    .uses_dynamic_stack: false
    .vgpr_count:     128
    .vgpr_spill_count: 5
    .wavefront_size: 64
  - .args:
      - .address_space:  global
        .offset:         0
        .size:           8
        .value_kind:     global_buffer
      - .address_space:  global
        .offset:         8
        .size:           8
        .value_kind:     global_buffer
      - .offset:         16
        .size:           4
        .value_kind:     by_value
      - .offset:         20
        .size:           4
        .value_kind:     by_value
      - .offset:         24
        .size:           4
        .value_kind:     by_value
      - .offset:         28
        .size:           4
        .value_kind:     by_value
      - .offset:         32
        .size:           4
        .value_kind:     by_value
      - .offset:         36
        .size:           4
        .value_kind:     by_value
      - .offset:         40
        .size:           12
        .value_kind:     by_value
      - .offset:         52
        .size:           12
        .value_kind:     by_value
      - .offset:         64
        .size:           12
        .value_kind:     by_value
    .group_segment_fixed_size: 0
    .kernarg_segment_align: 8
    .kernarg_segment_size: 76
    .language:       OpenCL C
    .language_version:
      - 2
      - 0
    .max_flat_workgroup_size: 128
    .name:           _ZL33flash_attn_stream_k_fixup_uniformILi128ELi2ELi2EEvPfPK15HIP_vector_typeIfLj2EEiiiiiiS1_IjLj3EES5_S5_
    .private_segment_fixed_size: 0
    .sgpr_count:     24
    .sgpr_spill_count: 0
    .symbol:         _ZL33flash_attn_stream_k_fixup_uniformILi128ELi2ELi2EEvPfPK15HIP_vector_typeIfLj2EEiiiiiiS1_IjLj3EES5_S5_.kd
    .uniform_work_group_size: 1
    .uses_dynamic_stack: false
    .vgpr_count:     17
    .vgpr_spill_count: 0
    .wavefront_size: 64
  - .args:
      - .address_space:  global
        .offset:         0
        .size:           8
        .value_kind:     global_buffer
      - .address_space:  global
        .offset:         8
        .size:           8
        .value_kind:     global_buffer
      - .offset:         16
        .size:           4
        .value_kind:     by_value
      - .offset:         20
        .size:           4
        .value_kind:     by_value
      - .offset:         24
        .size:           4
        .value_kind:     by_value
      - .offset:         28
        .size:           4
        .value_kind:     by_value
      - .offset:         32
        .size:           12
        .value_kind:     by_value
      - .offset:         44
        .size:           12
        .value_kind:     by_value
      - .offset:         56
        .size:           12
        .value_kind:     by_value
      - .offset:         68
        .size:           12
        .value_kind:     by_value
      - .offset:         80
        .size:           4
        .value_kind:     hidden_block_count_x
      - .offset:         84
        .size:           4
        .value_kind:     hidden_block_count_y
      - .offset:         88
        .size:           4
        .value_kind:     hidden_block_count_z
      - .offset:         92
        .size:           2
        .value_kind:     hidden_group_size_x
      - .offset:         94
        .size:           2
        .value_kind:     hidden_group_size_y
      - .offset:         96
        .size:           2
        .value_kind:     hidden_group_size_z
      - .offset:         98
        .size:           2
        .value_kind:     hidden_remainder_x
      - .offset:         100
        .size:           2
        .value_kind:     hidden_remainder_y
      - .offset:         102
        .size:           2
        .value_kind:     hidden_remainder_z
      - .offset:         120
        .size:           8
        .value_kind:     hidden_global_offset_x
      - .offset:         128
        .size:           8
        .value_kind:     hidden_global_offset_y
      - .offset:         136
        .size:           8
        .value_kind:     hidden_global_offset_z
      - .offset:         144
        .size:           2
        .value_kind:     hidden_grid_dims
    .group_segment_fixed_size: 0
    .kernarg_segment_align: 8
    .kernarg_segment_size: 336
    .language:       OpenCL C
    .language_version:
      - 2
      - 0
    .max_flat_workgroup_size: 128
    .name:           _ZL33flash_attn_stream_k_fixup_generalILi128ELi2ELi2EEvPfPK15HIP_vector_typeIfLj2EEiiiiS1_IjLj3EES5_S5_S5_
    .private_segment_fixed_size: 0
    .sgpr_count:     40
    .sgpr_spill_count: 0
    .symbol:         _ZL33flash_attn_stream_k_fixup_generalILi128ELi2ELi2EEvPfPK15HIP_vector_typeIfLj2EEiiiiS1_IjLj3EES5_S5_S5_.kd
    .uniform_work_group_size: 1
    .uses_dynamic_stack: false
    .vgpr_count:     18
    .vgpr_spill_count: 0
    .wavefront_size: 64
  - .args:
      - .address_space:  global
        .offset:         0
        .size:           8
        .value_kind:     global_buffer
      - .address_space:  global
        .offset:         8
        .size:           8
        .value_kind:     global_buffer
      - .address_space:  global
        .offset:         16
        .size:           8
        .value_kind:     global_buffer
      - .address_space:  global
        .offset:         24
        .size:           8
        .value_kind:     global_buffer
      - .address_space:  global
        .offset:         32
        .size:           8
        .value_kind:     global_buffer
      - .address_space:  global
        .offset:         40
        .size:           8
        .value_kind:     global_buffer
      - .address_space:  global
        .offset:         48
        .size:           8
        .value_kind:     global_buffer
      - .address_space:  global
        .offset:         56
        .size:           8
        .value_kind:     global_buffer
      - .offset:         64
        .size:           4
        .value_kind:     by_value
      - .offset:         68
        .size:           4
        .value_kind:     by_value
      - .offset:         72
        .size:           4
        .value_kind:     by_value
      - .offset:         76
        .size:           4
        .value_kind:     by_value
      - .offset:         80
        .size:           4
        .value_kind:     by_value
      - .offset:         84
        .size:           4
        .value_kind:     by_value
      - .offset:         88
        .size:           4
        .value_kind:     by_value
      - .offset:         92
        .size:           12
        .value_kind:     by_value
      - .offset:         104
        .size:           4
        .value_kind:     by_value
      - .offset:         108
        .size:           4
        .value_kind:     by_value
      - .offset:         112
        .size:           4
        .value_kind:     by_value
      - .offset:         116
        .size:           4
        .value_kind:     by_value
      - .offset:         120
        .size:           4
        .value_kind:     by_value
      - .offset:         124
        .size:           4
        .value_kind:     by_value
      - .offset:         128
        .size:           4
        .value_kind:     by_value
      - .offset:         132
        .size:           4
        .value_kind:     by_value
      - .offset:         136
        .size:           4
        .value_kind:     by_value
      - .offset:         140
        .size:           4
        .value_kind:     by_value
      - .offset:         144
        .size:           4
        .value_kind:     by_value
      - .offset:         152
        .size:           8
        .value_kind:     by_value
      - .offset:         160
        .size:           4
        .value_kind:     by_value
      - .offset:         164
        .size:           4
        .value_kind:     by_value
      - .offset:         168
        .size:           8
        .value_kind:     by_value
      - .offset:         176
        .size:           4
        .value_kind:     by_value
      - .offset:         180
        .size:           4
        .value_kind:     by_value
      - .offset:         184
        .size:           4
        .value_kind:     by_value
      - .offset:         188
        .size:           4
        .value_kind:     by_value
      - .offset:         192
        .size:           4
        .value_kind:     by_value
      - .offset:         200
        .size:           8
        .value_kind:     by_value
      - .offset:         208
        .size:           4
        .value_kind:     hidden_block_count_x
      - .offset:         212
        .size:           4
        .value_kind:     hidden_block_count_y
      - .offset:         216
        .size:           4
        .value_kind:     hidden_block_count_z
      - .offset:         220
        .size:           2
        .value_kind:     hidden_group_size_x
      - .offset:         222
        .size:           2
        .value_kind:     hidden_group_size_y
      - .offset:         224
        .size:           2
        .value_kind:     hidden_group_size_z
      - .offset:         226
        .size:           2
        .value_kind:     hidden_remainder_x
      - .offset:         228
        .size:           2
        .value_kind:     hidden_remainder_y
      - .offset:         230
        .size:           2
        .value_kind:     hidden_remainder_z
      - .offset:         248
        .size:           8
        .value_kind:     hidden_global_offset_x
      - .offset:         256
        .size:           8
        .value_kind:     hidden_global_offset_y
      - .offset:         264
        .size:           8
        .value_kind:     hidden_global_offset_z
      - .offset:         272
        .size:           2
        .value_kind:     hidden_grid_dims
    .group_segment_fixed_size: 19488
    .kernarg_segment_align: 8
    .kernarg_segment_size: 464
    .language:       OpenCL C
    .language_version:
      - 2
      - 0
    .max_flat_workgroup_size: 256
    .name:           _ZL15flash_attn_tileILi128ELi128ELi1ELi2ELb0EEvPKcS1_S1_S1_S1_PKiPfP15HIP_vector_typeIfLj2EEffffjfiS5_IjLj3EEiiiiiiiiiiiliiliiiiil
    .private_segment_fixed_size: 0
    .sgpr_count:     48
    .sgpr_spill_count: 0
    .symbol:         _ZL15flash_attn_tileILi128ELi128ELi1ELi2ELb0EEvPKcS1_S1_S1_S1_PKiPfP15HIP_vector_typeIfLj2EEffffjfiS5_IjLj3EEiiiiiiiiiiiliiliiiiil.kd
    .uniform_work_group_size: 1
    .uses_dynamic_stack: false
    .vgpr_count:     80
    .vgpr_spill_count: 0
    .wavefront_size: 64
  - .args:
      - .address_space:  global
        .offset:         0
        .size:           8
        .value_kind:     global_buffer
      - .address_space:  global
        .offset:         8
        .size:           8
        .value_kind:     global_buffer
      - .offset:         16
        .size:           4
        .value_kind:     by_value
      - .offset:         20
        .size:           4
        .value_kind:     by_value
      - .offset:         24
        .size:           4
        .value_kind:     by_value
      - .offset:         28
        .size:           4
        .value_kind:     by_value
      - .offset:         32
        .size:           4
        .value_kind:     by_value
      - .offset:         36
        .size:           4
        .value_kind:     by_value
      - .offset:         40
        .size:           12
        .value_kind:     by_value
      - .offset:         52
        .size:           12
        .value_kind:     by_value
      - .offset:         64
        .size:           12
        .value_kind:     by_value
    .group_segment_fixed_size: 0
    .kernarg_segment_align: 8
    .kernarg_segment_size: 76
    .language:       OpenCL C
    .language_version:
      - 2
      - 0
    .max_flat_workgroup_size: 128
    .name:           _ZL33flash_attn_stream_k_fixup_uniformILi128ELi1ELi2EEvPfPK15HIP_vector_typeIfLj2EEiiiiiiS1_IjLj3EES5_S5_
    .private_segment_fixed_size: 0
    .sgpr_count:     24
    .sgpr_spill_count: 0
    .symbol:         _ZL33flash_attn_stream_k_fixup_uniformILi128ELi1ELi2EEvPfPK15HIP_vector_typeIfLj2EEiiiiiiS1_IjLj3EES5_S5_.kd
    .uniform_work_group_size: 1
    .uses_dynamic_stack: false
    .vgpr_count:     17
    .vgpr_spill_count: 0
    .wavefront_size: 64
  - .args:
      - .address_space:  global
        .offset:         0
        .size:           8
        .value_kind:     global_buffer
      - .address_space:  global
        .offset:         8
        .size:           8
        .value_kind:     global_buffer
      - .offset:         16
        .size:           4
        .value_kind:     by_value
      - .offset:         20
        .size:           4
        .value_kind:     by_value
      - .offset:         24
        .size:           4
        .value_kind:     by_value
      - .offset:         28
        .size:           4
        .value_kind:     by_value
      - .offset:         32
        .size:           12
        .value_kind:     by_value
      - .offset:         44
        .size:           12
        .value_kind:     by_value
      - .offset:         56
        .size:           12
        .value_kind:     by_value
      - .offset:         68
        .size:           12
        .value_kind:     by_value
      - .offset:         80
        .size:           4
        .value_kind:     hidden_block_count_x
      - .offset:         84
        .size:           4
        .value_kind:     hidden_block_count_y
      - .offset:         88
        .size:           4
        .value_kind:     hidden_block_count_z
      - .offset:         92
        .size:           2
        .value_kind:     hidden_group_size_x
      - .offset:         94
        .size:           2
        .value_kind:     hidden_group_size_y
      - .offset:         96
        .size:           2
        .value_kind:     hidden_group_size_z
      - .offset:         98
        .size:           2
        .value_kind:     hidden_remainder_x
      - .offset:         100
        .size:           2
        .value_kind:     hidden_remainder_y
      - .offset:         102
        .size:           2
        .value_kind:     hidden_remainder_z
      - .offset:         120
        .size:           8
        .value_kind:     hidden_global_offset_x
      - .offset:         128
        .size:           8
        .value_kind:     hidden_global_offset_y
      - .offset:         136
        .size:           8
        .value_kind:     hidden_global_offset_z
      - .offset:         144
        .size:           2
        .value_kind:     hidden_grid_dims
    .group_segment_fixed_size: 0
    .kernarg_segment_align: 8
    .kernarg_segment_size: 336
    .language:       OpenCL C
    .language_version:
      - 2
      - 0
    .max_flat_workgroup_size: 128
    .name:           _ZL33flash_attn_stream_k_fixup_generalILi128ELi1ELi2EEvPfPK15HIP_vector_typeIfLj2EEiiiiS1_IjLj3EES5_S5_S5_
    .private_segment_fixed_size: 0
    .sgpr_count:     41
    .sgpr_spill_count: 0
    .symbol:         _ZL33flash_attn_stream_k_fixup_generalILi128ELi1ELi2EEvPfPK15HIP_vector_typeIfLj2EEiiiiS1_IjLj3EES5_S5_S5_.kd
    .uniform_work_group_size: 1
    .uses_dynamic_stack: false
    .vgpr_count:     18
    .vgpr_spill_count: 0
    .wavefront_size: 64
  - .args:
      - .address_space:  global
        .offset:         0
        .size:           8
        .value_kind:     global_buffer
      - .address_space:  global
        .offset:         8
        .size:           8
        .value_kind:     global_buffer
      - .address_space:  global
        .offset:         16
        .size:           8
        .value_kind:     global_buffer
      - .address_space:  global
        .offset:         24
        .size:           8
        .value_kind:     global_buffer
      - .address_space:  global
        .offset:         32
        .size:           8
        .value_kind:     global_buffer
      - .address_space:  global
        .offset:         40
        .size:           8
        .value_kind:     global_buffer
      - .address_space:  global
        .offset:         48
        .size:           8
        .value_kind:     global_buffer
      - .address_space:  global
        .offset:         56
        .size:           8
        .value_kind:     global_buffer
      - .offset:         64
        .size:           4
        .value_kind:     by_value
      - .offset:         68
        .size:           4
        .value_kind:     by_value
      - .offset:         72
        .size:           4
        .value_kind:     by_value
      - .offset:         76
        .size:           4
        .value_kind:     by_value
      - .offset:         80
        .size:           4
        .value_kind:     by_value
      - .offset:         84
        .size:           4
        .value_kind:     by_value
      - .offset:         88
        .size:           4
        .value_kind:     by_value
      - .offset:         92
        .size:           12
        .value_kind:     by_value
      - .offset:         104
        .size:           4
        .value_kind:     by_value
      - .offset:         108
        .size:           4
        .value_kind:     by_value
      - .offset:         112
        .size:           4
        .value_kind:     by_value
      - .offset:         116
        .size:           4
        .value_kind:     by_value
      - .offset:         120
        .size:           4
        .value_kind:     by_value
      - .offset:         124
        .size:           4
        .value_kind:     by_value
      - .offset:         128
        .size:           4
        .value_kind:     by_value
      - .offset:         132
        .size:           4
        .value_kind:     by_value
      - .offset:         136
        .size:           4
        .value_kind:     by_value
      - .offset:         140
        .size:           4
        .value_kind:     by_value
      - .offset:         144
        .size:           4
        .value_kind:     by_value
      - .offset:         152
        .size:           8
        .value_kind:     by_value
      - .offset:         160
        .size:           4
        .value_kind:     by_value
      - .offset:         164
        .size:           4
        .value_kind:     by_value
      - .offset:         168
        .size:           8
        .value_kind:     by_value
      - .offset:         176
        .size:           4
        .value_kind:     by_value
      - .offset:         180
        .size:           4
        .value_kind:     by_value
      - .offset:         184
        .size:           4
        .value_kind:     by_value
      - .offset:         188
        .size:           4
        .value_kind:     by_value
      - .offset:         192
        .size:           4
        .value_kind:     by_value
      - .offset:         200
        .size:           8
        .value_kind:     by_value
      - .offset:         208
        .size:           4
        .value_kind:     hidden_block_count_x
      - .offset:         212
        .size:           4
        .value_kind:     hidden_block_count_y
      - .offset:         216
        .size:           4
        .value_kind:     hidden_block_count_z
      - .offset:         220
        .size:           2
        .value_kind:     hidden_group_size_x
      - .offset:         222
        .size:           2
        .value_kind:     hidden_group_size_y
      - .offset:         224
        .size:           2
        .value_kind:     hidden_group_size_z
      - .offset:         226
        .size:           2
        .value_kind:     hidden_remainder_x
      - .offset:         228
        .size:           2
        .value_kind:     hidden_remainder_y
      - .offset:         230
        .size:           2
        .value_kind:     hidden_remainder_z
      - .offset:         248
        .size:           8
        .value_kind:     hidden_global_offset_x
      - .offset:         256
        .size:           8
        .value_kind:     hidden_global_offset_y
      - .offset:         264
        .size:           8
        .value_kind:     hidden_global_offset_z
      - .offset:         272
        .size:           2
        .value_kind:     hidden_grid_dims
    .group_segment_fixed_size: 29696
    .kernarg_segment_align: 8
    .kernarg_segment_size: 464
    .language:       OpenCL C
    .language_version:
      - 2
      - 0
    .max_flat_workgroup_size: 256
    .name:           _ZL15flash_attn_tileILi128ELi128ELi64ELi1ELb0EEvPKcS1_S1_S1_S1_PKiPfP15HIP_vector_typeIfLj2EEffffjfiS5_IjLj3EEiiiiiiiiiiiliiliiiiil
    .private_segment_fixed_size: 32
    .sgpr_count:     58
    .sgpr_spill_count: 0
    .symbol:         _ZL15flash_attn_tileILi128ELi128ELi64ELi1ELb0EEvPKcS1_S1_S1_S1_PKiPfP15HIP_vector_typeIfLj2EEffffjfiS5_IjLj3EEiiiiiiiiiiiliiliiiiil.kd
    .uniform_work_group_size: 1
    .uses_dynamic_stack: false
    .vgpr_count:     128
    .vgpr_spill_count: 3
    .wavefront_size: 64
  - .args:
      - .actual_access:  read_only
        .address_space:  global
        .offset:         0
        .size:           8
        .value_kind:     global_buffer
      - .actual_access:  write_only
        .address_space:  global
        .offset:         8
        .size:           8
        .value_kind:     global_buffer
      - .offset:         16
        .size:           4
        .value_kind:     by_value
      - .offset:         20
        .size:           4
        .value_kind:     by_value
      - .offset:         24
        .size:           4
        .value_kind:     by_value
      - .offset:         32
        .size:           4
        .value_kind:     hidden_block_count_x
      - .offset:         36
        .size:           4
        .value_kind:     hidden_block_count_y
      - .offset:         40
        .size:           4
        .value_kind:     hidden_block_count_z
      - .offset:         44
        .size:           2
        .value_kind:     hidden_group_size_x
      - .offset:         46
        .size:           2
        .value_kind:     hidden_group_size_y
      - .offset:         48
        .size:           2
        .value_kind:     hidden_group_size_z
      - .offset:         50
        .size:           2
        .value_kind:     hidden_remainder_x
      - .offset:         52
        .size:           2
        .value_kind:     hidden_remainder_y
      - .offset:         54
        .size:           2
        .value_kind:     hidden_remainder_z
      - .offset:         72
        .size:           8
        .value_kind:     hidden_global_offset_x
      - .offset:         80
        .size:           8
        .value_kind:     hidden_global_offset_y
      - .offset:         88
        .size:           8
        .value_kind:     hidden_global_offset_z
      - .offset:         96
        .size:           2
        .value_kind:     hidden_grid_dims
    .group_segment_fixed_size: 128
    .kernarg_segment_align: 8
    .kernarg_segment_size: 288
    .language:       OpenCL C
    .language_version:
      - 2
      - 0
    .max_flat_workgroup_size: 128
    .name:           _ZL25flash_attn_mask_to_KV_maxILi64EEvPK7__half2Piiii
    .private_segment_fixed_size: 0
    .sgpr_count:     100
    .sgpr_spill_count: 174
    .symbol:         _ZL25flash_attn_mask_to_KV_maxILi64EEvPK7__half2Piiii.kd
    .uniform_work_group_size: 1
    .uses_dynamic_stack: false
    .vgpr_count:     15
    .vgpr_spill_count: 0
    .wavefront_size: 64
  - .args:
      - .address_space:  global
        .offset:         0
        .size:           8
        .value_kind:     global_buffer
      - .address_space:  global
        .offset:         8
        .size:           8
        .value_kind:     global_buffer
      - .offset:         16
        .size:           4
        .value_kind:     by_value
      - .offset:         20
        .size:           4
        .value_kind:     by_value
      - .offset:         24
        .size:           4
        .value_kind:     by_value
      - .offset:         28
        .size:           4
        .value_kind:     by_value
      - .offset:         32
        .size:           4
        .value_kind:     by_value
      - .offset:         36
        .size:           4
        .value_kind:     by_value
      - .offset:         40
        .size:           12
        .value_kind:     by_value
      - .offset:         52
        .size:           12
        .value_kind:     by_value
      - .offset:         64
        .size:           12
        .value_kind:     by_value
    .group_segment_fixed_size: 0
    .kernarg_segment_align: 8
    .kernarg_segment_size: 76
    .language:       OpenCL C
    .language_version:
      - 2
      - 0
    .max_flat_workgroup_size: 128
    .name:           _ZL33flash_attn_stream_k_fixup_uniformILi128ELi64ELi1EEvPfPK15HIP_vector_typeIfLj2EEiiiiiiS1_IjLj3EES5_S5_
    .private_segment_fixed_size: 0
    .sgpr_count:     24
    .sgpr_spill_count: 0
    .symbol:         _ZL33flash_attn_stream_k_fixup_uniformILi128ELi64ELi1EEvPfPK15HIP_vector_typeIfLj2EEiiiiiiS1_IjLj3EES5_S5_.kd
    .uniform_work_group_size: 1
    .uses_dynamic_stack: false
    .vgpr_count:     17
    .vgpr_spill_count: 0
    .wavefront_size: 64
  - .args:
      - .address_space:  global
        .offset:         0
        .size:           8
        .value_kind:     global_buffer
      - .address_space:  global
        .offset:         8
        .size:           8
        .value_kind:     global_buffer
      - .offset:         16
        .size:           4
        .value_kind:     by_value
      - .offset:         20
        .size:           4
        .value_kind:     by_value
      - .offset:         24
        .size:           4
        .value_kind:     by_value
      - .offset:         28
        .size:           4
        .value_kind:     by_value
      - .offset:         32
        .size:           12
        .value_kind:     by_value
      - .offset:         44
        .size:           12
        .value_kind:     by_value
      - .offset:         56
        .size:           12
        .value_kind:     by_value
      - .offset:         68
        .size:           12
        .value_kind:     by_value
      - .offset:         80
        .size:           4
        .value_kind:     hidden_block_count_x
      - .offset:         84
        .size:           4
        .value_kind:     hidden_block_count_y
      - .offset:         88
        .size:           4
        .value_kind:     hidden_block_count_z
      - .offset:         92
        .size:           2
        .value_kind:     hidden_group_size_x
      - .offset:         94
        .size:           2
        .value_kind:     hidden_group_size_y
      - .offset:         96
        .size:           2
        .value_kind:     hidden_group_size_z
      - .offset:         98
        .size:           2
        .value_kind:     hidden_remainder_x
      - .offset:         100
        .size:           2
        .value_kind:     hidden_remainder_y
      - .offset:         102
        .size:           2
        .value_kind:     hidden_remainder_z
      - .offset:         120
        .size:           8
        .value_kind:     hidden_global_offset_x
      - .offset:         128
        .size:           8
        .value_kind:     hidden_global_offset_y
      - .offset:         136
        .size:           8
        .value_kind:     hidden_global_offset_z
      - .offset:         144
        .size:           2
        .value_kind:     hidden_grid_dims
    .group_segment_fixed_size: 0
    .kernarg_segment_align: 8
    .kernarg_segment_size: 336
    .language:       OpenCL C
    .language_version:
      - 2
      - 0
    .max_flat_workgroup_size: 128
    .name:           _ZL33flash_attn_stream_k_fixup_generalILi128ELi64ELi1EEvPfPK15HIP_vector_typeIfLj2EEiiiiS1_IjLj3EES5_S5_S5_
    .private_segment_fixed_size: 0
    .sgpr_count:     40
    .sgpr_spill_count: 0
    .symbol:         _ZL33flash_attn_stream_k_fixup_generalILi128ELi64ELi1EEvPfPK15HIP_vector_typeIfLj2EEiiiiS1_IjLj3EES5_S5_S5_.kd
    .uniform_work_group_size: 1
    .uses_dynamic_stack: false
    .vgpr_count:     18
    .vgpr_spill_count: 0
    .wavefront_size: 64
  - .args:
      - .address_space:  global
        .offset:         0
        .size:           8
        .value_kind:     global_buffer
      - .address_space:  global
        .offset:         8
        .size:           8
        .value_kind:     global_buffer
      - .address_space:  global
        .offset:         16
        .size:           8
        .value_kind:     global_buffer
      - .address_space:  global
        .offset:         24
        .size:           8
        .value_kind:     global_buffer
      - .address_space:  global
        .offset:         32
        .size:           8
        .value_kind:     global_buffer
      - .address_space:  global
        .offset:         40
        .size:           8
        .value_kind:     global_buffer
      - .address_space:  global
        .offset:         48
        .size:           8
        .value_kind:     global_buffer
      - .address_space:  global
        .offset:         56
        .size:           8
        .value_kind:     global_buffer
      - .offset:         64
        .size:           4
        .value_kind:     by_value
      - .offset:         68
        .size:           4
        .value_kind:     by_value
      - .offset:         72
        .size:           4
        .value_kind:     by_value
      - .offset:         76
        .size:           4
        .value_kind:     by_value
      - .offset:         80
        .size:           4
        .value_kind:     by_value
      - .offset:         84
        .size:           4
        .value_kind:     by_value
      - .offset:         88
        .size:           4
        .value_kind:     by_value
      - .offset:         92
        .size:           12
        .value_kind:     by_value
      - .offset:         104
        .size:           4
        .value_kind:     by_value
      - .offset:         108
        .size:           4
        .value_kind:     by_value
      - .offset:         112
        .size:           4
        .value_kind:     by_value
      - .offset:         116
        .size:           4
        .value_kind:     by_value
      - .offset:         120
        .size:           4
        .value_kind:     by_value
      - .offset:         124
        .size:           4
        .value_kind:     by_value
      - .offset:         128
        .size:           4
        .value_kind:     by_value
      - .offset:         132
        .size:           4
        .value_kind:     by_value
      - .offset:         136
        .size:           4
        .value_kind:     by_value
      - .offset:         140
        .size:           4
        .value_kind:     by_value
      - .offset:         144
        .size:           4
        .value_kind:     by_value
      - .offset:         152
        .size:           8
        .value_kind:     by_value
      - .offset:         160
        .size:           4
        .value_kind:     by_value
      - .offset:         164
        .size:           4
        .value_kind:     by_value
      - .offset:         168
        .size:           8
        .value_kind:     by_value
      - .offset:         176
        .size:           4
        .value_kind:     by_value
      - .offset:         180
        .size:           4
        .value_kind:     by_value
      - .offset:         184
        .size:           4
        .value_kind:     by_value
      - .offset:         188
        .size:           4
        .value_kind:     by_value
      - .offset:         192
        .size:           4
        .value_kind:     by_value
      - .offset:         200
        .size:           8
        .value_kind:     by_value
      - .offset:         208
        .size:           4
        .value_kind:     hidden_block_count_x
      - .offset:         212
        .size:           4
        .value_kind:     hidden_block_count_y
      - .offset:         216
        .size:           4
        .value_kind:     hidden_block_count_z
      - .offset:         220
        .size:           2
        .value_kind:     hidden_group_size_x
      - .offset:         222
        .size:           2
        .value_kind:     hidden_group_size_y
      - .offset:         224
        .size:           2
        .value_kind:     hidden_group_size_z
      - .offset:         226
        .size:           2
        .value_kind:     hidden_remainder_x
      - .offset:         228
        .size:           2
        .value_kind:     hidden_remainder_y
      - .offset:         230
        .size:           2
        .value_kind:     hidden_remainder_z
      - .offset:         248
        .size:           8
        .value_kind:     hidden_global_offset_x
      - .offset:         256
        .size:           8
        .value_kind:     hidden_global_offset_y
      - .offset:         264
        .size:           8
        .value_kind:     hidden_global_offset_z
      - .offset:         272
        .size:           2
        .value_kind:     hidden_grid_dims
    .group_segment_fixed_size: 21504
    .kernarg_segment_align: 8
    .kernarg_segment_size: 464
    .language:       OpenCL C
    .language_version:
      - 2
      - 0
    .max_flat_workgroup_size: 256
    .name:           _ZL15flash_attn_tileILi128ELi128ELi32ELi1ELb0EEvPKcS1_S1_S1_S1_PKiPfP15HIP_vector_typeIfLj2EEffffjfiS5_IjLj3EEiiiiiiiiiiiliiliiiiil
    .private_segment_fixed_size: 32
    .sgpr_count:     58
    .sgpr_spill_count: 0
    .symbol:         _ZL15flash_attn_tileILi128ELi128ELi32ELi1ELb0EEvPKcS1_S1_S1_S1_PKiPfP15HIP_vector_typeIfLj2EEffffjfiS5_IjLj3EEiiiiiiiiiiiliiliiiiil.kd
    .uniform_work_group_size: 1
    .uses_dynamic_stack: false
    .vgpr_count:     109
    .vgpr_spill_count: 0
    .wavefront_size: 64
  - .args:
      - .address_space:  global
        .offset:         0
        .size:           8
        .value_kind:     global_buffer
      - .address_space:  global
        .offset:         8
        .size:           8
        .value_kind:     global_buffer
      - .offset:         16
        .size:           4
        .value_kind:     by_value
      - .offset:         20
        .size:           4
        .value_kind:     by_value
      - .offset:         24
        .size:           4
        .value_kind:     by_value
      - .offset:         28
        .size:           4
        .value_kind:     by_value
      - .offset:         32
        .size:           4
        .value_kind:     by_value
      - .offset:         36
        .size:           4
        .value_kind:     by_value
      - .offset:         40
        .size:           12
        .value_kind:     by_value
      - .offset:         52
        .size:           12
        .value_kind:     by_value
      - .offset:         64
        .size:           12
        .value_kind:     by_value
    .group_segment_fixed_size: 0
    .kernarg_segment_align: 8
    .kernarg_segment_size: 76
    .language:       OpenCL C
    .language_version:
      - 2
      - 0
    .max_flat_workgroup_size: 128
    .name:           _ZL33flash_attn_stream_k_fixup_uniformILi128ELi32ELi1EEvPfPK15HIP_vector_typeIfLj2EEiiiiiiS1_IjLj3EES5_S5_
    .private_segment_fixed_size: 0
    .sgpr_count:     24
    .sgpr_spill_count: 0
    .symbol:         _ZL33flash_attn_stream_k_fixup_uniformILi128ELi32ELi1EEvPfPK15HIP_vector_typeIfLj2EEiiiiiiS1_IjLj3EES5_S5_.kd
    .uniform_work_group_size: 1
    .uses_dynamic_stack: false
    .vgpr_count:     17
    .vgpr_spill_count: 0
    .wavefront_size: 64
  - .args:
      - .address_space:  global
        .offset:         0
        .size:           8
        .value_kind:     global_buffer
      - .address_space:  global
        .offset:         8
        .size:           8
        .value_kind:     global_buffer
      - .offset:         16
        .size:           4
        .value_kind:     by_value
      - .offset:         20
        .size:           4
        .value_kind:     by_value
      - .offset:         24
        .size:           4
        .value_kind:     by_value
      - .offset:         28
        .size:           4
        .value_kind:     by_value
      - .offset:         32
        .size:           12
        .value_kind:     by_value
      - .offset:         44
        .size:           12
        .value_kind:     by_value
      - .offset:         56
        .size:           12
        .value_kind:     by_value
      - .offset:         68
        .size:           12
        .value_kind:     by_value
      - .offset:         80
        .size:           4
        .value_kind:     hidden_block_count_x
      - .offset:         84
        .size:           4
        .value_kind:     hidden_block_count_y
      - .offset:         88
        .size:           4
        .value_kind:     hidden_block_count_z
      - .offset:         92
        .size:           2
        .value_kind:     hidden_group_size_x
      - .offset:         94
        .size:           2
        .value_kind:     hidden_group_size_y
      - .offset:         96
        .size:           2
        .value_kind:     hidden_group_size_z
      - .offset:         98
        .size:           2
        .value_kind:     hidden_remainder_x
      - .offset:         100
        .size:           2
        .value_kind:     hidden_remainder_y
      - .offset:         102
        .size:           2
        .value_kind:     hidden_remainder_z
      - .offset:         120
        .size:           8
        .value_kind:     hidden_global_offset_x
      - .offset:         128
        .size:           8
        .value_kind:     hidden_global_offset_y
      - .offset:         136
        .size:           8
        .value_kind:     hidden_global_offset_z
      - .offset:         144
        .size:           2
        .value_kind:     hidden_grid_dims
    .group_segment_fixed_size: 0
    .kernarg_segment_align: 8
    .kernarg_segment_size: 336
    .language:       OpenCL C
    .language_version:
      - 2
      - 0
    .max_flat_workgroup_size: 128
    .name:           _ZL33flash_attn_stream_k_fixup_generalILi128ELi32ELi1EEvPfPK15HIP_vector_typeIfLj2EEiiiiS1_IjLj3EES5_S5_S5_
    .private_segment_fixed_size: 0
    .sgpr_count:     40
    .sgpr_spill_count: 0
    .symbol:         _ZL33flash_attn_stream_k_fixup_generalILi128ELi32ELi1EEvPfPK15HIP_vector_typeIfLj2EEiiiiS1_IjLj3EES5_S5_S5_.kd
    .uniform_work_group_size: 1
    .uses_dynamic_stack: false
    .vgpr_count:     18
    .vgpr_spill_count: 0
    .wavefront_size: 64
  - .args:
      - .address_space:  global
        .offset:         0
        .size:           8
        .value_kind:     global_buffer
      - .address_space:  global
        .offset:         8
        .size:           8
        .value_kind:     global_buffer
      - .address_space:  global
        .offset:         16
        .size:           8
        .value_kind:     global_buffer
      - .address_space:  global
        .offset:         24
        .size:           8
        .value_kind:     global_buffer
      - .address_space:  global
        .offset:         32
        .size:           8
        .value_kind:     global_buffer
      - .address_space:  global
        .offset:         40
        .size:           8
        .value_kind:     global_buffer
      - .address_space:  global
        .offset:         48
        .size:           8
        .value_kind:     global_buffer
      - .address_space:  global
        .offset:         56
        .size:           8
        .value_kind:     global_buffer
      - .offset:         64
        .size:           4
        .value_kind:     by_value
      - .offset:         68
        .size:           4
        .value_kind:     by_value
      - .offset:         72
        .size:           4
        .value_kind:     by_value
      - .offset:         76
        .size:           4
        .value_kind:     by_value
      - .offset:         80
        .size:           4
        .value_kind:     by_value
      - .offset:         84
        .size:           4
        .value_kind:     by_value
      - .offset:         88
        .size:           4
        .value_kind:     by_value
      - .offset:         92
        .size:           12
        .value_kind:     by_value
      - .offset:         104
        .size:           4
        .value_kind:     by_value
      - .offset:         108
        .size:           4
        .value_kind:     by_value
      - .offset:         112
        .size:           4
        .value_kind:     by_value
      - .offset:         116
        .size:           4
        .value_kind:     by_value
      - .offset:         120
        .size:           4
        .value_kind:     by_value
      - .offset:         124
        .size:           4
        .value_kind:     by_value
      - .offset:         128
        .size:           4
        .value_kind:     by_value
      - .offset:         132
        .size:           4
        .value_kind:     by_value
      - .offset:         136
        .size:           4
        .value_kind:     by_value
      - .offset:         140
        .size:           4
        .value_kind:     by_value
      - .offset:         144
        .size:           4
        .value_kind:     by_value
      - .offset:         152
        .size:           8
        .value_kind:     by_value
      - .offset:         160
        .size:           4
        .value_kind:     by_value
      - .offset:         164
        .size:           4
        .value_kind:     by_value
      - .offset:         168
        .size:           8
        .value_kind:     by_value
      - .offset:         176
        .size:           4
        .value_kind:     by_value
      - .offset:         180
        .size:           4
        .value_kind:     by_value
      - .offset:         184
        .size:           4
        .value_kind:     by_value
      - .offset:         188
        .size:           4
        .value_kind:     by_value
      - .offset:         192
        .size:           4
        .value_kind:     by_value
      - .offset:         200
        .size:           8
        .value_kind:     by_value
      - .offset:         208
        .size:           4
        .value_kind:     hidden_block_count_x
      - .offset:         212
        .size:           4
        .value_kind:     hidden_block_count_y
      - .offset:         216
        .size:           4
        .value_kind:     hidden_block_count_z
      - .offset:         220
        .size:           2
        .value_kind:     hidden_group_size_x
      - .offset:         222
        .size:           2
        .value_kind:     hidden_group_size_y
      - .offset:         224
        .size:           2
        .value_kind:     hidden_group_size_z
      - .offset:         226
        .size:           2
        .value_kind:     hidden_remainder_x
      - .offset:         228
        .size:           2
        .value_kind:     hidden_remainder_y
      - .offset:         230
        .size:           2
        .value_kind:     hidden_remainder_z
      - .offset:         248
        .size:           8
        .value_kind:     hidden_global_offset_x
      - .offset:         256
        .size:           8
        .value_kind:     hidden_global_offset_y
      - .offset:         264
        .size:           8
        .value_kind:     hidden_global_offset_z
      - .offset:         272
        .size:           2
        .value_kind:     hidden_grid_dims
    .group_segment_fixed_size: 23552
    .kernarg_segment_align: 8
    .kernarg_segment_size: 464
    .language:       OpenCL C
    .language_version:
      - 2
      - 0
    .max_flat_workgroup_size: 256
    .name:           _ZL15flash_attn_tileILi128ELi128ELi16ELi1ELb0EEvPKcS1_S1_S1_S1_PKiPfP15HIP_vector_typeIfLj2EEffffjfiS5_IjLj3EEiiiiiiiiiiiliiliiiiil
    .private_segment_fixed_size: 32
    .sgpr_count:     62
    .sgpr_spill_count: 0
    .symbol:         _ZL15flash_attn_tileILi128ELi128ELi16ELi1ELb0EEvPKcS1_S1_S1_S1_PKiPfP15HIP_vector_typeIfLj2EEffffjfiS5_IjLj3EEiiiiiiiiiiiliiliiiiil.kd
    .uniform_work_group_size: 1
    .uses_dynamic_stack: false
    .vgpr_count:     81
    .vgpr_spill_count: 0
    .wavefront_size: 64
  - .args:
      - .address_space:  global
        .offset:         0
        .size:           8
        .value_kind:     global_buffer
      - .address_space:  global
        .offset:         8
        .size:           8
        .value_kind:     global_buffer
      - .offset:         16
        .size:           4
        .value_kind:     by_value
      - .offset:         20
        .size:           4
        .value_kind:     by_value
      - .offset:         24
        .size:           4
        .value_kind:     by_value
      - .offset:         28
        .size:           4
        .value_kind:     by_value
      - .offset:         32
        .size:           4
        .value_kind:     by_value
      - .offset:         36
        .size:           4
        .value_kind:     by_value
      - .offset:         40
        .size:           12
        .value_kind:     by_value
      - .offset:         52
        .size:           12
        .value_kind:     by_value
      - .offset:         64
        .size:           12
        .value_kind:     by_value
    .group_segment_fixed_size: 0
    .kernarg_segment_align: 8
    .kernarg_segment_size: 76
    .language:       OpenCL C
    .language_version:
      - 2
      - 0
    .max_flat_workgroup_size: 128
    .name:           _ZL33flash_attn_stream_k_fixup_uniformILi128ELi16ELi1EEvPfPK15HIP_vector_typeIfLj2EEiiiiiiS1_IjLj3EES5_S5_
    .private_segment_fixed_size: 0
    .sgpr_count:     24
    .sgpr_spill_count: 0
    .symbol:         _ZL33flash_attn_stream_k_fixup_uniformILi128ELi16ELi1EEvPfPK15HIP_vector_typeIfLj2EEiiiiiiS1_IjLj3EES5_S5_.kd
    .uniform_work_group_size: 1
    .uses_dynamic_stack: false
    .vgpr_count:     17
    .vgpr_spill_count: 0
    .wavefront_size: 64
  - .args:
      - .address_space:  global
        .offset:         0
        .size:           8
        .value_kind:     global_buffer
      - .address_space:  global
        .offset:         8
        .size:           8
        .value_kind:     global_buffer
      - .offset:         16
        .size:           4
        .value_kind:     by_value
      - .offset:         20
        .size:           4
        .value_kind:     by_value
      - .offset:         24
        .size:           4
        .value_kind:     by_value
      - .offset:         28
        .size:           4
        .value_kind:     by_value
      - .offset:         32
        .size:           12
        .value_kind:     by_value
      - .offset:         44
        .size:           12
        .value_kind:     by_value
      - .offset:         56
        .size:           12
        .value_kind:     by_value
      - .offset:         68
        .size:           12
        .value_kind:     by_value
      - .offset:         80
        .size:           4
        .value_kind:     hidden_block_count_x
      - .offset:         84
        .size:           4
        .value_kind:     hidden_block_count_y
      - .offset:         88
        .size:           4
        .value_kind:     hidden_block_count_z
      - .offset:         92
        .size:           2
        .value_kind:     hidden_group_size_x
      - .offset:         94
        .size:           2
        .value_kind:     hidden_group_size_y
      - .offset:         96
        .size:           2
        .value_kind:     hidden_group_size_z
      - .offset:         98
        .size:           2
        .value_kind:     hidden_remainder_x
      - .offset:         100
        .size:           2
        .value_kind:     hidden_remainder_y
      - .offset:         102
        .size:           2
        .value_kind:     hidden_remainder_z
      - .offset:         120
        .size:           8
        .value_kind:     hidden_global_offset_x
      - .offset:         128
        .size:           8
        .value_kind:     hidden_global_offset_y
      - .offset:         136
        .size:           8
        .value_kind:     hidden_global_offset_z
      - .offset:         144
        .size:           2
        .value_kind:     hidden_grid_dims
    .group_segment_fixed_size: 0
    .kernarg_segment_align: 8
    .kernarg_segment_size: 336
    .language:       OpenCL C
    .language_version:
      - 2
      - 0
    .max_flat_workgroup_size: 128
    .name:           _ZL33flash_attn_stream_k_fixup_generalILi128ELi16ELi1EEvPfPK15HIP_vector_typeIfLj2EEiiiiS1_IjLj3EES5_S5_S5_
    .private_segment_fixed_size: 0
    .sgpr_count:     40
    .sgpr_spill_count: 0
    .symbol:         _ZL33flash_attn_stream_k_fixup_generalILi128ELi16ELi1EEvPfPK15HIP_vector_typeIfLj2EEiiiiS1_IjLj3EES5_S5_S5_.kd
    .uniform_work_group_size: 1
    .uses_dynamic_stack: false
    .vgpr_count:     18
    .vgpr_spill_count: 0
    .wavefront_size: 64
  - .args:
      - .address_space:  global
        .offset:         0
        .size:           8
        .value_kind:     global_buffer
      - .address_space:  global
        .offset:         8
        .size:           8
        .value_kind:     global_buffer
      - .address_space:  global
        .offset:         16
        .size:           8
        .value_kind:     global_buffer
      - .address_space:  global
        .offset:         24
        .size:           8
        .value_kind:     global_buffer
      - .address_space:  global
        .offset:         32
        .size:           8
        .value_kind:     global_buffer
      - .address_space:  global
        .offset:         40
        .size:           8
        .value_kind:     global_buffer
      - .address_space:  global
        .offset:         48
        .size:           8
        .value_kind:     global_buffer
      - .address_space:  global
        .offset:         56
        .size:           8
        .value_kind:     global_buffer
      - .offset:         64
        .size:           4
        .value_kind:     by_value
      - .offset:         68
        .size:           4
        .value_kind:     by_value
      - .offset:         72
        .size:           4
        .value_kind:     by_value
      - .offset:         76
        .size:           4
        .value_kind:     by_value
      - .offset:         80
        .size:           4
        .value_kind:     by_value
      - .offset:         84
        .size:           4
        .value_kind:     by_value
      - .offset:         88
        .size:           4
        .value_kind:     by_value
      - .offset:         92
        .size:           12
        .value_kind:     by_value
      - .offset:         104
        .size:           4
        .value_kind:     by_value
      - .offset:         108
        .size:           4
        .value_kind:     by_value
      - .offset:         112
        .size:           4
        .value_kind:     by_value
      - .offset:         116
        .size:           4
        .value_kind:     by_value
      - .offset:         120
        .size:           4
        .value_kind:     by_value
      - .offset:         124
        .size:           4
        .value_kind:     by_value
      - .offset:         128
        .size:           4
        .value_kind:     by_value
      - .offset:         132
        .size:           4
        .value_kind:     by_value
      - .offset:         136
        .size:           4
        .value_kind:     by_value
      - .offset:         140
        .size:           4
        .value_kind:     by_value
      - .offset:         144
        .size:           4
        .value_kind:     by_value
      - .offset:         152
        .size:           8
        .value_kind:     by_value
      - .offset:         160
        .size:           4
        .value_kind:     by_value
      - .offset:         164
        .size:           4
        .value_kind:     by_value
      - .offset:         168
        .size:           8
        .value_kind:     by_value
      - .offset:         176
        .size:           4
        .value_kind:     by_value
      - .offset:         180
        .size:           4
        .value_kind:     by_value
      - .offset:         184
        .size:           4
        .value_kind:     by_value
      - .offset:         188
        .size:           4
        .value_kind:     by_value
      - .offset:         192
        .size:           4
        .value_kind:     by_value
      - .offset:         200
        .size:           8
        .value_kind:     by_value
      - .offset:         208
        .size:           4
        .value_kind:     hidden_block_count_x
      - .offset:         212
        .size:           4
        .value_kind:     hidden_block_count_y
      - .offset:         216
        .size:           4
        .value_kind:     hidden_block_count_z
      - .offset:         220
        .size:           2
        .value_kind:     hidden_group_size_x
      - .offset:         222
        .size:           2
        .value_kind:     hidden_group_size_y
      - .offset:         224
        .size:           2
        .value_kind:     hidden_group_size_z
      - .offset:         226
        .size:           2
        .value_kind:     hidden_remainder_x
      - .offset:         228
        .size:           2
        .value_kind:     hidden_remainder_y
      - .offset:         230
        .size:           2
        .value_kind:     hidden_remainder_z
      - .offset:         248
        .size:           8
        .value_kind:     hidden_global_offset_x
      - .offset:         256
        .size:           8
        .value_kind:     hidden_global_offset_y
      - .offset:         264
        .size:           8
        .value_kind:     hidden_global_offset_z
      - .offset:         272
        .size:           2
        .value_kind:     hidden_grid_dims
    .group_segment_fixed_size: 20480
    .kernarg_segment_align: 8
    .kernarg_segment_size: 464
    .language:       OpenCL C
    .language_version:
      - 2
      - 0
    .max_flat_workgroup_size: 256
    .name:           _ZL15flash_attn_tileILi128ELi128ELi8ELi1ELb0EEvPKcS1_S1_S1_S1_PKiPfP15HIP_vector_typeIfLj2EEffffjfiS5_IjLj3EEiiiiiiiiiiiliiliiiiil
    .private_segment_fixed_size: 32
    .sgpr_count:     58
    .sgpr_spill_count: 0
    .symbol:         _ZL15flash_attn_tileILi128ELi128ELi8ELi1ELb0EEvPKcS1_S1_S1_S1_PKiPfP15HIP_vector_typeIfLj2EEffffjfiS5_IjLj3EEiiiiiiiiiiiliiliiiiil.kd
    .uniform_work_group_size: 1
    .uses_dynamic_stack: false
    .vgpr_count:     81
    .vgpr_spill_count: 0
    .wavefront_size: 64
  - .args:
      - .address_space:  global
        .offset:         0
        .size:           8
        .value_kind:     global_buffer
      - .address_space:  global
        .offset:         8
        .size:           8
        .value_kind:     global_buffer
      - .offset:         16
        .size:           4
        .value_kind:     by_value
      - .offset:         20
        .size:           4
        .value_kind:     by_value
      - .offset:         24
        .size:           4
        .value_kind:     by_value
      - .offset:         28
        .size:           4
        .value_kind:     by_value
      - .offset:         32
        .size:           4
        .value_kind:     by_value
      - .offset:         36
        .size:           4
        .value_kind:     by_value
      - .offset:         40
        .size:           12
        .value_kind:     by_value
      - .offset:         52
        .size:           12
        .value_kind:     by_value
      - .offset:         64
        .size:           12
        .value_kind:     by_value
    .group_segment_fixed_size: 0
    .kernarg_segment_align: 8
    .kernarg_segment_size: 76
    .language:       OpenCL C
    .language_version:
      - 2
      - 0
    .max_flat_workgroup_size: 128
    .name:           _ZL33flash_attn_stream_k_fixup_uniformILi128ELi8ELi1EEvPfPK15HIP_vector_typeIfLj2EEiiiiiiS1_IjLj3EES5_S5_
    .private_segment_fixed_size: 0
    .sgpr_count:     24
    .sgpr_spill_count: 0
    .symbol:         _ZL33flash_attn_stream_k_fixup_uniformILi128ELi8ELi1EEvPfPK15HIP_vector_typeIfLj2EEiiiiiiS1_IjLj3EES5_S5_.kd
    .uniform_work_group_size: 1
    .uses_dynamic_stack: false
    .vgpr_count:     17
    .vgpr_spill_count: 0
    .wavefront_size: 64
  - .args:
      - .address_space:  global
        .offset:         0
        .size:           8
        .value_kind:     global_buffer
      - .address_space:  global
        .offset:         8
        .size:           8
        .value_kind:     global_buffer
      - .offset:         16
        .size:           4
        .value_kind:     by_value
      - .offset:         20
        .size:           4
        .value_kind:     by_value
      - .offset:         24
        .size:           4
        .value_kind:     by_value
      - .offset:         28
        .size:           4
        .value_kind:     by_value
      - .offset:         32
        .size:           12
        .value_kind:     by_value
      - .offset:         44
        .size:           12
        .value_kind:     by_value
      - .offset:         56
        .size:           12
        .value_kind:     by_value
      - .offset:         68
        .size:           12
        .value_kind:     by_value
      - .offset:         80
        .size:           4
        .value_kind:     hidden_block_count_x
      - .offset:         84
        .size:           4
        .value_kind:     hidden_block_count_y
      - .offset:         88
        .size:           4
        .value_kind:     hidden_block_count_z
      - .offset:         92
        .size:           2
        .value_kind:     hidden_group_size_x
      - .offset:         94
        .size:           2
        .value_kind:     hidden_group_size_y
      - .offset:         96
        .size:           2
        .value_kind:     hidden_group_size_z
      - .offset:         98
        .size:           2
        .value_kind:     hidden_remainder_x
      - .offset:         100
        .size:           2
        .value_kind:     hidden_remainder_y
      - .offset:         102
        .size:           2
        .value_kind:     hidden_remainder_z
      - .offset:         120
        .size:           8
        .value_kind:     hidden_global_offset_x
      - .offset:         128
        .size:           8
        .value_kind:     hidden_global_offset_y
      - .offset:         136
        .size:           8
        .value_kind:     hidden_global_offset_z
      - .offset:         144
        .size:           2
        .value_kind:     hidden_grid_dims
    .group_segment_fixed_size: 0
    .kernarg_segment_align: 8
    .kernarg_segment_size: 336
    .language:       OpenCL C
    .language_version:
      - 2
      - 0
    .max_flat_workgroup_size: 128
    .name:           _ZL33flash_attn_stream_k_fixup_generalILi128ELi8ELi1EEvPfPK15HIP_vector_typeIfLj2EEiiiiS1_IjLj3EES5_S5_S5_
    .private_segment_fixed_size: 0
    .sgpr_count:     40
    .sgpr_spill_count: 0
    .symbol:         _ZL33flash_attn_stream_k_fixup_generalILi128ELi8ELi1EEvPfPK15HIP_vector_typeIfLj2EEiiiiS1_IjLj3EES5_S5_S5_.kd
    .uniform_work_group_size: 1
    .uses_dynamic_stack: false
    .vgpr_count:     18
    .vgpr_spill_count: 0
    .wavefront_size: 64
  - .args:
      - .address_space:  global
        .offset:         0
        .size:           8
        .value_kind:     global_buffer
      - .address_space:  global
        .offset:         8
        .size:           8
        .value_kind:     global_buffer
      - .address_space:  global
        .offset:         16
        .size:           8
        .value_kind:     global_buffer
      - .address_space:  global
        .offset:         24
        .size:           8
        .value_kind:     global_buffer
      - .address_space:  global
        .offset:         32
        .size:           8
        .value_kind:     global_buffer
      - .address_space:  global
        .offset:         40
        .size:           8
        .value_kind:     global_buffer
      - .address_space:  global
        .offset:         48
        .size:           8
        .value_kind:     global_buffer
      - .address_space:  global
        .offset:         56
        .size:           8
        .value_kind:     global_buffer
      - .offset:         64
        .size:           4
        .value_kind:     by_value
      - .offset:         68
        .size:           4
        .value_kind:     by_value
      - .offset:         72
        .size:           4
        .value_kind:     by_value
      - .offset:         76
        .size:           4
        .value_kind:     by_value
      - .offset:         80
        .size:           4
        .value_kind:     by_value
      - .offset:         84
        .size:           4
        .value_kind:     by_value
      - .offset:         88
        .size:           4
        .value_kind:     by_value
      - .offset:         92
        .size:           12
        .value_kind:     by_value
      - .offset:         104
        .size:           4
        .value_kind:     by_value
      - .offset:         108
        .size:           4
        .value_kind:     by_value
      - .offset:         112
        .size:           4
        .value_kind:     by_value
      - .offset:         116
        .size:           4
        .value_kind:     by_value
      - .offset:         120
        .size:           4
        .value_kind:     by_value
      - .offset:         124
        .size:           4
        .value_kind:     by_value
      - .offset:         128
        .size:           4
        .value_kind:     by_value
      - .offset:         132
        .size:           4
        .value_kind:     by_value
      - .offset:         136
        .size:           4
        .value_kind:     by_value
      - .offset:         140
        .size:           4
        .value_kind:     by_value
      - .offset:         144
        .size:           4
        .value_kind:     by_value
      - .offset:         152
        .size:           8
        .value_kind:     by_value
      - .offset:         160
        .size:           4
        .value_kind:     by_value
      - .offset:         164
        .size:           4
        .value_kind:     by_value
      - .offset:         168
        .size:           8
        .value_kind:     by_value
      - .offset:         176
        .size:           4
        .value_kind:     by_value
      - .offset:         180
        .size:           4
        .value_kind:     by_value
      - .offset:         184
        .size:           4
        .value_kind:     by_value
      - .offset:         188
        .size:           4
        .value_kind:     by_value
      - .offset:         192
        .size:           4
        .value_kind:     by_value
      - .offset:         200
        .size:           8
        .value_kind:     by_value
      - .offset:         208
        .size:           4
        .value_kind:     hidden_block_count_x
      - .offset:         212
        .size:           4
        .value_kind:     hidden_block_count_y
      - .offset:         216
        .size:           4
        .value_kind:     hidden_block_count_z
      - .offset:         220
        .size:           2
        .value_kind:     hidden_group_size_x
      - .offset:         222
        .size:           2
        .value_kind:     hidden_group_size_y
      - .offset:         224
        .size:           2
        .value_kind:     hidden_group_size_z
      - .offset:         226
        .size:           2
        .value_kind:     hidden_remainder_x
      - .offset:         228
        .size:           2
        .value_kind:     hidden_remainder_y
      - .offset:         230
        .size:           2
        .value_kind:     hidden_remainder_z
      - .offset:         248
        .size:           8
        .value_kind:     hidden_global_offset_x
      - .offset:         256
        .size:           8
        .value_kind:     hidden_global_offset_y
      - .offset:         264
        .size:           8
        .value_kind:     hidden_global_offset_z
      - .offset:         272
        .size:           2
        .value_kind:     hidden_grid_dims
    .group_segment_fixed_size: 18944
    .kernarg_segment_align: 8
    .kernarg_segment_size: 464
    .language:       OpenCL C
    .language_version:
      - 2
      - 0
    .max_flat_workgroup_size: 128
    .name:           _ZL15flash_attn_tileILi128ELi128ELi4ELi1ELb0EEvPKcS1_S1_S1_S1_PKiPfP15HIP_vector_typeIfLj2EEffffjfiS5_IjLj3EEiiiiiiiiiiiliiliiiiil
    .private_segment_fixed_size: 64
    .sgpr_count:     62
    .sgpr_spill_count: 0
    .symbol:         _ZL15flash_attn_tileILi128ELi128ELi4ELi1ELb0EEvPKcS1_S1_S1_S1_PKiPfP15HIP_vector_typeIfLj2EEffffjfiS5_IjLj3EEiiiiiiiiiiiliiliiiiil.kd
    .uniform_work_group_size: 1
    .uses_dynamic_stack: false
    .vgpr_count:     128
    .vgpr_spill_count: 12
    .wavefront_size: 64
  - .args:
      - .address_space:  global
        .offset:         0
        .size:           8
        .value_kind:     global_buffer
      - .address_space:  global
        .offset:         8
        .size:           8
        .value_kind:     global_buffer
      - .offset:         16
        .size:           4
        .value_kind:     by_value
      - .offset:         20
        .size:           4
        .value_kind:     by_value
      - .offset:         24
        .size:           4
        .value_kind:     by_value
      - .offset:         28
        .size:           4
        .value_kind:     by_value
      - .offset:         32
        .size:           4
        .value_kind:     by_value
      - .offset:         36
        .size:           4
        .value_kind:     by_value
      - .offset:         40
        .size:           12
        .value_kind:     by_value
      - .offset:         52
        .size:           12
        .value_kind:     by_value
      - .offset:         64
        .size:           12
        .value_kind:     by_value
    .group_segment_fixed_size: 0
    .kernarg_segment_align: 8
    .kernarg_segment_size: 76
    .language:       OpenCL C
    .language_version:
      - 2
      - 0
    .max_flat_workgroup_size: 128
    .name:           _ZL33flash_attn_stream_k_fixup_uniformILi128ELi4ELi1EEvPfPK15HIP_vector_typeIfLj2EEiiiiiiS1_IjLj3EES5_S5_
    .private_segment_fixed_size: 0
    .sgpr_count:     24
    .sgpr_spill_count: 0
    .symbol:         _ZL33flash_attn_stream_k_fixup_uniformILi128ELi4ELi1EEvPfPK15HIP_vector_typeIfLj2EEiiiiiiS1_IjLj3EES5_S5_.kd
    .uniform_work_group_size: 1
    .uses_dynamic_stack: false
    .vgpr_count:     17
    .vgpr_spill_count: 0
    .wavefront_size: 64
  - .args:
      - .address_space:  global
        .offset:         0
        .size:           8
        .value_kind:     global_buffer
      - .address_space:  global
        .offset:         8
        .size:           8
        .value_kind:     global_buffer
      - .offset:         16
        .size:           4
        .value_kind:     by_value
      - .offset:         20
        .size:           4
        .value_kind:     by_value
      - .offset:         24
        .size:           4
        .value_kind:     by_value
      - .offset:         28
        .size:           4
        .value_kind:     by_value
      - .offset:         32
        .size:           12
        .value_kind:     by_value
      - .offset:         44
        .size:           12
        .value_kind:     by_value
      - .offset:         56
        .size:           12
        .value_kind:     by_value
      - .offset:         68
        .size:           12
        .value_kind:     by_value
      - .offset:         80
        .size:           4
        .value_kind:     hidden_block_count_x
      - .offset:         84
        .size:           4
        .value_kind:     hidden_block_count_y
      - .offset:         88
        .size:           4
        .value_kind:     hidden_block_count_z
      - .offset:         92
        .size:           2
        .value_kind:     hidden_group_size_x
      - .offset:         94
        .size:           2
        .value_kind:     hidden_group_size_y
      - .offset:         96
        .size:           2
        .value_kind:     hidden_group_size_z
      - .offset:         98
        .size:           2
        .value_kind:     hidden_remainder_x
      - .offset:         100
        .size:           2
        .value_kind:     hidden_remainder_y
      - .offset:         102
        .size:           2
        .value_kind:     hidden_remainder_z
      - .offset:         120
        .size:           8
        .value_kind:     hidden_global_offset_x
      - .offset:         128
        .size:           8
        .value_kind:     hidden_global_offset_y
      - .offset:         136
        .size:           8
        .value_kind:     hidden_global_offset_z
      - .offset:         144
        .size:           2
        .value_kind:     hidden_grid_dims
    .group_segment_fixed_size: 0
    .kernarg_segment_align: 8
    .kernarg_segment_size: 336
    .language:       OpenCL C
    .language_version:
      - 2
      - 0
    .max_flat_workgroup_size: 128
    .name:           _ZL33flash_attn_stream_k_fixup_generalILi128ELi4ELi1EEvPfPK15HIP_vector_typeIfLj2EEiiiiS1_IjLj3EES5_S5_S5_
    .private_segment_fixed_size: 0
    .sgpr_count:     40
    .sgpr_spill_count: 0
    .symbol:         _ZL33flash_attn_stream_k_fixup_generalILi128ELi4ELi1EEvPfPK15HIP_vector_typeIfLj2EEiiiiS1_IjLj3EES5_S5_S5_.kd
    .uniform_work_group_size: 1
    .uses_dynamic_stack: false
    .vgpr_count:     18
    .vgpr_spill_count: 0
    .wavefront_size: 64
  - .args:
      - .address_space:  global
        .offset:         0
        .size:           8
        .value_kind:     global_buffer
      - .address_space:  global
        .offset:         8
        .size:           8
        .value_kind:     global_buffer
      - .address_space:  global
        .offset:         16
        .size:           8
        .value_kind:     global_buffer
      - .address_space:  global
        .offset:         24
        .size:           8
        .value_kind:     global_buffer
      - .address_space:  global
        .offset:         32
        .size:           8
        .value_kind:     global_buffer
      - .address_space:  global
        .offset:         40
        .size:           8
        .value_kind:     global_buffer
      - .address_space:  global
        .offset:         48
        .size:           8
        .value_kind:     global_buffer
      - .address_space:  global
        .offset:         56
        .size:           8
        .value_kind:     global_buffer
      - .offset:         64
        .size:           4
        .value_kind:     by_value
      - .offset:         68
        .size:           4
        .value_kind:     by_value
      - .offset:         72
        .size:           4
        .value_kind:     by_value
      - .offset:         76
        .size:           4
        .value_kind:     by_value
      - .offset:         80
        .size:           4
        .value_kind:     by_value
      - .offset:         84
        .size:           4
        .value_kind:     by_value
      - .offset:         88
        .size:           4
        .value_kind:     by_value
      - .offset:         92
        .size:           12
        .value_kind:     by_value
      - .offset:         104
        .size:           4
        .value_kind:     by_value
      - .offset:         108
        .size:           4
        .value_kind:     by_value
      - .offset:         112
        .size:           4
        .value_kind:     by_value
      - .offset:         116
        .size:           4
        .value_kind:     by_value
      - .offset:         120
        .size:           4
        .value_kind:     by_value
      - .offset:         124
        .size:           4
        .value_kind:     by_value
      - .offset:         128
        .size:           4
        .value_kind:     by_value
      - .offset:         132
        .size:           4
        .value_kind:     by_value
      - .offset:         136
        .size:           4
        .value_kind:     by_value
      - .offset:         140
        .size:           4
        .value_kind:     by_value
      - .offset:         144
        .size:           4
        .value_kind:     by_value
      - .offset:         152
        .size:           8
        .value_kind:     by_value
      - .offset:         160
        .size:           4
        .value_kind:     by_value
      - .offset:         164
        .size:           4
        .value_kind:     by_value
      - .offset:         168
        .size:           8
        .value_kind:     by_value
      - .offset:         176
        .size:           4
        .value_kind:     by_value
      - .offset:         180
        .size:           4
        .value_kind:     by_value
      - .offset:         184
        .size:           4
        .value_kind:     by_value
      - .offset:         188
        .size:           4
        .value_kind:     by_value
      - .offset:         192
        .size:           4
        .value_kind:     by_value
      - .offset:         200
        .size:           8
        .value_kind:     by_value
      - .offset:         208
        .size:           4
        .value_kind:     hidden_block_count_x
      - .offset:         212
        .size:           4
        .value_kind:     hidden_block_count_y
      - .offset:         216
        .size:           4
        .value_kind:     hidden_block_count_z
      - .offset:         220
        .size:           2
        .value_kind:     hidden_group_size_x
      - .offset:         222
        .size:           2
        .value_kind:     hidden_group_size_y
      - .offset:         224
        .size:           2
        .value_kind:     hidden_group_size_z
      - .offset:         226
        .size:           2
        .value_kind:     hidden_remainder_x
      - .offset:         228
        .size:           2
        .value_kind:     hidden_remainder_y
      - .offset:         230
        .size:           2
        .value_kind:     hidden_remainder_z
      - .offset:         248
        .size:           8
        .value_kind:     hidden_global_offset_x
      - .offset:         256
        .size:           8
        .value_kind:     hidden_global_offset_y
      - .offset:         264
        .size:           8
        .value_kind:     hidden_global_offset_z
      - .offset:         272
        .size:           2
        .value_kind:     hidden_grid_dims
    .group_segment_fixed_size: 19520
    .kernarg_segment_align: 8
    .kernarg_segment_size: 464
    .language:       OpenCL C
    .language_version:
      - 2
      - 0
    .max_flat_workgroup_size: 256
    .name:           _ZL15flash_attn_tileILi128ELi128ELi2ELi1ELb0EEvPKcS1_S1_S1_S1_PKiPfP15HIP_vector_typeIfLj2EEffffjfiS5_IjLj3EEiiiiiiiiiiiliiliiiiil
    .private_segment_fixed_size: 32
    .sgpr_count:     58
    .sgpr_spill_count: 0
    .symbol:         _ZL15flash_attn_tileILi128ELi128ELi2ELi1ELb0EEvPKcS1_S1_S1_S1_PKiPfP15HIP_vector_typeIfLj2EEffffjfiS5_IjLj3EEiiiiiiiiiiiliiliiiiil.kd
    .uniform_work_group_size: 1
    .uses_dynamic_stack: false
    .vgpr_count:     81
    .vgpr_spill_count: 0
    .wavefront_size: 64
  - .args:
      - .address_space:  global
        .offset:         0
        .size:           8
        .value_kind:     global_buffer
      - .address_space:  global
        .offset:         8
        .size:           8
        .value_kind:     global_buffer
      - .offset:         16
        .size:           4
        .value_kind:     by_value
      - .offset:         20
        .size:           4
        .value_kind:     by_value
      - .offset:         24
        .size:           4
        .value_kind:     by_value
      - .offset:         28
        .size:           4
        .value_kind:     by_value
      - .offset:         32
        .size:           4
        .value_kind:     by_value
      - .offset:         36
        .size:           4
        .value_kind:     by_value
      - .offset:         40
        .size:           12
        .value_kind:     by_value
      - .offset:         52
        .size:           12
        .value_kind:     by_value
      - .offset:         64
        .size:           12
        .value_kind:     by_value
    .group_segment_fixed_size: 0
    .kernarg_segment_align: 8
    .kernarg_segment_size: 76
    .language:       OpenCL C
    .language_version:
      - 2
      - 0
    .max_flat_workgroup_size: 128
    .name:           _ZL33flash_attn_stream_k_fixup_uniformILi128ELi2ELi1EEvPfPK15HIP_vector_typeIfLj2EEiiiiiiS1_IjLj3EES5_S5_
    .private_segment_fixed_size: 0
    .sgpr_count:     24
    .sgpr_spill_count: 0
    .symbol:         _ZL33flash_attn_stream_k_fixup_uniformILi128ELi2ELi1EEvPfPK15HIP_vector_typeIfLj2EEiiiiiiS1_IjLj3EES5_S5_.kd
    .uniform_work_group_size: 1
    .uses_dynamic_stack: false
    .vgpr_count:     17
    .vgpr_spill_count: 0
    .wavefront_size: 64
  - .args:
      - .address_space:  global
        .offset:         0
        .size:           8
        .value_kind:     global_buffer
      - .address_space:  global
        .offset:         8
        .size:           8
        .value_kind:     global_buffer
      - .offset:         16
        .size:           4
        .value_kind:     by_value
      - .offset:         20
        .size:           4
        .value_kind:     by_value
      - .offset:         24
        .size:           4
        .value_kind:     by_value
      - .offset:         28
        .size:           4
        .value_kind:     by_value
      - .offset:         32
        .size:           12
        .value_kind:     by_value
      - .offset:         44
        .size:           12
        .value_kind:     by_value
      - .offset:         56
        .size:           12
        .value_kind:     by_value
      - .offset:         68
        .size:           12
        .value_kind:     by_value
      - .offset:         80
        .size:           4
        .value_kind:     hidden_block_count_x
      - .offset:         84
        .size:           4
        .value_kind:     hidden_block_count_y
      - .offset:         88
        .size:           4
        .value_kind:     hidden_block_count_z
      - .offset:         92
        .size:           2
        .value_kind:     hidden_group_size_x
      - .offset:         94
        .size:           2
        .value_kind:     hidden_group_size_y
      - .offset:         96
        .size:           2
        .value_kind:     hidden_group_size_z
      - .offset:         98
        .size:           2
        .value_kind:     hidden_remainder_x
      - .offset:         100
        .size:           2
        .value_kind:     hidden_remainder_y
      - .offset:         102
        .size:           2
        .value_kind:     hidden_remainder_z
      - .offset:         120
        .size:           8
        .value_kind:     hidden_global_offset_x
      - .offset:         128
        .size:           8
        .value_kind:     hidden_global_offset_y
      - .offset:         136
        .size:           8
        .value_kind:     hidden_global_offset_z
      - .offset:         144
        .size:           2
        .value_kind:     hidden_grid_dims
    .group_segment_fixed_size: 0
    .kernarg_segment_align: 8
    .kernarg_segment_size: 336
    .language:       OpenCL C
    .language_version:
      - 2
      - 0
    .max_flat_workgroup_size: 128
    .name:           _ZL33flash_attn_stream_k_fixup_generalILi128ELi2ELi1EEvPfPK15HIP_vector_typeIfLj2EEiiiiS1_IjLj3EES5_S5_S5_
    .private_segment_fixed_size: 0
    .sgpr_count:     40
    .sgpr_spill_count: 0
    .symbol:         _ZL33flash_attn_stream_k_fixup_generalILi128ELi2ELi1EEvPfPK15HIP_vector_typeIfLj2EEiiiiS1_IjLj3EES5_S5_S5_.kd
    .uniform_work_group_size: 1
    .uses_dynamic_stack: false
    .vgpr_count:     18
    .vgpr_spill_count: 0
    .wavefront_size: 64
  - .args:
      - .address_space:  global
        .offset:         0
        .size:           8
        .value_kind:     global_buffer
      - .address_space:  global
        .offset:         8
        .size:           8
        .value_kind:     global_buffer
      - .address_space:  global
        .offset:         16
        .size:           8
        .value_kind:     global_buffer
      - .address_space:  global
        .offset:         24
        .size:           8
        .value_kind:     global_buffer
      - .address_space:  global
        .offset:         32
        .size:           8
        .value_kind:     global_buffer
      - .address_space:  global
        .offset:         40
        .size:           8
        .value_kind:     global_buffer
      - .address_space:  global
        .offset:         48
        .size:           8
        .value_kind:     global_buffer
      - .address_space:  global
        .offset:         56
        .size:           8
        .value_kind:     global_buffer
      - .offset:         64
        .size:           4
        .value_kind:     by_value
      - .offset:         68
        .size:           4
        .value_kind:     by_value
      - .offset:         72
        .size:           4
        .value_kind:     by_value
      - .offset:         76
        .size:           4
        .value_kind:     by_value
      - .offset:         80
        .size:           4
        .value_kind:     by_value
      - .offset:         84
        .size:           4
        .value_kind:     by_value
      - .offset:         88
        .size:           4
        .value_kind:     by_value
      - .offset:         92
        .size:           12
        .value_kind:     by_value
      - .offset:         104
        .size:           4
        .value_kind:     by_value
      - .offset:         108
        .size:           4
        .value_kind:     by_value
      - .offset:         112
        .size:           4
        .value_kind:     by_value
      - .offset:         116
        .size:           4
        .value_kind:     by_value
      - .offset:         120
        .size:           4
        .value_kind:     by_value
      - .offset:         124
        .size:           4
        .value_kind:     by_value
      - .offset:         128
        .size:           4
        .value_kind:     by_value
      - .offset:         132
        .size:           4
        .value_kind:     by_value
      - .offset:         136
        .size:           4
        .value_kind:     by_value
      - .offset:         140
        .size:           4
        .value_kind:     by_value
      - .offset:         144
        .size:           4
        .value_kind:     by_value
      - .offset:         152
        .size:           8
        .value_kind:     by_value
      - .offset:         160
        .size:           4
        .value_kind:     by_value
      - .offset:         164
        .size:           4
        .value_kind:     by_value
      - .offset:         168
        .size:           8
        .value_kind:     by_value
      - .offset:         176
        .size:           4
        .value_kind:     by_value
      - .offset:         180
        .size:           4
        .value_kind:     by_value
      - .offset:         184
        .size:           4
        .value_kind:     by_value
      - .offset:         188
        .size:           4
        .value_kind:     by_value
      - .offset:         192
        .size:           4
        .value_kind:     by_value
      - .offset:         200
        .size:           8
        .value_kind:     by_value
      - .offset:         208
        .size:           4
        .value_kind:     hidden_block_count_x
      - .offset:         212
        .size:           4
        .value_kind:     hidden_block_count_y
      - .offset:         216
        .size:           4
        .value_kind:     hidden_block_count_z
      - .offset:         220
        .size:           2
        .value_kind:     hidden_group_size_x
      - .offset:         222
        .size:           2
        .value_kind:     hidden_group_size_y
      - .offset:         224
        .size:           2
        .value_kind:     hidden_group_size_z
      - .offset:         226
        .size:           2
        .value_kind:     hidden_remainder_x
      - .offset:         228
        .size:           2
        .value_kind:     hidden_remainder_y
      - .offset:         230
        .size:           2
        .value_kind:     hidden_remainder_z
      - .offset:         248
        .size:           8
        .value_kind:     hidden_global_offset_x
      - .offset:         256
        .size:           8
        .value_kind:     hidden_global_offset_y
      - .offset:         264
        .size:           8
        .value_kind:     hidden_global_offset_z
      - .offset:         272
        .size:           2
        .value_kind:     hidden_grid_dims
    .group_segment_fixed_size: 29696
    .kernarg_segment_align: 8
    .kernarg_segment_size: 464
    .language:       OpenCL C
    .language_version:
      - 2
      - 0
    .max_flat_workgroup_size: 256
    .name:           _ZL15flash_attn_tileILi128ELi128ELi8ELi8ELb1EEvPKcS1_S1_S1_S1_PKiPfP15HIP_vector_typeIfLj2EEffffjfiS5_IjLj3EEiiiiiiiiiiiliiliiiiil
    .private_segment_fixed_size: 0
    .sgpr_count:     44
    .sgpr_spill_count: 0
    .symbol:         _ZL15flash_attn_tileILi128ELi128ELi8ELi8ELb1EEvPKcS1_S1_S1_S1_PKiPfP15HIP_vector_typeIfLj2EEffffjfiS5_IjLj3EEiiiiiiiiiiiliiliiiiil.kd
    .uniform_work_group_size: 1
    .uses_dynamic_stack: false
    .vgpr_count:     110
    .vgpr_spill_count: 0
    .wavefront_size: 64
  - .args:
      - .address_space:  global
        .offset:         0
        .size:           8
        .value_kind:     global_buffer
      - .address_space:  global
        .offset:         8
        .size:           8
        .value_kind:     global_buffer
      - .address_space:  global
        .offset:         16
        .size:           8
        .value_kind:     global_buffer
      - .address_space:  global
        .offset:         24
        .size:           8
        .value_kind:     global_buffer
      - .address_space:  global
        .offset:         32
        .size:           8
        .value_kind:     global_buffer
      - .address_space:  global
        .offset:         40
        .size:           8
        .value_kind:     global_buffer
      - .address_space:  global
        .offset:         48
        .size:           8
        .value_kind:     global_buffer
      - .address_space:  global
        .offset:         56
        .size:           8
        .value_kind:     global_buffer
      - .offset:         64
        .size:           4
        .value_kind:     by_value
      - .offset:         68
        .size:           4
        .value_kind:     by_value
      - .offset:         72
        .size:           4
        .value_kind:     by_value
      - .offset:         76
        .size:           4
        .value_kind:     by_value
      - .offset:         80
        .size:           4
        .value_kind:     by_value
      - .offset:         84
        .size:           4
        .value_kind:     by_value
      - .offset:         88
        .size:           4
        .value_kind:     by_value
      - .offset:         92
        .size:           12
        .value_kind:     by_value
      - .offset:         104
        .size:           4
        .value_kind:     by_value
      - .offset:         108
        .size:           4
        .value_kind:     by_value
      - .offset:         112
        .size:           4
        .value_kind:     by_value
      - .offset:         116
        .size:           4
        .value_kind:     by_value
      - .offset:         120
        .size:           4
        .value_kind:     by_value
      - .offset:         124
        .size:           4
        .value_kind:     by_value
      - .offset:         128
        .size:           4
        .value_kind:     by_value
      - .offset:         132
        .size:           4
        .value_kind:     by_value
      - .offset:         136
        .size:           4
        .value_kind:     by_value
      - .offset:         140
        .size:           4
        .value_kind:     by_value
      - .offset:         144
        .size:           4
        .value_kind:     by_value
      - .offset:         152
        .size:           8
        .value_kind:     by_value
      - .offset:         160
        .size:           4
        .value_kind:     by_value
      - .offset:         164
        .size:           4
        .value_kind:     by_value
      - .offset:         168
        .size:           8
        .value_kind:     by_value
      - .offset:         176
        .size:           4
        .value_kind:     by_value
      - .offset:         180
        .size:           4
        .value_kind:     by_value
      - .offset:         184
        .size:           4
        .value_kind:     by_value
      - .offset:         188
        .size:           4
        .value_kind:     by_value
      - .offset:         192
        .size:           4
        .value_kind:     by_value
      - .offset:         200
        .size:           8
        .value_kind:     by_value
      - .offset:         208
        .size:           4
        .value_kind:     hidden_block_count_x
      - .offset:         212
        .size:           4
        .value_kind:     hidden_block_count_y
      - .offset:         216
        .size:           4
        .value_kind:     hidden_block_count_z
      - .offset:         220
        .size:           2
        .value_kind:     hidden_group_size_x
      - .offset:         222
        .size:           2
        .value_kind:     hidden_group_size_y
      - .offset:         224
        .size:           2
        .value_kind:     hidden_group_size_z
      - .offset:         226
        .size:           2
        .value_kind:     hidden_remainder_x
      - .offset:         228
        .size:           2
        .value_kind:     hidden_remainder_y
      - .offset:         230
        .size:           2
        .value_kind:     hidden_remainder_z
      - .offset:         248
        .size:           8
        .value_kind:     hidden_global_offset_x
      - .offset:         256
        .size:           8
        .value_kind:     hidden_global_offset_y
      - .offset:         264
        .size:           8
        .value_kind:     hidden_global_offset_z
      - .offset:         272
        .size:           2
        .value_kind:     hidden_grid_dims
    .group_segment_fixed_size: 21504
    .kernarg_segment_align: 8
    .kernarg_segment_size: 464
    .language:       OpenCL C
    .language_version:
      - 2
      - 0
    .max_flat_workgroup_size: 256
    .name:           _ZL15flash_attn_tileILi128ELi128ELi4ELi8ELb1EEvPKcS1_S1_S1_S1_PKiPfP15HIP_vector_typeIfLj2EEffffjfiS5_IjLj3EEiiiiiiiiiiiliiliiiiil
    .private_segment_fixed_size: 0
    .sgpr_count:     48
    .sgpr_spill_count: 0
    .symbol:         _ZL15flash_attn_tileILi128ELi128ELi4ELi8ELb1EEvPKcS1_S1_S1_S1_PKiPfP15HIP_vector_typeIfLj2EEffffjfiS5_IjLj3EEiiiiiiiiiiiliiliiiiil.kd
    .uniform_work_group_size: 1
    .uses_dynamic_stack: false
    .vgpr_count:     80
    .vgpr_spill_count: 0
    .wavefront_size: 64
  - .args:
      - .address_space:  global
        .offset:         0
        .size:           8
        .value_kind:     global_buffer
      - .address_space:  global
        .offset:         8
        .size:           8
        .value_kind:     global_buffer
      - .address_space:  global
        .offset:         16
        .size:           8
        .value_kind:     global_buffer
      - .address_space:  global
        .offset:         24
        .size:           8
        .value_kind:     global_buffer
      - .address_space:  global
        .offset:         32
        .size:           8
        .value_kind:     global_buffer
      - .address_space:  global
        .offset:         40
        .size:           8
        .value_kind:     global_buffer
      - .address_space:  global
        .offset:         48
        .size:           8
        .value_kind:     global_buffer
      - .address_space:  global
        .offset:         56
        .size:           8
        .value_kind:     global_buffer
      - .offset:         64
        .size:           4
        .value_kind:     by_value
      - .offset:         68
        .size:           4
        .value_kind:     by_value
      - .offset:         72
        .size:           4
        .value_kind:     by_value
      - .offset:         76
        .size:           4
        .value_kind:     by_value
      - .offset:         80
        .size:           4
        .value_kind:     by_value
      - .offset:         84
        .size:           4
        .value_kind:     by_value
      - .offset:         88
        .size:           4
        .value_kind:     by_value
      - .offset:         92
        .size:           12
        .value_kind:     by_value
      - .offset:         104
        .size:           4
        .value_kind:     by_value
      - .offset:         108
        .size:           4
        .value_kind:     by_value
      - .offset:         112
        .size:           4
        .value_kind:     by_value
      - .offset:         116
        .size:           4
        .value_kind:     by_value
      - .offset:         120
        .size:           4
        .value_kind:     by_value
      - .offset:         124
        .size:           4
        .value_kind:     by_value
      - .offset:         128
        .size:           4
        .value_kind:     by_value
      - .offset:         132
        .size:           4
        .value_kind:     by_value
      - .offset:         136
        .size:           4
        .value_kind:     by_value
      - .offset:         140
        .size:           4
        .value_kind:     by_value
      - .offset:         144
        .size:           4
        .value_kind:     by_value
      - .offset:         152
        .size:           8
        .value_kind:     by_value
      - .offset:         160
        .size:           4
        .value_kind:     by_value
      - .offset:         164
        .size:           4
        .value_kind:     by_value
      - .offset:         168
        .size:           8
        .value_kind:     by_value
      - .offset:         176
        .size:           4
        .value_kind:     by_value
      - .offset:         180
        .size:           4
        .value_kind:     by_value
      - .offset:         184
        .size:           4
        .value_kind:     by_value
      - .offset:         188
        .size:           4
        .value_kind:     by_value
      - .offset:         192
        .size:           4
        .value_kind:     by_value
      - .offset:         200
        .size:           8
        .value_kind:     by_value
      - .offset:         208
        .size:           4
        .value_kind:     hidden_block_count_x
      - .offset:         212
        .size:           4
        .value_kind:     hidden_block_count_y
      - .offset:         216
        .size:           4
        .value_kind:     hidden_block_count_z
      - .offset:         220
        .size:           2
        .value_kind:     hidden_group_size_x
      - .offset:         222
        .size:           2
        .value_kind:     hidden_group_size_y
      - .offset:         224
        .size:           2
        .value_kind:     hidden_group_size_z
      - .offset:         226
        .size:           2
        .value_kind:     hidden_remainder_x
      - .offset:         228
        .size:           2
        .value_kind:     hidden_remainder_y
      - .offset:         230
        .size:           2
        .value_kind:     hidden_remainder_z
      - .offset:         248
        .size:           8
        .value_kind:     hidden_global_offset_x
      - .offset:         256
        .size:           8
        .value_kind:     hidden_global_offset_y
      - .offset:         264
        .size:           8
        .value_kind:     hidden_global_offset_z
      - .offset:         272
        .size:           2
        .value_kind:     hidden_grid_dims
    .group_segment_fixed_size: 23552
    .kernarg_segment_align: 8
    .kernarg_segment_size: 464
    .language:       OpenCL C
    .language_version:
      - 2
      - 0
    .max_flat_workgroup_size: 256
    .name:           _ZL15flash_attn_tileILi128ELi128ELi2ELi8ELb1EEvPKcS1_S1_S1_S1_PKiPfP15HIP_vector_typeIfLj2EEffffjfiS5_IjLj3EEiiiiiiiiiiiliiliiiiil
    .private_segment_fixed_size: 0
    .sgpr_count:     48
    .sgpr_spill_count: 0
    .symbol:         _ZL15flash_attn_tileILi128ELi128ELi2ELi8ELb1EEvPKcS1_S1_S1_S1_PKiPfP15HIP_vector_typeIfLj2EEffffjfiS5_IjLj3EEiiiiiiiiiiiliiliiiiil.kd
    .uniform_work_group_size: 1
    .uses_dynamic_stack: false
    .vgpr_count:     80
    .vgpr_spill_count: 0
    .wavefront_size: 64
  - .args:
      - .address_space:  global
        .offset:         0
        .size:           8
        .value_kind:     global_buffer
      - .address_space:  global
        .offset:         8
        .size:           8
        .value_kind:     global_buffer
      - .address_space:  global
        .offset:         16
        .size:           8
        .value_kind:     global_buffer
      - .address_space:  global
        .offset:         24
        .size:           8
        .value_kind:     global_buffer
      - .address_space:  global
        .offset:         32
        .size:           8
        .value_kind:     global_buffer
      - .address_space:  global
        .offset:         40
        .size:           8
        .value_kind:     global_buffer
      - .address_space:  global
        .offset:         48
        .size:           8
        .value_kind:     global_buffer
      - .address_space:  global
        .offset:         56
        .size:           8
        .value_kind:     global_buffer
      - .offset:         64
        .size:           4
        .value_kind:     by_value
      - .offset:         68
        .size:           4
        .value_kind:     by_value
      - .offset:         72
        .size:           4
        .value_kind:     by_value
      - .offset:         76
        .size:           4
        .value_kind:     by_value
      - .offset:         80
        .size:           4
        .value_kind:     by_value
      - .offset:         84
        .size:           4
        .value_kind:     by_value
      - .offset:         88
        .size:           4
        .value_kind:     by_value
      - .offset:         92
        .size:           12
        .value_kind:     by_value
      - .offset:         104
        .size:           4
        .value_kind:     by_value
      - .offset:         108
        .size:           4
        .value_kind:     by_value
      - .offset:         112
        .size:           4
        .value_kind:     by_value
      - .offset:         116
        .size:           4
        .value_kind:     by_value
      - .offset:         120
        .size:           4
        .value_kind:     by_value
      - .offset:         124
        .size:           4
        .value_kind:     by_value
      - .offset:         128
        .size:           4
        .value_kind:     by_value
      - .offset:         132
        .size:           4
        .value_kind:     by_value
      - .offset:         136
        .size:           4
        .value_kind:     by_value
      - .offset:         140
        .size:           4
        .value_kind:     by_value
      - .offset:         144
        .size:           4
        .value_kind:     by_value
      - .offset:         152
        .size:           8
        .value_kind:     by_value
      - .offset:         160
        .size:           4
        .value_kind:     by_value
      - .offset:         164
        .size:           4
        .value_kind:     by_value
      - .offset:         168
        .size:           8
        .value_kind:     by_value
      - .offset:         176
        .size:           4
        .value_kind:     by_value
      - .offset:         180
        .size:           4
        .value_kind:     by_value
      - .offset:         184
        .size:           4
        .value_kind:     by_value
      - .offset:         188
        .size:           4
        .value_kind:     by_value
      - .offset:         192
        .size:           4
        .value_kind:     by_value
      - .offset:         200
        .size:           8
        .value_kind:     by_value
      - .offset:         208
        .size:           4
        .value_kind:     hidden_block_count_x
      - .offset:         212
        .size:           4
        .value_kind:     hidden_block_count_y
      - .offset:         216
        .size:           4
        .value_kind:     hidden_block_count_z
      - .offset:         220
        .size:           2
        .value_kind:     hidden_group_size_x
      - .offset:         222
        .size:           2
        .value_kind:     hidden_group_size_y
      - .offset:         224
        .size:           2
        .value_kind:     hidden_group_size_z
      - .offset:         226
        .size:           2
        .value_kind:     hidden_remainder_x
      - .offset:         228
        .size:           2
        .value_kind:     hidden_remainder_y
      - .offset:         230
        .size:           2
        .value_kind:     hidden_remainder_z
      - .offset:         248
        .size:           8
        .value_kind:     hidden_global_offset_x
      - .offset:         256
        .size:           8
        .value_kind:     hidden_global_offset_y
      - .offset:         264
        .size:           8
        .value_kind:     hidden_global_offset_z
      - .offset:         272
        .size:           2
        .value_kind:     hidden_grid_dims
    .group_segment_fixed_size: 20480
    .kernarg_segment_align: 8
    .kernarg_segment_size: 464
    .language:       OpenCL C
    .language_version:
      - 2
      - 0
    .max_flat_workgroup_size: 256
    .name:           _ZL15flash_attn_tileILi128ELi128ELi1ELi8ELb1EEvPKcS1_S1_S1_S1_PKiPfP15HIP_vector_typeIfLj2EEffffjfiS5_IjLj3EEiiiiiiiiiiiliiliiiiil
    .private_segment_fixed_size: 0
    .sgpr_count:     44
    .sgpr_spill_count: 0
    .symbol:         _ZL15flash_attn_tileILi128ELi128ELi1ELi8ELb1EEvPKcS1_S1_S1_S1_PKiPfP15HIP_vector_typeIfLj2EEffffjfiS5_IjLj3EEiiiiiiiiiiiliiliiiiil.kd
    .uniform_work_group_size: 1
    .uses_dynamic_stack: false
    .vgpr_count:     78
    .vgpr_spill_count: 0
    .wavefront_size: 64
  - .args:
      - .address_space:  global
        .offset:         0
        .size:           8
        .value_kind:     global_buffer
      - .address_space:  global
        .offset:         8
        .size:           8
        .value_kind:     global_buffer
      - .address_space:  global
        .offset:         16
        .size:           8
        .value_kind:     global_buffer
      - .address_space:  global
        .offset:         24
        .size:           8
        .value_kind:     global_buffer
      - .address_space:  global
        .offset:         32
        .size:           8
        .value_kind:     global_buffer
      - .address_space:  global
        .offset:         40
        .size:           8
        .value_kind:     global_buffer
      - .address_space:  global
        .offset:         48
        .size:           8
        .value_kind:     global_buffer
      - .address_space:  global
        .offset:         56
        .size:           8
        .value_kind:     global_buffer
      - .offset:         64
        .size:           4
        .value_kind:     by_value
      - .offset:         68
        .size:           4
        .value_kind:     by_value
      - .offset:         72
        .size:           4
        .value_kind:     by_value
      - .offset:         76
        .size:           4
        .value_kind:     by_value
      - .offset:         80
        .size:           4
        .value_kind:     by_value
      - .offset:         84
        .size:           4
        .value_kind:     by_value
      - .offset:         88
        .size:           4
        .value_kind:     by_value
      - .offset:         92
        .size:           12
        .value_kind:     by_value
      - .offset:         104
        .size:           4
        .value_kind:     by_value
      - .offset:         108
        .size:           4
        .value_kind:     by_value
      - .offset:         112
        .size:           4
        .value_kind:     by_value
      - .offset:         116
        .size:           4
        .value_kind:     by_value
      - .offset:         120
        .size:           4
        .value_kind:     by_value
      - .offset:         124
        .size:           4
        .value_kind:     by_value
      - .offset:         128
        .size:           4
        .value_kind:     by_value
      - .offset:         132
        .size:           4
        .value_kind:     by_value
      - .offset:         136
        .size:           4
        .value_kind:     by_value
      - .offset:         140
        .size:           4
        .value_kind:     by_value
      - .offset:         144
        .size:           4
        .value_kind:     by_value
      - .offset:         152
        .size:           8
        .value_kind:     by_value
      - .offset:         160
        .size:           4
        .value_kind:     by_value
      - .offset:         164
        .size:           4
        .value_kind:     by_value
      - .offset:         168
        .size:           8
        .value_kind:     by_value
      - .offset:         176
        .size:           4
        .value_kind:     by_value
      - .offset:         180
        .size:           4
        .value_kind:     by_value
      - .offset:         184
        .size:           4
        .value_kind:     by_value
      - .offset:         188
        .size:           4
        .value_kind:     by_value
      - .offset:         192
        .size:           4
        .value_kind:     by_value
      - .offset:         200
        .size:           8
        .value_kind:     by_value
      - .offset:         208
        .size:           4
        .value_kind:     hidden_block_count_x
      - .offset:         212
        .size:           4
        .value_kind:     hidden_block_count_y
      - .offset:         216
        .size:           4
        .value_kind:     hidden_block_count_z
      - .offset:         220
        .size:           2
        .value_kind:     hidden_group_size_x
      - .offset:         222
        .size:           2
        .value_kind:     hidden_group_size_y
      - .offset:         224
        .size:           2
        .value_kind:     hidden_group_size_z
      - .offset:         226
        .size:           2
        .value_kind:     hidden_remainder_x
      - .offset:         228
        .size:           2
        .value_kind:     hidden_remainder_y
      - .offset:         230
        .size:           2
        .value_kind:     hidden_remainder_z
      - .offset:         248
        .size:           8
        .value_kind:     hidden_global_offset_x
      - .offset:         256
        .size:           8
        .value_kind:     hidden_global_offset_y
      - .offset:         264
        .size:           8
        .value_kind:     hidden_global_offset_z
      - .offset:         272
        .size:           2
        .value_kind:     hidden_grid_dims
    .group_segment_fixed_size: 29696
    .kernarg_segment_align: 8
    .kernarg_segment_size: 464
    .language:       OpenCL C
    .language_version:
      - 2
      - 0
    .max_flat_workgroup_size: 256
    .name:           _ZL15flash_attn_tileILi128ELi128ELi16ELi4ELb1EEvPKcS1_S1_S1_S1_PKiPfP15HIP_vector_typeIfLj2EEffffjfiS5_IjLj3EEiiiiiiiiiiiliiliiiiil
    .private_segment_fixed_size: 0
    .sgpr_count:     49
    .sgpr_spill_count: 0
    .symbol:         _ZL15flash_attn_tileILi128ELi128ELi16ELi4ELb1EEvPKcS1_S1_S1_S1_PKiPfP15HIP_vector_typeIfLj2EEffffjfiS5_IjLj3EEiiiiiiiiiiiliiliiiiil.kd
    .uniform_work_group_size: 1
    .uses_dynamic_stack: false
    .vgpr_count:     120
    .vgpr_spill_count: 0
    .wavefront_size: 64
  - .args:
      - .address_space:  global
        .offset:         0
        .size:           8
        .value_kind:     global_buffer
      - .address_space:  global
        .offset:         8
        .size:           8
        .value_kind:     global_buffer
      - .address_space:  global
        .offset:         16
        .size:           8
        .value_kind:     global_buffer
      - .address_space:  global
        .offset:         24
        .size:           8
        .value_kind:     global_buffer
      - .address_space:  global
        .offset:         32
        .size:           8
        .value_kind:     global_buffer
      - .address_space:  global
        .offset:         40
        .size:           8
        .value_kind:     global_buffer
      - .address_space:  global
        .offset:         48
        .size:           8
        .value_kind:     global_buffer
      - .address_space:  global
        .offset:         56
        .size:           8
        .value_kind:     global_buffer
      - .offset:         64
        .size:           4
        .value_kind:     by_value
      - .offset:         68
        .size:           4
        .value_kind:     by_value
      - .offset:         72
        .size:           4
        .value_kind:     by_value
      - .offset:         76
        .size:           4
        .value_kind:     by_value
      - .offset:         80
        .size:           4
        .value_kind:     by_value
      - .offset:         84
        .size:           4
        .value_kind:     by_value
      - .offset:         88
        .size:           4
        .value_kind:     by_value
      - .offset:         92
        .size:           12
        .value_kind:     by_value
      - .offset:         104
        .size:           4
        .value_kind:     by_value
      - .offset:         108
        .size:           4
        .value_kind:     by_value
      - .offset:         112
        .size:           4
        .value_kind:     by_value
      - .offset:         116
        .size:           4
        .value_kind:     by_value
      - .offset:         120
        .size:           4
        .value_kind:     by_value
      - .offset:         124
        .size:           4
        .value_kind:     by_value
      - .offset:         128
        .size:           4
        .value_kind:     by_value
      - .offset:         132
        .size:           4
        .value_kind:     by_value
      - .offset:         136
        .size:           4
        .value_kind:     by_value
      - .offset:         140
        .size:           4
        .value_kind:     by_value
      - .offset:         144
        .size:           4
        .value_kind:     by_value
      - .offset:         152
        .size:           8
        .value_kind:     by_value
      - .offset:         160
        .size:           4
        .value_kind:     by_value
      - .offset:         164
        .size:           4
        .value_kind:     by_value
      - .offset:         168
        .size:           8
        .value_kind:     by_value
      - .offset:         176
        .size:           4
        .value_kind:     by_value
      - .offset:         180
        .size:           4
        .value_kind:     by_value
      - .offset:         184
        .size:           4
        .value_kind:     by_value
      - .offset:         188
        .size:           4
        .value_kind:     by_value
      - .offset:         192
        .size:           4
        .value_kind:     by_value
      - .offset:         200
        .size:           8
        .value_kind:     by_value
      - .offset:         208
        .size:           4
        .value_kind:     hidden_block_count_x
      - .offset:         212
        .size:           4
        .value_kind:     hidden_block_count_y
      - .offset:         216
        .size:           4
        .value_kind:     hidden_block_count_z
      - .offset:         220
        .size:           2
        .value_kind:     hidden_group_size_x
      - .offset:         222
        .size:           2
        .value_kind:     hidden_group_size_y
      - .offset:         224
        .size:           2
        .value_kind:     hidden_group_size_z
      - .offset:         226
        .size:           2
        .value_kind:     hidden_remainder_x
      - .offset:         228
        .size:           2
        .value_kind:     hidden_remainder_y
      - .offset:         230
        .size:           2
        .value_kind:     hidden_remainder_z
      - .offset:         248
        .size:           8
        .value_kind:     hidden_global_offset_x
      - .offset:         256
        .size:           8
        .value_kind:     hidden_global_offset_y
      - .offset:         264
        .size:           8
        .value_kind:     hidden_global_offset_z
      - .offset:         272
        .size:           2
        .value_kind:     hidden_grid_dims
    .group_segment_fixed_size: 21504
    .kernarg_segment_align: 8
    .kernarg_segment_size: 464
    .language:       OpenCL C
    .language_version:
      - 2
      - 0
    .max_flat_workgroup_size: 256
    .name:           _ZL15flash_attn_tileILi128ELi128ELi8ELi4ELb1EEvPKcS1_S1_S1_S1_PKiPfP15HIP_vector_typeIfLj2EEffffjfiS5_IjLj3EEiiiiiiiiiiiliiliiiiil
    .private_segment_fixed_size: 0
    .sgpr_count:     44
    .sgpr_spill_count: 0
    .symbol:         _ZL15flash_attn_tileILi128ELi128ELi8ELi4ELb1EEvPKcS1_S1_S1_S1_PKiPfP15HIP_vector_typeIfLj2EEffffjfiS5_IjLj3EEiiiiiiiiiiiliiliiiiil.kd
    .uniform_work_group_size: 1
    .uses_dynamic_stack: false
    .vgpr_count:     79
    .vgpr_spill_count: 0
    .wavefront_size: 64
  - .args:
      - .address_space:  global
        .offset:         0
        .size:           8
        .value_kind:     global_buffer
      - .address_space:  global
        .offset:         8
        .size:           8
        .value_kind:     global_buffer
      - .address_space:  global
        .offset:         16
        .size:           8
        .value_kind:     global_buffer
      - .address_space:  global
        .offset:         24
        .size:           8
        .value_kind:     global_buffer
      - .address_space:  global
        .offset:         32
        .size:           8
        .value_kind:     global_buffer
      - .address_space:  global
        .offset:         40
        .size:           8
        .value_kind:     global_buffer
      - .address_space:  global
        .offset:         48
        .size:           8
        .value_kind:     global_buffer
      - .address_space:  global
        .offset:         56
        .size:           8
        .value_kind:     global_buffer
      - .offset:         64
        .size:           4
        .value_kind:     by_value
      - .offset:         68
        .size:           4
        .value_kind:     by_value
      - .offset:         72
        .size:           4
        .value_kind:     by_value
      - .offset:         76
        .size:           4
        .value_kind:     by_value
      - .offset:         80
        .size:           4
        .value_kind:     by_value
      - .offset:         84
        .size:           4
        .value_kind:     by_value
      - .offset:         88
        .size:           4
        .value_kind:     by_value
      - .offset:         92
        .size:           12
        .value_kind:     by_value
      - .offset:         104
        .size:           4
        .value_kind:     by_value
      - .offset:         108
        .size:           4
        .value_kind:     by_value
      - .offset:         112
        .size:           4
        .value_kind:     by_value
      - .offset:         116
        .size:           4
        .value_kind:     by_value
      - .offset:         120
        .size:           4
        .value_kind:     by_value
      - .offset:         124
        .size:           4
        .value_kind:     by_value
      - .offset:         128
        .size:           4
        .value_kind:     by_value
      - .offset:         132
        .size:           4
        .value_kind:     by_value
      - .offset:         136
        .size:           4
        .value_kind:     by_value
      - .offset:         140
        .size:           4
        .value_kind:     by_value
      - .offset:         144
        .size:           4
        .value_kind:     by_value
      - .offset:         152
        .size:           8
        .value_kind:     by_value
      - .offset:         160
        .size:           4
        .value_kind:     by_value
      - .offset:         164
        .size:           4
        .value_kind:     by_value
      - .offset:         168
        .size:           8
        .value_kind:     by_value
      - .offset:         176
        .size:           4
        .value_kind:     by_value
      - .offset:         180
        .size:           4
        .value_kind:     by_value
      - .offset:         184
        .size:           4
        .value_kind:     by_value
      - .offset:         188
        .size:           4
        .value_kind:     by_value
      - .offset:         192
        .size:           4
        .value_kind:     by_value
      - .offset:         200
        .size:           8
        .value_kind:     by_value
      - .offset:         208
        .size:           4
        .value_kind:     hidden_block_count_x
      - .offset:         212
        .size:           4
        .value_kind:     hidden_block_count_y
      - .offset:         216
        .size:           4
        .value_kind:     hidden_block_count_z
      - .offset:         220
        .size:           2
        .value_kind:     hidden_group_size_x
      - .offset:         222
        .size:           2
        .value_kind:     hidden_group_size_y
      - .offset:         224
        .size:           2
        .value_kind:     hidden_group_size_z
      - .offset:         226
        .size:           2
        .value_kind:     hidden_remainder_x
      - .offset:         228
        .size:           2
        .value_kind:     hidden_remainder_y
      - .offset:         230
        .size:           2
        .value_kind:     hidden_remainder_z
      - .offset:         248
        .size:           8
        .value_kind:     hidden_global_offset_x
      - .offset:         256
        .size:           8
        .value_kind:     hidden_global_offset_y
      - .offset:         264
        .size:           8
        .value_kind:     hidden_global_offset_z
      - .offset:         272
        .size:           2
        .value_kind:     hidden_grid_dims
    .group_segment_fixed_size: 23552
    .kernarg_segment_align: 8
    .kernarg_segment_size: 464
    .language:       OpenCL C
    .language_version:
      - 2
      - 0
    .max_flat_workgroup_size: 256
    .name:           _ZL15flash_attn_tileILi128ELi128ELi4ELi4ELb1EEvPKcS1_S1_S1_S1_PKiPfP15HIP_vector_typeIfLj2EEffffjfiS5_IjLj3EEiiiiiiiiiiiliiliiiiil
    .private_segment_fixed_size: 0
    .sgpr_count:     48
    .sgpr_spill_count: 0
    .symbol:         _ZL15flash_attn_tileILi128ELi128ELi4ELi4ELb1EEvPKcS1_S1_S1_S1_PKiPfP15HIP_vector_typeIfLj2EEffffjfiS5_IjLj3EEiiiiiiiiiiiliiliiiiil.kd
    .uniform_work_group_size: 1
    .uses_dynamic_stack: false
    .vgpr_count:     80
    .vgpr_spill_count: 0
    .wavefront_size: 64
  - .args:
      - .address_space:  global
        .offset:         0
        .size:           8
        .value_kind:     global_buffer
      - .address_space:  global
        .offset:         8
        .size:           8
        .value_kind:     global_buffer
      - .address_space:  global
        .offset:         16
        .size:           8
        .value_kind:     global_buffer
      - .address_space:  global
        .offset:         24
        .size:           8
        .value_kind:     global_buffer
      - .address_space:  global
        .offset:         32
        .size:           8
        .value_kind:     global_buffer
      - .address_space:  global
        .offset:         40
        .size:           8
        .value_kind:     global_buffer
      - .address_space:  global
        .offset:         48
        .size:           8
        .value_kind:     global_buffer
      - .address_space:  global
        .offset:         56
        .size:           8
        .value_kind:     global_buffer
      - .offset:         64
        .size:           4
        .value_kind:     by_value
      - .offset:         68
        .size:           4
        .value_kind:     by_value
      - .offset:         72
        .size:           4
        .value_kind:     by_value
      - .offset:         76
        .size:           4
        .value_kind:     by_value
      - .offset:         80
        .size:           4
        .value_kind:     by_value
      - .offset:         84
        .size:           4
        .value_kind:     by_value
      - .offset:         88
        .size:           4
        .value_kind:     by_value
      - .offset:         92
        .size:           12
        .value_kind:     by_value
      - .offset:         104
        .size:           4
        .value_kind:     by_value
      - .offset:         108
        .size:           4
        .value_kind:     by_value
      - .offset:         112
        .size:           4
        .value_kind:     by_value
      - .offset:         116
        .size:           4
        .value_kind:     by_value
      - .offset:         120
        .size:           4
        .value_kind:     by_value
      - .offset:         124
        .size:           4
        .value_kind:     by_value
      - .offset:         128
        .size:           4
        .value_kind:     by_value
      - .offset:         132
        .size:           4
        .value_kind:     by_value
      - .offset:         136
        .size:           4
        .value_kind:     by_value
      - .offset:         140
        .size:           4
        .value_kind:     by_value
      - .offset:         144
        .size:           4
        .value_kind:     by_value
      - .offset:         152
        .size:           8
        .value_kind:     by_value
      - .offset:         160
        .size:           4
        .value_kind:     by_value
      - .offset:         164
        .size:           4
        .value_kind:     by_value
      - .offset:         168
        .size:           8
        .value_kind:     by_value
      - .offset:         176
        .size:           4
        .value_kind:     by_value
      - .offset:         180
        .size:           4
        .value_kind:     by_value
      - .offset:         184
        .size:           4
        .value_kind:     by_value
      - .offset:         188
        .size:           4
        .value_kind:     by_value
      - .offset:         192
        .size:           4
        .value_kind:     by_value
      - .offset:         200
        .size:           8
        .value_kind:     by_value
      - .offset:         208
        .size:           4
        .value_kind:     hidden_block_count_x
      - .offset:         212
        .size:           4
        .value_kind:     hidden_block_count_y
      - .offset:         216
        .size:           4
        .value_kind:     hidden_block_count_z
      - .offset:         220
        .size:           2
        .value_kind:     hidden_group_size_x
      - .offset:         222
        .size:           2
        .value_kind:     hidden_group_size_y
      - .offset:         224
        .size:           2
        .value_kind:     hidden_group_size_z
      - .offset:         226
        .size:           2
        .value_kind:     hidden_remainder_x
      - .offset:         228
        .size:           2
        .value_kind:     hidden_remainder_y
      - .offset:         230
        .size:           2
        .value_kind:     hidden_remainder_z
      - .offset:         248
        .size:           8
        .value_kind:     hidden_global_offset_x
      - .offset:         256
        .size:           8
        .value_kind:     hidden_global_offset_y
      - .offset:         264
        .size:           8
        .value_kind:     hidden_global_offset_z
      - .offset:         272
        .size:           2
        .value_kind:     hidden_grid_dims
    .group_segment_fixed_size: 20480
    .kernarg_segment_align: 8
    .kernarg_segment_size: 464
    .language:       OpenCL C
    .language_version:
      - 2
      - 0
    .max_flat_workgroup_size: 256
    .name:           _ZL15flash_attn_tileILi128ELi128ELi2ELi4ELb1EEvPKcS1_S1_S1_S1_PKiPfP15HIP_vector_typeIfLj2EEffffjfiS5_IjLj3EEiiiiiiiiiiiliiliiiiil
    .private_segment_fixed_size: 0
    .sgpr_count:     44
    .sgpr_spill_count: 0
    .symbol:         _ZL15flash_attn_tileILi128ELi128ELi2ELi4ELb1EEvPKcS1_S1_S1_S1_PKiPfP15HIP_vector_typeIfLj2EEffffjfiS5_IjLj3EEiiiiiiiiiiiliiliiiiil.kd
    .uniform_work_group_size: 1
    .uses_dynamic_stack: false
    .vgpr_count:     78
    .vgpr_spill_count: 0
    .wavefront_size: 64
  - .args:
      - .address_space:  global
        .offset:         0
        .size:           8
        .value_kind:     global_buffer
      - .address_space:  global
        .offset:         8
        .size:           8
        .value_kind:     global_buffer
      - .address_space:  global
        .offset:         16
        .size:           8
        .value_kind:     global_buffer
      - .address_space:  global
        .offset:         24
        .size:           8
        .value_kind:     global_buffer
      - .address_space:  global
        .offset:         32
        .size:           8
        .value_kind:     global_buffer
      - .address_space:  global
        .offset:         40
        .size:           8
        .value_kind:     global_buffer
      - .address_space:  global
        .offset:         48
        .size:           8
        .value_kind:     global_buffer
      - .address_space:  global
        .offset:         56
        .size:           8
        .value_kind:     global_buffer
      - .offset:         64
        .size:           4
        .value_kind:     by_value
      - .offset:         68
        .size:           4
        .value_kind:     by_value
      - .offset:         72
        .size:           4
        .value_kind:     by_value
      - .offset:         76
        .size:           4
        .value_kind:     by_value
      - .offset:         80
        .size:           4
        .value_kind:     by_value
      - .offset:         84
        .size:           4
        .value_kind:     by_value
      - .offset:         88
        .size:           4
        .value_kind:     by_value
      - .offset:         92
        .size:           12
        .value_kind:     by_value
      - .offset:         104
        .size:           4
        .value_kind:     by_value
      - .offset:         108
        .size:           4
        .value_kind:     by_value
      - .offset:         112
        .size:           4
        .value_kind:     by_value
      - .offset:         116
        .size:           4
        .value_kind:     by_value
      - .offset:         120
        .size:           4
        .value_kind:     by_value
      - .offset:         124
        .size:           4
        .value_kind:     by_value
      - .offset:         128
        .size:           4
        .value_kind:     by_value
      - .offset:         132
        .size:           4
        .value_kind:     by_value
      - .offset:         136
        .size:           4
        .value_kind:     by_value
      - .offset:         140
        .size:           4
        .value_kind:     by_value
      - .offset:         144
        .size:           4
        .value_kind:     by_value
      - .offset:         152
        .size:           8
        .value_kind:     by_value
      - .offset:         160
        .size:           4
        .value_kind:     by_value
      - .offset:         164
        .size:           4
        .value_kind:     by_value
      - .offset:         168
        .size:           8
        .value_kind:     by_value
      - .offset:         176
        .size:           4
        .value_kind:     by_value
      - .offset:         180
        .size:           4
        .value_kind:     by_value
      - .offset:         184
        .size:           4
        .value_kind:     by_value
      - .offset:         188
        .size:           4
        .value_kind:     by_value
      - .offset:         192
        .size:           4
        .value_kind:     by_value
      - .offset:         200
        .size:           8
        .value_kind:     by_value
      - .offset:         208
        .size:           4
        .value_kind:     hidden_block_count_x
      - .offset:         212
        .size:           4
        .value_kind:     hidden_block_count_y
      - .offset:         216
        .size:           4
        .value_kind:     hidden_block_count_z
      - .offset:         220
        .size:           2
        .value_kind:     hidden_group_size_x
      - .offset:         222
        .size:           2
        .value_kind:     hidden_group_size_y
      - .offset:         224
        .size:           2
        .value_kind:     hidden_group_size_z
      - .offset:         226
        .size:           2
        .value_kind:     hidden_remainder_x
      - .offset:         228
        .size:           2
        .value_kind:     hidden_remainder_y
      - .offset:         230
        .size:           2
        .value_kind:     hidden_remainder_z
      - .offset:         248
        .size:           8
        .value_kind:     hidden_global_offset_x
      - .offset:         256
        .size:           8
        .value_kind:     hidden_global_offset_y
      - .offset:         264
        .size:           8
        .value_kind:     hidden_global_offset_z
      - .offset:         272
        .size:           2
        .value_kind:     hidden_grid_dims
    .group_segment_fixed_size: 18944
    .kernarg_segment_align: 8
    .kernarg_segment_size: 464
    .language:       OpenCL C
    .language_version:
      - 2
      - 0
    .max_flat_workgroup_size: 128
    .name:           _ZL15flash_attn_tileILi128ELi128ELi1ELi4ELb1EEvPKcS1_S1_S1_S1_PKiPfP15HIP_vector_typeIfLj2EEffffjfiS5_IjLj3EEiiiiiiiiiiiliiliiiiil
    .private_segment_fixed_size: 0
    .sgpr_count:     44
    .sgpr_spill_count: 0
    .symbol:         _ZL15flash_attn_tileILi128ELi128ELi1ELi4ELb1EEvPKcS1_S1_S1_S1_PKiPfP15HIP_vector_typeIfLj2EEffffjfiS5_IjLj3EEiiiiiiiiiiiliiliiiiil.kd
    .uniform_work_group_size: 1
    .uses_dynamic_stack: false
    .vgpr_count:     114
    .vgpr_spill_count: 0
    .wavefront_size: 64
  - .args:
      - .address_space:  global
        .offset:         0
        .size:           8
        .value_kind:     global_buffer
      - .address_space:  global
        .offset:         8
        .size:           8
        .value_kind:     global_buffer
      - .address_space:  global
        .offset:         16
        .size:           8
        .value_kind:     global_buffer
      - .address_space:  global
        .offset:         24
        .size:           8
        .value_kind:     global_buffer
      - .address_space:  global
        .offset:         32
        .size:           8
        .value_kind:     global_buffer
      - .address_space:  global
        .offset:         40
        .size:           8
        .value_kind:     global_buffer
      - .address_space:  global
        .offset:         48
        .size:           8
        .value_kind:     global_buffer
      - .address_space:  global
        .offset:         56
        .size:           8
        .value_kind:     global_buffer
      - .offset:         64
        .size:           4
        .value_kind:     by_value
      - .offset:         68
        .size:           4
        .value_kind:     by_value
      - .offset:         72
        .size:           4
        .value_kind:     by_value
      - .offset:         76
        .size:           4
        .value_kind:     by_value
      - .offset:         80
        .size:           4
        .value_kind:     by_value
      - .offset:         84
        .size:           4
        .value_kind:     by_value
      - .offset:         88
        .size:           4
        .value_kind:     by_value
      - .offset:         92
        .size:           12
        .value_kind:     by_value
      - .offset:         104
        .size:           4
        .value_kind:     by_value
      - .offset:         108
        .size:           4
        .value_kind:     by_value
      - .offset:         112
        .size:           4
        .value_kind:     by_value
      - .offset:         116
        .size:           4
        .value_kind:     by_value
      - .offset:         120
        .size:           4
        .value_kind:     by_value
      - .offset:         124
        .size:           4
        .value_kind:     by_value
      - .offset:         128
        .size:           4
        .value_kind:     by_value
      - .offset:         132
        .size:           4
        .value_kind:     by_value
      - .offset:         136
        .size:           4
        .value_kind:     by_value
      - .offset:         140
        .size:           4
        .value_kind:     by_value
      - .offset:         144
        .size:           4
        .value_kind:     by_value
      - .offset:         152
        .size:           8
        .value_kind:     by_value
      - .offset:         160
        .size:           4
        .value_kind:     by_value
      - .offset:         164
        .size:           4
        .value_kind:     by_value
      - .offset:         168
        .size:           8
        .value_kind:     by_value
      - .offset:         176
        .size:           4
        .value_kind:     by_value
      - .offset:         180
        .size:           4
        .value_kind:     by_value
      - .offset:         184
        .size:           4
        .value_kind:     by_value
      - .offset:         188
        .size:           4
        .value_kind:     by_value
      - .offset:         192
        .size:           4
        .value_kind:     by_value
      - .offset:         200
        .size:           8
        .value_kind:     by_value
      - .offset:         208
        .size:           4
        .value_kind:     hidden_block_count_x
      - .offset:         212
        .size:           4
        .value_kind:     hidden_block_count_y
      - .offset:         216
        .size:           4
        .value_kind:     hidden_block_count_z
      - .offset:         220
        .size:           2
        .value_kind:     hidden_group_size_x
      - .offset:         222
        .size:           2
        .value_kind:     hidden_group_size_y
      - .offset:         224
        .size:           2
        .value_kind:     hidden_group_size_z
      - .offset:         226
        .size:           2
        .value_kind:     hidden_remainder_x
      - .offset:         228
        .size:           2
        .value_kind:     hidden_remainder_y
      - .offset:         230
        .size:           2
        .value_kind:     hidden_remainder_z
      - .offset:         248
        .size:           8
        .value_kind:     hidden_global_offset_x
      - .offset:         256
        .size:           8
        .value_kind:     hidden_global_offset_y
      - .offset:         264
        .size:           8
        .value_kind:     hidden_global_offset_z
      - .offset:         272
        .size:           2
        .value_kind:     hidden_grid_dims
    .group_segment_fixed_size: 29696
    .kernarg_segment_align: 8
    .kernarg_segment_size: 464
    .language:       OpenCL C
    .language_version:
      - 2
      - 0
    .max_flat_workgroup_size: 256
    .name:           _ZL15flash_attn_tileILi128ELi128ELi32ELi2ELb1EEvPKcS1_S1_S1_S1_PKiPfP15HIP_vector_typeIfLj2EEffffjfiS5_IjLj3EEiiiiiiiiiiiliiliiiiil
    .private_segment_fixed_size: 0
    .sgpr_count:     48
    .sgpr_spill_count: 0
    .symbol:         _ZL15flash_attn_tileILi128ELi128ELi32ELi2ELb1EEvPKcS1_S1_S1_S1_PKiPfP15HIP_vector_typeIfLj2EEffffjfiS5_IjLj3EEiiiiiiiiiiiliiliiiiil.kd
    .uniform_work_group_size: 1
    .uses_dynamic_stack: false
    .vgpr_count:     127
    .vgpr_spill_count: 0
    .wavefront_size: 64
  - .args:
      - .address_space:  global
        .offset:         0
        .size:           8
        .value_kind:     global_buffer
      - .address_space:  global
        .offset:         8
        .size:           8
        .value_kind:     global_buffer
      - .address_space:  global
        .offset:         16
        .size:           8
        .value_kind:     global_buffer
      - .address_space:  global
        .offset:         24
        .size:           8
        .value_kind:     global_buffer
      - .address_space:  global
        .offset:         32
        .size:           8
        .value_kind:     global_buffer
      - .address_space:  global
        .offset:         40
        .size:           8
        .value_kind:     global_buffer
      - .address_space:  global
        .offset:         48
        .size:           8
        .value_kind:     global_buffer
      - .address_space:  global
        .offset:         56
        .size:           8
        .value_kind:     global_buffer
      - .offset:         64
        .size:           4
        .value_kind:     by_value
      - .offset:         68
        .size:           4
        .value_kind:     by_value
      - .offset:         72
        .size:           4
        .value_kind:     by_value
      - .offset:         76
        .size:           4
        .value_kind:     by_value
      - .offset:         80
        .size:           4
        .value_kind:     by_value
      - .offset:         84
        .size:           4
        .value_kind:     by_value
      - .offset:         88
        .size:           4
        .value_kind:     by_value
      - .offset:         92
        .size:           12
        .value_kind:     by_value
      - .offset:         104
        .size:           4
        .value_kind:     by_value
      - .offset:         108
        .size:           4
        .value_kind:     by_value
      - .offset:         112
        .size:           4
        .value_kind:     by_value
      - .offset:         116
        .size:           4
        .value_kind:     by_value
      - .offset:         120
        .size:           4
        .value_kind:     by_value
      - .offset:         124
        .size:           4
        .value_kind:     by_value
      - .offset:         128
        .size:           4
        .value_kind:     by_value
      - .offset:         132
        .size:           4
        .value_kind:     by_value
      - .offset:         136
        .size:           4
        .value_kind:     by_value
      - .offset:         140
        .size:           4
        .value_kind:     by_value
      - .offset:         144
        .size:           4
        .value_kind:     by_value
      - .offset:         152
        .size:           8
        .value_kind:     by_value
      - .offset:         160
        .size:           4
        .value_kind:     by_value
      - .offset:         164
        .size:           4
        .value_kind:     by_value
      - .offset:         168
        .size:           8
        .value_kind:     by_value
      - .offset:         176
        .size:           4
        .value_kind:     by_value
      - .offset:         180
        .size:           4
        .value_kind:     by_value
      - .offset:         184
        .size:           4
        .value_kind:     by_value
      - .offset:         188
        .size:           4
        .value_kind:     by_value
      - .offset:         192
        .size:           4
        .value_kind:     by_value
      - .offset:         200
        .size:           8
        .value_kind:     by_value
      - .offset:         208
        .size:           4
        .value_kind:     hidden_block_count_x
      - .offset:         212
        .size:           4
        .value_kind:     hidden_block_count_y
      - .offset:         216
        .size:           4
        .value_kind:     hidden_block_count_z
      - .offset:         220
        .size:           2
        .value_kind:     hidden_group_size_x
      - .offset:         222
        .size:           2
        .value_kind:     hidden_group_size_y
      - .offset:         224
        .size:           2
        .value_kind:     hidden_group_size_z
      - .offset:         226
        .size:           2
        .value_kind:     hidden_remainder_x
      - .offset:         228
        .size:           2
        .value_kind:     hidden_remainder_y
      - .offset:         230
        .size:           2
        .value_kind:     hidden_remainder_z
      - .offset:         248
        .size:           8
        .value_kind:     hidden_global_offset_x
      - .offset:         256
        .size:           8
        .value_kind:     hidden_global_offset_y
      - .offset:         264
        .size:           8
        .value_kind:     hidden_global_offset_z
      - .offset:         272
        .size:           2
        .value_kind:     hidden_grid_dims
    .group_segment_fixed_size: 21504
    .kernarg_segment_align: 8
    .kernarg_segment_size: 464
    .language:       OpenCL C
    .language_version:
      - 2
      - 0
    .max_flat_workgroup_size: 256
    .name:           _ZL15flash_attn_tileILi128ELi128ELi16ELi2ELb1EEvPKcS1_S1_S1_S1_PKiPfP15HIP_vector_typeIfLj2EEffffjfiS5_IjLj3EEiiiiiiiiiiiliiliiiiil
    .private_segment_fixed_size: 0
    .sgpr_count:     47
    .sgpr_spill_count: 0
    .symbol:         _ZL15flash_attn_tileILi128ELi128ELi16ELi2ELb1EEvPKcS1_S1_S1_S1_PKiPfP15HIP_vector_typeIfLj2EEffffjfiS5_IjLj3EEiiiiiiiiiiiliiliiiiil.kd
    .uniform_work_group_size: 1
    .uses_dynamic_stack: false
    .vgpr_count:     100
    .vgpr_spill_count: 0
    .wavefront_size: 64
  - .args:
      - .address_space:  global
        .offset:         0
        .size:           8
        .value_kind:     global_buffer
      - .address_space:  global
        .offset:         8
        .size:           8
        .value_kind:     global_buffer
      - .address_space:  global
        .offset:         16
        .size:           8
        .value_kind:     global_buffer
      - .address_space:  global
        .offset:         24
        .size:           8
        .value_kind:     global_buffer
      - .address_space:  global
        .offset:         32
        .size:           8
        .value_kind:     global_buffer
      - .address_space:  global
        .offset:         40
        .size:           8
        .value_kind:     global_buffer
      - .address_space:  global
        .offset:         48
        .size:           8
        .value_kind:     global_buffer
      - .address_space:  global
        .offset:         56
        .size:           8
        .value_kind:     global_buffer
      - .offset:         64
        .size:           4
        .value_kind:     by_value
      - .offset:         68
        .size:           4
        .value_kind:     by_value
      - .offset:         72
        .size:           4
        .value_kind:     by_value
      - .offset:         76
        .size:           4
        .value_kind:     by_value
      - .offset:         80
        .size:           4
        .value_kind:     by_value
      - .offset:         84
        .size:           4
        .value_kind:     by_value
      - .offset:         88
        .size:           4
        .value_kind:     by_value
      - .offset:         92
        .size:           12
        .value_kind:     by_value
      - .offset:         104
        .size:           4
        .value_kind:     by_value
      - .offset:         108
        .size:           4
        .value_kind:     by_value
      - .offset:         112
        .size:           4
        .value_kind:     by_value
      - .offset:         116
        .size:           4
        .value_kind:     by_value
      - .offset:         120
        .size:           4
        .value_kind:     by_value
      - .offset:         124
        .size:           4
        .value_kind:     by_value
      - .offset:         128
        .size:           4
        .value_kind:     by_value
      - .offset:         132
        .size:           4
        .value_kind:     by_value
      - .offset:         136
        .size:           4
        .value_kind:     by_value
      - .offset:         140
        .size:           4
        .value_kind:     by_value
      - .offset:         144
        .size:           4
        .value_kind:     by_value
      - .offset:         152
        .size:           8
        .value_kind:     by_value
      - .offset:         160
        .size:           4
        .value_kind:     by_value
      - .offset:         164
        .size:           4
        .value_kind:     by_value
      - .offset:         168
        .size:           8
        .value_kind:     by_value
      - .offset:         176
        .size:           4
        .value_kind:     by_value
      - .offset:         180
        .size:           4
        .value_kind:     by_value
      - .offset:         184
        .size:           4
        .value_kind:     by_value
      - .offset:         188
        .size:           4
        .value_kind:     by_value
      - .offset:         192
        .size:           4
        .value_kind:     by_value
      - .offset:         200
        .size:           8
        .value_kind:     by_value
      - .offset:         208
        .size:           4
        .value_kind:     hidden_block_count_x
      - .offset:         212
        .size:           4
        .value_kind:     hidden_block_count_y
      - .offset:         216
        .size:           4
        .value_kind:     hidden_block_count_z
      - .offset:         220
        .size:           2
        .value_kind:     hidden_group_size_x
      - .offset:         222
        .size:           2
        .value_kind:     hidden_group_size_y
      - .offset:         224
        .size:           2
        .value_kind:     hidden_group_size_z
      - .offset:         226
        .size:           2
        .value_kind:     hidden_remainder_x
      - .offset:         228
        .size:           2
        .value_kind:     hidden_remainder_y
      - .offset:         230
        .size:           2
        .value_kind:     hidden_remainder_z
      - .offset:         248
        .size:           8
        .value_kind:     hidden_global_offset_x
      - .offset:         256
        .size:           8
        .value_kind:     hidden_global_offset_y
      - .offset:         264
        .size:           8
        .value_kind:     hidden_global_offset_z
      - .offset:         272
        .size:           2
        .value_kind:     hidden_grid_dims
    .group_segment_fixed_size: 23552
    .kernarg_segment_align: 8
    .kernarg_segment_size: 464
    .language:       OpenCL C
    .language_version:
      - 2
      - 0
    .max_flat_workgroup_size: 256
    .name:           _ZL15flash_attn_tileILi128ELi128ELi8ELi2ELb1EEvPKcS1_S1_S1_S1_PKiPfP15HIP_vector_typeIfLj2EEffffjfiS5_IjLj3EEiiiiiiiiiiiliiliiiiil
    .private_segment_fixed_size: 0
    .sgpr_count:     44
    .sgpr_spill_count: 0
    .symbol:         _ZL15flash_attn_tileILi128ELi128ELi8ELi2ELb1EEvPKcS1_S1_S1_S1_PKiPfP15HIP_vector_typeIfLj2EEffffjfiS5_IjLj3EEiiiiiiiiiiiliiliiiiil.kd
    .uniform_work_group_size: 1
    .uses_dynamic_stack: false
    .vgpr_count:     79
    .vgpr_spill_count: 0
    .wavefront_size: 64
  - .args:
      - .address_space:  global
        .offset:         0
        .size:           8
        .value_kind:     global_buffer
      - .address_space:  global
        .offset:         8
        .size:           8
        .value_kind:     global_buffer
      - .address_space:  global
        .offset:         16
        .size:           8
        .value_kind:     global_buffer
      - .address_space:  global
        .offset:         24
        .size:           8
        .value_kind:     global_buffer
      - .address_space:  global
        .offset:         32
        .size:           8
        .value_kind:     global_buffer
      - .address_space:  global
        .offset:         40
        .size:           8
        .value_kind:     global_buffer
      - .address_space:  global
        .offset:         48
        .size:           8
        .value_kind:     global_buffer
      - .address_space:  global
        .offset:         56
        .size:           8
        .value_kind:     global_buffer
      - .offset:         64
        .size:           4
        .value_kind:     by_value
      - .offset:         68
        .size:           4
        .value_kind:     by_value
      - .offset:         72
        .size:           4
        .value_kind:     by_value
      - .offset:         76
        .size:           4
        .value_kind:     by_value
      - .offset:         80
        .size:           4
        .value_kind:     by_value
      - .offset:         84
        .size:           4
        .value_kind:     by_value
      - .offset:         88
        .size:           4
        .value_kind:     by_value
      - .offset:         92
        .size:           12
        .value_kind:     by_value
      - .offset:         104
        .size:           4
        .value_kind:     by_value
      - .offset:         108
        .size:           4
        .value_kind:     by_value
      - .offset:         112
        .size:           4
        .value_kind:     by_value
      - .offset:         116
        .size:           4
        .value_kind:     by_value
      - .offset:         120
        .size:           4
        .value_kind:     by_value
      - .offset:         124
        .size:           4
        .value_kind:     by_value
      - .offset:         128
        .size:           4
        .value_kind:     by_value
      - .offset:         132
        .size:           4
        .value_kind:     by_value
      - .offset:         136
        .size:           4
        .value_kind:     by_value
      - .offset:         140
        .size:           4
        .value_kind:     by_value
      - .offset:         144
        .size:           4
        .value_kind:     by_value
      - .offset:         152
        .size:           8
        .value_kind:     by_value
      - .offset:         160
        .size:           4
        .value_kind:     by_value
      - .offset:         164
        .size:           4
        .value_kind:     by_value
      - .offset:         168
        .size:           8
        .value_kind:     by_value
      - .offset:         176
        .size:           4
        .value_kind:     by_value
      - .offset:         180
        .size:           4
        .value_kind:     by_value
      - .offset:         184
        .size:           4
        .value_kind:     by_value
      - .offset:         188
        .size:           4
        .value_kind:     by_value
      - .offset:         192
        .size:           4
        .value_kind:     by_value
      - .offset:         200
        .size:           8
        .value_kind:     by_value
      - .offset:         208
        .size:           4
        .value_kind:     hidden_block_count_x
      - .offset:         212
        .size:           4
        .value_kind:     hidden_block_count_y
      - .offset:         216
        .size:           4
        .value_kind:     hidden_block_count_z
      - .offset:         220
        .size:           2
        .value_kind:     hidden_group_size_x
      - .offset:         222
        .size:           2
        .value_kind:     hidden_group_size_y
      - .offset:         224
        .size:           2
        .value_kind:     hidden_group_size_z
      - .offset:         226
        .size:           2
        .value_kind:     hidden_remainder_x
      - .offset:         228
        .size:           2
        .value_kind:     hidden_remainder_y
      - .offset:         230
        .size:           2
        .value_kind:     hidden_remainder_z
      - .offset:         248
        .size:           8
        .value_kind:     hidden_global_offset_x
      - .offset:         256
        .size:           8
        .value_kind:     hidden_global_offset_y
      - .offset:         264
        .size:           8
        .value_kind:     hidden_global_offset_z
      - .offset:         272
        .size:           2
        .value_kind:     hidden_grid_dims
    .group_segment_fixed_size: 20480
    .kernarg_segment_align: 8
    .kernarg_segment_size: 464
    .language:       OpenCL C
    .language_version:
      - 2
      - 0
    .max_flat_workgroup_size: 256
    .name:           _ZL15flash_attn_tileILi128ELi128ELi4ELi2ELb1EEvPKcS1_S1_S1_S1_PKiPfP15HIP_vector_typeIfLj2EEffffjfiS5_IjLj3EEiiiiiiiiiiiliiliiiiil
    .private_segment_fixed_size: 0
    .sgpr_count:     44
    .sgpr_spill_count: 0
    .symbol:         _ZL15flash_attn_tileILi128ELi128ELi4ELi2ELb1EEvPKcS1_S1_S1_S1_PKiPfP15HIP_vector_typeIfLj2EEffffjfiS5_IjLj3EEiiiiiiiiiiiliiliiiiil.kd
    .uniform_work_group_size: 1
    .uses_dynamic_stack: false
    .vgpr_count:     78
    .vgpr_spill_count: 0
    .wavefront_size: 64
  - .args:
      - .address_space:  global
        .offset:         0
        .size:           8
        .value_kind:     global_buffer
      - .address_space:  global
        .offset:         8
        .size:           8
        .value_kind:     global_buffer
      - .address_space:  global
        .offset:         16
        .size:           8
        .value_kind:     global_buffer
      - .address_space:  global
        .offset:         24
        .size:           8
        .value_kind:     global_buffer
      - .address_space:  global
        .offset:         32
        .size:           8
        .value_kind:     global_buffer
      - .address_space:  global
        .offset:         40
        .size:           8
        .value_kind:     global_buffer
      - .address_space:  global
        .offset:         48
        .size:           8
        .value_kind:     global_buffer
      - .address_space:  global
        .offset:         56
        .size:           8
        .value_kind:     global_buffer
      - .offset:         64
        .size:           4
        .value_kind:     by_value
      - .offset:         68
        .size:           4
        .value_kind:     by_value
      - .offset:         72
        .size:           4
        .value_kind:     by_value
      - .offset:         76
        .size:           4
        .value_kind:     by_value
      - .offset:         80
        .size:           4
        .value_kind:     by_value
      - .offset:         84
        .size:           4
        .value_kind:     by_value
      - .offset:         88
        .size:           4
        .value_kind:     by_value
      - .offset:         92
        .size:           12
        .value_kind:     by_value
      - .offset:         104
        .size:           4
        .value_kind:     by_value
      - .offset:         108
        .size:           4
        .value_kind:     by_value
      - .offset:         112
        .size:           4
        .value_kind:     by_value
      - .offset:         116
        .size:           4
        .value_kind:     by_value
      - .offset:         120
        .size:           4
        .value_kind:     by_value
      - .offset:         124
        .size:           4
        .value_kind:     by_value
      - .offset:         128
        .size:           4
        .value_kind:     by_value
      - .offset:         132
        .size:           4
        .value_kind:     by_value
      - .offset:         136
        .size:           4
        .value_kind:     by_value
      - .offset:         140
        .size:           4
        .value_kind:     by_value
      - .offset:         144
        .size:           4
        .value_kind:     by_value
      - .offset:         152
        .size:           8
        .value_kind:     by_value
      - .offset:         160
        .size:           4
        .value_kind:     by_value
      - .offset:         164
        .size:           4
        .value_kind:     by_value
      - .offset:         168
        .size:           8
        .value_kind:     by_value
      - .offset:         176
        .size:           4
        .value_kind:     by_value
      - .offset:         180
        .size:           4
        .value_kind:     by_value
      - .offset:         184
        .size:           4
        .value_kind:     by_value
      - .offset:         188
        .size:           4
        .value_kind:     by_value
      - .offset:         192
        .size:           4
        .value_kind:     by_value
      - .offset:         200
        .size:           8
        .value_kind:     by_value
      - .offset:         208
        .size:           4
        .value_kind:     hidden_block_count_x
      - .offset:         212
        .size:           4
        .value_kind:     hidden_block_count_y
      - .offset:         216
        .size:           4
        .value_kind:     hidden_block_count_z
      - .offset:         220
        .size:           2
        .value_kind:     hidden_group_size_x
      - .offset:         222
        .size:           2
        .value_kind:     hidden_group_size_y
      - .offset:         224
        .size:           2
        .value_kind:     hidden_group_size_z
      - .offset:         226
        .size:           2
        .value_kind:     hidden_remainder_x
      - .offset:         228
        .size:           2
        .value_kind:     hidden_remainder_y
      - .offset:         230
        .size:           2
        .value_kind:     hidden_remainder_z
      - .offset:         248
        .size:           8
        .value_kind:     hidden_global_offset_x
      - .offset:         256
        .size:           8
        .value_kind:     hidden_global_offset_y
      - .offset:         264
        .size:           8
        .value_kind:     hidden_global_offset_z
      - .offset:         272
        .size:           2
        .value_kind:     hidden_grid_dims
    .group_segment_fixed_size: 18944
    .kernarg_segment_align: 8
    .kernarg_segment_size: 464
    .language:       OpenCL C
    .language_version:
      - 2
      - 0
    .max_flat_workgroup_size: 128
    .name:           _ZL15flash_attn_tileILi128ELi128ELi2ELi2ELb1EEvPKcS1_S1_S1_S1_PKiPfP15HIP_vector_typeIfLj2EEffffjfiS5_IjLj3EEiiiiiiiiiiiliiliiiiil
    .private_segment_fixed_size: 0
    .sgpr_count:     44
    .sgpr_spill_count: 0
    .symbol:         _ZL15flash_attn_tileILi128ELi128ELi2ELi2ELb1EEvPKcS1_S1_S1_S1_PKiPfP15HIP_vector_typeIfLj2EEffffjfiS5_IjLj3EEiiiiiiiiiiiliiliiiiil.kd
    .uniform_work_group_size: 1
    .uses_dynamic_stack: false
    .vgpr_count:     114
    .vgpr_spill_count: 0
    .wavefront_size: 64
  - .args:
      - .address_space:  global
        .offset:         0
        .size:           8
        .value_kind:     global_buffer
      - .address_space:  global
        .offset:         8
        .size:           8
        .value_kind:     global_buffer
      - .address_space:  global
        .offset:         16
        .size:           8
        .value_kind:     global_buffer
      - .address_space:  global
        .offset:         24
        .size:           8
        .value_kind:     global_buffer
      - .address_space:  global
        .offset:         32
        .size:           8
        .value_kind:     global_buffer
      - .address_space:  global
        .offset:         40
        .size:           8
        .value_kind:     global_buffer
      - .address_space:  global
        .offset:         48
        .size:           8
        .value_kind:     global_buffer
      - .address_space:  global
        .offset:         56
        .size:           8
        .value_kind:     global_buffer
      - .offset:         64
        .size:           4
        .value_kind:     by_value
      - .offset:         68
        .size:           4
        .value_kind:     by_value
      - .offset:         72
        .size:           4
        .value_kind:     by_value
      - .offset:         76
        .size:           4
        .value_kind:     by_value
      - .offset:         80
        .size:           4
        .value_kind:     by_value
      - .offset:         84
        .size:           4
        .value_kind:     by_value
      - .offset:         88
        .size:           4
        .value_kind:     by_value
      - .offset:         92
        .size:           12
        .value_kind:     by_value
      - .offset:         104
        .size:           4
        .value_kind:     by_value
      - .offset:         108
        .size:           4
        .value_kind:     by_value
      - .offset:         112
        .size:           4
        .value_kind:     by_value
      - .offset:         116
        .size:           4
        .value_kind:     by_value
      - .offset:         120
        .size:           4
        .value_kind:     by_value
      - .offset:         124
        .size:           4
        .value_kind:     by_value
      - .offset:         128
        .size:           4
        .value_kind:     by_value
      - .offset:         132
        .size:           4
        .value_kind:     by_value
      - .offset:         136
        .size:           4
        .value_kind:     by_value
      - .offset:         140
        .size:           4
        .value_kind:     by_value
      - .offset:         144
        .size:           4
        .value_kind:     by_value
      - .offset:         152
        .size:           8
        .value_kind:     by_value
      - .offset:         160
        .size:           4
        .value_kind:     by_value
      - .offset:         164
        .size:           4
        .value_kind:     by_value
      - .offset:         168
        .size:           8
        .value_kind:     by_value
      - .offset:         176
        .size:           4
        .value_kind:     by_value
      - .offset:         180
        .size:           4
        .value_kind:     by_value
      - .offset:         184
        .size:           4
        .value_kind:     by_value
      - .offset:         188
        .size:           4
        .value_kind:     by_value
      - .offset:         192
        .size:           4
        .value_kind:     by_value
      - .offset:         200
        .size:           8
        .value_kind:     by_value
      - .offset:         208
        .size:           4
        .value_kind:     hidden_block_count_x
      - .offset:         212
        .size:           4
        .value_kind:     hidden_block_count_y
      - .offset:         216
        .size:           4
        .value_kind:     hidden_block_count_z
      - .offset:         220
        .size:           2
        .value_kind:     hidden_group_size_x
      - .offset:         222
        .size:           2
        .value_kind:     hidden_group_size_y
      - .offset:         224
        .size:           2
        .value_kind:     hidden_group_size_z
      - .offset:         226
        .size:           2
        .value_kind:     hidden_remainder_x
      - .offset:         228
        .size:           2
        .value_kind:     hidden_remainder_y
      - .offset:         230
        .size:           2
        .value_kind:     hidden_remainder_z
      - .offset:         248
        .size:           8
        .value_kind:     hidden_global_offset_x
      - .offset:         256
        .size:           8
        .value_kind:     hidden_global_offset_y
      - .offset:         264
        .size:           8
        .value_kind:     hidden_global_offset_z
      - .offset:         272
        .size:           2
        .value_kind:     hidden_grid_dims
    .group_segment_fixed_size: 19488
    .kernarg_segment_align: 8
    .kernarg_segment_size: 464
    .language:       OpenCL C
    .language_version:
      - 2
      - 0
    .max_flat_workgroup_size: 256
    .name:           _ZL15flash_attn_tileILi128ELi128ELi1ELi2ELb1EEvPKcS1_S1_S1_S1_PKiPfP15HIP_vector_typeIfLj2EEffffjfiS5_IjLj3EEiiiiiiiiiiiliiliiiiil
    .private_segment_fixed_size: 0
    .sgpr_count:     49
    .sgpr_spill_count: 0
    .symbol:         _ZL15flash_attn_tileILi128ELi128ELi1ELi2ELb1EEvPKcS1_S1_S1_S1_PKiPfP15HIP_vector_typeIfLj2EEffffjfiS5_IjLj3EEiiiiiiiiiiiliiliiiiil.kd
    .uniform_work_group_size: 1
    .uses_dynamic_stack: false
    .vgpr_count:     77
    .vgpr_spill_count: 0
    .wavefront_size: 64
  - .args:
      - .address_space:  global
        .offset:         0
        .size:           8
        .value_kind:     global_buffer
      - .address_space:  global
        .offset:         8
        .size:           8
        .value_kind:     global_buffer
      - .address_space:  global
        .offset:         16
        .size:           8
        .value_kind:     global_buffer
      - .address_space:  global
        .offset:         24
        .size:           8
        .value_kind:     global_buffer
      - .address_space:  global
        .offset:         32
        .size:           8
        .value_kind:     global_buffer
      - .address_space:  global
        .offset:         40
        .size:           8
        .value_kind:     global_buffer
      - .address_space:  global
        .offset:         48
        .size:           8
        .value_kind:     global_buffer
      - .address_space:  global
        .offset:         56
        .size:           8
        .value_kind:     global_buffer
      - .offset:         64
        .size:           4
        .value_kind:     by_value
      - .offset:         68
        .size:           4
        .value_kind:     by_value
      - .offset:         72
        .size:           4
        .value_kind:     by_value
      - .offset:         76
        .size:           4
        .value_kind:     by_value
      - .offset:         80
        .size:           4
        .value_kind:     by_value
      - .offset:         84
        .size:           4
        .value_kind:     by_value
      - .offset:         88
        .size:           4
        .value_kind:     by_value
      - .offset:         92
        .size:           12
        .value_kind:     by_value
      - .offset:         104
        .size:           4
        .value_kind:     by_value
      - .offset:         108
        .size:           4
        .value_kind:     by_value
      - .offset:         112
        .size:           4
        .value_kind:     by_value
      - .offset:         116
        .size:           4
        .value_kind:     by_value
      - .offset:         120
        .size:           4
        .value_kind:     by_value
      - .offset:         124
        .size:           4
        .value_kind:     by_value
      - .offset:         128
        .size:           4
        .value_kind:     by_value
      - .offset:         132
        .size:           4
        .value_kind:     by_value
      - .offset:         136
        .size:           4
        .value_kind:     by_value
      - .offset:         140
        .size:           4
        .value_kind:     by_value
      - .offset:         144
        .size:           4
        .value_kind:     by_value
      - .offset:         152
        .size:           8
        .value_kind:     by_value
      - .offset:         160
        .size:           4
        .value_kind:     by_value
      - .offset:         164
        .size:           4
        .value_kind:     by_value
      - .offset:         168
        .size:           8
        .value_kind:     by_value
      - .offset:         176
        .size:           4
        .value_kind:     by_value
      - .offset:         180
        .size:           4
        .value_kind:     by_value
      - .offset:         184
        .size:           4
        .value_kind:     by_value
      - .offset:         188
        .size:           4
        .value_kind:     by_value
      - .offset:         192
        .size:           4
        .value_kind:     by_value
      - .offset:         200
        .size:           8
        .value_kind:     by_value
      - .offset:         208
        .size:           4
        .value_kind:     hidden_block_count_x
      - .offset:         212
        .size:           4
        .value_kind:     hidden_block_count_y
      - .offset:         216
        .size:           4
        .value_kind:     hidden_block_count_z
      - .offset:         220
        .size:           2
        .value_kind:     hidden_group_size_x
      - .offset:         222
        .size:           2
        .value_kind:     hidden_group_size_y
      - .offset:         224
        .size:           2
        .value_kind:     hidden_group_size_z
      - .offset:         226
        .size:           2
        .value_kind:     hidden_remainder_x
      - .offset:         228
        .size:           2
        .value_kind:     hidden_remainder_y
      - .offset:         230
        .size:           2
        .value_kind:     hidden_remainder_z
      - .offset:         248
        .size:           8
        .value_kind:     hidden_global_offset_x
      - .offset:         256
        .size:           8
        .value_kind:     hidden_global_offset_y
      - .offset:         264
        .size:           8
        .value_kind:     hidden_global_offset_z
      - .offset:         272
        .size:           2
        .value_kind:     hidden_grid_dims
    .group_segment_fixed_size: 29696
    .kernarg_segment_align: 8
    .kernarg_segment_size: 464
    .language:       OpenCL C
    .language_version:
      - 2
      - 0
    .max_flat_workgroup_size: 256
    .name:           _ZL15flash_attn_tileILi128ELi128ELi64ELi1ELb1EEvPKcS1_S1_S1_S1_PKiPfP15HIP_vector_typeIfLj2EEffffjfiS5_IjLj3EEiiiiiiiiiiiliiliiiiil
    .private_segment_fixed_size: 48
    .sgpr_count:     58
    .sgpr_spill_count: 0
    .symbol:         _ZL15flash_attn_tileILi128ELi128ELi64ELi1ELb1EEvPKcS1_S1_S1_S1_PKiPfP15HIP_vector_typeIfLj2EEffffjfiS5_IjLj3EEiiiiiiiiiiiliiliiiiil.kd
    .uniform_work_group_size: 1
    .uses_dynamic_stack: false
    .vgpr_count:     128
    .vgpr_spill_count: 4
    .wavefront_size: 64
  - .args:
      - .address_space:  global
        .offset:         0
        .size:           8
        .value_kind:     global_buffer
      - .address_space:  global
        .offset:         8
        .size:           8
        .value_kind:     global_buffer
      - .address_space:  global
        .offset:         16
        .size:           8
        .value_kind:     global_buffer
      - .address_space:  global
        .offset:         24
        .size:           8
        .value_kind:     global_buffer
      - .address_space:  global
        .offset:         32
        .size:           8
        .value_kind:     global_buffer
      - .address_space:  global
        .offset:         40
        .size:           8
        .value_kind:     global_buffer
      - .address_space:  global
        .offset:         48
        .size:           8
        .value_kind:     global_buffer
      - .address_space:  global
        .offset:         56
        .size:           8
        .value_kind:     global_buffer
      - .offset:         64
        .size:           4
        .value_kind:     by_value
      - .offset:         68
        .size:           4
        .value_kind:     by_value
      - .offset:         72
        .size:           4
        .value_kind:     by_value
      - .offset:         76
        .size:           4
        .value_kind:     by_value
      - .offset:         80
        .size:           4
        .value_kind:     by_value
      - .offset:         84
        .size:           4
        .value_kind:     by_value
      - .offset:         88
        .size:           4
        .value_kind:     by_value
      - .offset:         92
        .size:           12
        .value_kind:     by_value
      - .offset:         104
        .size:           4
        .value_kind:     by_value
      - .offset:         108
        .size:           4
        .value_kind:     by_value
      - .offset:         112
        .size:           4
        .value_kind:     by_value
      - .offset:         116
        .size:           4
        .value_kind:     by_value
      - .offset:         120
        .size:           4
        .value_kind:     by_value
      - .offset:         124
        .size:           4
        .value_kind:     by_value
      - .offset:         128
        .size:           4
        .value_kind:     by_value
      - .offset:         132
        .size:           4
        .value_kind:     by_value
      - .offset:         136
        .size:           4
        .value_kind:     by_value
      - .offset:         140
        .size:           4
        .value_kind:     by_value
      - .offset:         144
        .size:           4
        .value_kind:     by_value
      - .offset:         152
        .size:           8
        .value_kind:     by_value
      - .offset:         160
        .size:           4
        .value_kind:     by_value
      - .offset:         164
        .size:           4
        .value_kind:     by_value
      - .offset:         168
        .size:           8
        .value_kind:     by_value
      - .offset:         176
        .size:           4
        .value_kind:     by_value
      - .offset:         180
        .size:           4
        .value_kind:     by_value
      - .offset:         184
        .size:           4
        .value_kind:     by_value
      - .offset:         188
        .size:           4
        .value_kind:     by_value
      - .offset:         192
        .size:           4
        .value_kind:     by_value
      - .offset:         200
        .size:           8
        .value_kind:     by_value
      - .offset:         208
        .size:           4
        .value_kind:     hidden_block_count_x
      - .offset:         212
        .size:           4
        .value_kind:     hidden_block_count_y
      - .offset:         216
        .size:           4
        .value_kind:     hidden_block_count_z
      - .offset:         220
        .size:           2
        .value_kind:     hidden_group_size_x
      - .offset:         222
        .size:           2
        .value_kind:     hidden_group_size_y
      - .offset:         224
        .size:           2
        .value_kind:     hidden_group_size_z
      - .offset:         226
        .size:           2
        .value_kind:     hidden_remainder_x
      - .offset:         228
        .size:           2
        .value_kind:     hidden_remainder_y
      - .offset:         230
        .size:           2
        .value_kind:     hidden_remainder_z
      - .offset:         248
        .size:           8
        .value_kind:     hidden_global_offset_x
      - .offset:         256
        .size:           8
        .value_kind:     hidden_global_offset_y
      - .offset:         264
        .size:           8
        .value_kind:     hidden_global_offset_z
      - .offset:         272
        .size:           2
        .value_kind:     hidden_grid_dims
    .group_segment_fixed_size: 21504
    .kernarg_segment_align: 8
    .kernarg_segment_size: 464
    .language:       OpenCL C
    .language_version:
      - 2
      - 0
    .max_flat_workgroup_size: 256
    .name:           _ZL15flash_attn_tileILi128ELi128ELi32ELi1ELb1EEvPKcS1_S1_S1_S1_PKiPfP15HIP_vector_typeIfLj2EEffffjfiS5_IjLj3EEiiiiiiiiiiiliiliiiiil
    .private_segment_fixed_size: 32
    .sgpr_count:     58
    .sgpr_spill_count: 0
    .symbol:         _ZL15flash_attn_tileILi128ELi128ELi32ELi1ELb1EEvPKcS1_S1_S1_S1_PKiPfP15HIP_vector_typeIfLj2EEffffjfiS5_IjLj3EEiiiiiiiiiiiliiliiiiil.kd
    .uniform_work_group_size: 1
    .uses_dynamic_stack: false
    .vgpr_count:     110
    .vgpr_spill_count: 0
    .wavefront_size: 64
  - .args:
      - .address_space:  global
        .offset:         0
        .size:           8
        .value_kind:     global_buffer
      - .address_space:  global
        .offset:         8
        .size:           8
        .value_kind:     global_buffer
      - .address_space:  global
        .offset:         16
        .size:           8
        .value_kind:     global_buffer
      - .address_space:  global
        .offset:         24
        .size:           8
        .value_kind:     global_buffer
      - .address_space:  global
        .offset:         32
        .size:           8
        .value_kind:     global_buffer
      - .address_space:  global
        .offset:         40
        .size:           8
        .value_kind:     global_buffer
      - .address_space:  global
        .offset:         48
        .size:           8
        .value_kind:     global_buffer
      - .address_space:  global
        .offset:         56
        .size:           8
        .value_kind:     global_buffer
      - .offset:         64
        .size:           4
        .value_kind:     by_value
      - .offset:         68
        .size:           4
        .value_kind:     by_value
      - .offset:         72
        .size:           4
        .value_kind:     by_value
      - .offset:         76
        .size:           4
        .value_kind:     by_value
      - .offset:         80
        .size:           4
        .value_kind:     by_value
      - .offset:         84
        .size:           4
        .value_kind:     by_value
      - .offset:         88
        .size:           4
        .value_kind:     by_value
      - .offset:         92
        .size:           12
        .value_kind:     by_value
      - .offset:         104
        .size:           4
        .value_kind:     by_value
      - .offset:         108
        .size:           4
        .value_kind:     by_value
      - .offset:         112
        .size:           4
        .value_kind:     by_value
      - .offset:         116
        .size:           4
        .value_kind:     by_value
      - .offset:         120
        .size:           4
        .value_kind:     by_value
      - .offset:         124
        .size:           4
        .value_kind:     by_value
      - .offset:         128
        .size:           4
        .value_kind:     by_value
      - .offset:         132
        .size:           4
        .value_kind:     by_value
      - .offset:         136
        .size:           4
        .value_kind:     by_value
      - .offset:         140
        .size:           4
        .value_kind:     by_value
      - .offset:         144
        .size:           4
        .value_kind:     by_value
      - .offset:         152
        .size:           8
        .value_kind:     by_value
      - .offset:         160
        .size:           4
        .value_kind:     by_value
      - .offset:         164
        .size:           4
        .value_kind:     by_value
      - .offset:         168
        .size:           8
        .value_kind:     by_value
      - .offset:         176
        .size:           4
        .value_kind:     by_value
      - .offset:         180
        .size:           4
        .value_kind:     by_value
      - .offset:         184
        .size:           4
        .value_kind:     by_value
      - .offset:         188
        .size:           4
        .value_kind:     by_value
      - .offset:         192
        .size:           4
        .value_kind:     by_value
      - .offset:         200
        .size:           8
        .value_kind:     by_value
      - .offset:         208
        .size:           4
        .value_kind:     hidden_block_count_x
      - .offset:         212
        .size:           4
        .value_kind:     hidden_block_count_y
      - .offset:         216
        .size:           4
        .value_kind:     hidden_block_count_z
      - .offset:         220
        .size:           2
        .value_kind:     hidden_group_size_x
      - .offset:         222
        .size:           2
        .value_kind:     hidden_group_size_y
      - .offset:         224
        .size:           2
        .value_kind:     hidden_group_size_z
      - .offset:         226
        .size:           2
        .value_kind:     hidden_remainder_x
      - .offset:         228
        .size:           2
        .value_kind:     hidden_remainder_y
      - .offset:         230
        .size:           2
        .value_kind:     hidden_remainder_z
      - .offset:         248
        .size:           8
        .value_kind:     hidden_global_offset_x
      - .offset:         256
        .size:           8
        .value_kind:     hidden_global_offset_y
      - .offset:         264
        .size:           8
        .value_kind:     hidden_global_offset_z
      - .offset:         272
        .size:           2
        .value_kind:     hidden_grid_dims
    .group_segment_fixed_size: 23552
    .kernarg_segment_align: 8
    .kernarg_segment_size: 464
    .language:       OpenCL C
    .language_version:
      - 2
      - 0
    .max_flat_workgroup_size: 256
    .name:           _ZL15flash_attn_tileILi128ELi128ELi16ELi1ELb1EEvPKcS1_S1_S1_S1_PKiPfP15HIP_vector_typeIfLj2EEffffjfiS5_IjLj3EEiiiiiiiiiiiliiliiiiil
    .private_segment_fixed_size: 32
    .sgpr_count:     58
    .sgpr_spill_count: 0
    .symbol:         _ZL15flash_attn_tileILi128ELi128ELi16ELi1ELb1EEvPKcS1_S1_S1_S1_PKiPfP15HIP_vector_typeIfLj2EEffffjfiS5_IjLj3EEiiiiiiiiiiiliiliiiiil.kd
    .uniform_work_group_size: 1
    .uses_dynamic_stack: false
    .vgpr_count:     84
    .vgpr_spill_count: 0
    .wavefront_size: 64
  - .args:
      - .address_space:  global
        .offset:         0
        .size:           8
        .value_kind:     global_buffer
      - .address_space:  global
        .offset:         8
        .size:           8
        .value_kind:     global_buffer
      - .address_space:  global
        .offset:         16
        .size:           8
        .value_kind:     global_buffer
      - .address_space:  global
        .offset:         24
        .size:           8
        .value_kind:     global_buffer
      - .address_space:  global
        .offset:         32
        .size:           8
        .value_kind:     global_buffer
      - .address_space:  global
        .offset:         40
        .size:           8
        .value_kind:     global_buffer
      - .address_space:  global
        .offset:         48
        .size:           8
        .value_kind:     global_buffer
      - .address_space:  global
        .offset:         56
        .size:           8
        .value_kind:     global_buffer
      - .offset:         64
        .size:           4
        .value_kind:     by_value
      - .offset:         68
        .size:           4
        .value_kind:     by_value
      - .offset:         72
        .size:           4
        .value_kind:     by_value
      - .offset:         76
        .size:           4
        .value_kind:     by_value
      - .offset:         80
        .size:           4
        .value_kind:     by_value
      - .offset:         84
        .size:           4
        .value_kind:     by_value
      - .offset:         88
        .size:           4
        .value_kind:     by_value
      - .offset:         92
        .size:           12
        .value_kind:     by_value
      - .offset:         104
        .size:           4
        .value_kind:     by_value
      - .offset:         108
        .size:           4
        .value_kind:     by_value
      - .offset:         112
        .size:           4
        .value_kind:     by_value
      - .offset:         116
        .size:           4
        .value_kind:     by_value
      - .offset:         120
        .size:           4
        .value_kind:     by_value
      - .offset:         124
        .size:           4
        .value_kind:     by_value
      - .offset:         128
        .size:           4
        .value_kind:     by_value
      - .offset:         132
        .size:           4
        .value_kind:     by_value
      - .offset:         136
        .size:           4
        .value_kind:     by_value
      - .offset:         140
        .size:           4
        .value_kind:     by_value
      - .offset:         144
        .size:           4
        .value_kind:     by_value
      - .offset:         152
        .size:           8
        .value_kind:     by_value
      - .offset:         160
        .size:           4
        .value_kind:     by_value
      - .offset:         164
        .size:           4
        .value_kind:     by_value
      - .offset:         168
        .size:           8
        .value_kind:     by_value
      - .offset:         176
        .size:           4
        .value_kind:     by_value
      - .offset:         180
        .size:           4
        .value_kind:     by_value
      - .offset:         184
        .size:           4
        .value_kind:     by_value
      - .offset:         188
        .size:           4
        .value_kind:     by_value
      - .offset:         192
        .size:           4
        .value_kind:     by_value
      - .offset:         200
        .size:           8
        .value_kind:     by_value
      - .offset:         208
        .size:           4
        .value_kind:     hidden_block_count_x
      - .offset:         212
        .size:           4
        .value_kind:     hidden_block_count_y
      - .offset:         216
        .size:           4
        .value_kind:     hidden_block_count_z
      - .offset:         220
        .size:           2
        .value_kind:     hidden_group_size_x
      - .offset:         222
        .size:           2
        .value_kind:     hidden_group_size_y
      - .offset:         224
        .size:           2
        .value_kind:     hidden_group_size_z
      - .offset:         226
        .size:           2
        .value_kind:     hidden_remainder_x
      - .offset:         228
        .size:           2
        .value_kind:     hidden_remainder_y
      - .offset:         230
        .size:           2
        .value_kind:     hidden_remainder_z
      - .offset:         248
        .size:           8
        .value_kind:     hidden_global_offset_x
      - .offset:         256
        .size:           8
        .value_kind:     hidden_global_offset_y
      - .offset:         264
        .size:           8
        .value_kind:     hidden_global_offset_z
      - .offset:         272
        .size:           2
        .value_kind:     hidden_grid_dims
    .group_segment_fixed_size: 20480
    .kernarg_segment_align: 8
    .kernarg_segment_size: 464
    .language:       OpenCL C
    .language_version:
      - 2
      - 0
    .max_flat_workgroup_size: 256
    .name:           _ZL15flash_attn_tileILi128ELi128ELi8ELi1ELb1EEvPKcS1_S1_S1_S1_PKiPfP15HIP_vector_typeIfLj2EEffffjfiS5_IjLj3EEiiiiiiiiiiiliiliiiiil
    .private_segment_fixed_size: 32
    .sgpr_count:     58
    .sgpr_spill_count: 0
    .symbol:         _ZL15flash_attn_tileILi128ELi128ELi8ELi1ELb1EEvPKcS1_S1_S1_S1_PKiPfP15HIP_vector_typeIfLj2EEffffjfiS5_IjLj3EEiiiiiiiiiiiliiliiiiil.kd
    .uniform_work_group_size: 1
    .uses_dynamic_stack: false
    .vgpr_count:     81
    .vgpr_spill_count: 0
    .wavefront_size: 64
  - .args:
      - .address_space:  global
        .offset:         0
        .size:           8
        .value_kind:     global_buffer
      - .address_space:  global
        .offset:         8
        .size:           8
        .value_kind:     global_buffer
      - .address_space:  global
        .offset:         16
        .size:           8
        .value_kind:     global_buffer
      - .address_space:  global
        .offset:         24
        .size:           8
        .value_kind:     global_buffer
      - .address_space:  global
        .offset:         32
        .size:           8
        .value_kind:     global_buffer
      - .address_space:  global
        .offset:         40
        .size:           8
        .value_kind:     global_buffer
      - .address_space:  global
        .offset:         48
        .size:           8
        .value_kind:     global_buffer
      - .address_space:  global
        .offset:         56
        .size:           8
        .value_kind:     global_buffer
      - .offset:         64
        .size:           4
        .value_kind:     by_value
      - .offset:         68
        .size:           4
        .value_kind:     by_value
      - .offset:         72
        .size:           4
        .value_kind:     by_value
      - .offset:         76
        .size:           4
        .value_kind:     by_value
      - .offset:         80
        .size:           4
        .value_kind:     by_value
      - .offset:         84
        .size:           4
        .value_kind:     by_value
      - .offset:         88
        .size:           4
        .value_kind:     by_value
      - .offset:         92
        .size:           12
        .value_kind:     by_value
      - .offset:         104
        .size:           4
        .value_kind:     by_value
      - .offset:         108
        .size:           4
        .value_kind:     by_value
      - .offset:         112
        .size:           4
        .value_kind:     by_value
      - .offset:         116
        .size:           4
        .value_kind:     by_value
      - .offset:         120
        .size:           4
        .value_kind:     by_value
      - .offset:         124
        .size:           4
        .value_kind:     by_value
      - .offset:         128
        .size:           4
        .value_kind:     by_value
      - .offset:         132
        .size:           4
        .value_kind:     by_value
      - .offset:         136
        .size:           4
        .value_kind:     by_value
      - .offset:         140
        .size:           4
        .value_kind:     by_value
      - .offset:         144
        .size:           4
        .value_kind:     by_value
      - .offset:         152
        .size:           8
        .value_kind:     by_value
      - .offset:         160
        .size:           4
        .value_kind:     by_value
      - .offset:         164
        .size:           4
        .value_kind:     by_value
      - .offset:         168
        .size:           8
        .value_kind:     by_value
      - .offset:         176
        .size:           4
        .value_kind:     by_value
      - .offset:         180
        .size:           4
        .value_kind:     by_value
      - .offset:         184
        .size:           4
        .value_kind:     by_value
      - .offset:         188
        .size:           4
        .value_kind:     by_value
      - .offset:         192
        .size:           4
        .value_kind:     by_value
      - .offset:         200
        .size:           8
        .value_kind:     by_value
      - .offset:         208
        .size:           4
        .value_kind:     hidden_block_count_x
      - .offset:         212
        .size:           4
        .value_kind:     hidden_block_count_y
      - .offset:         216
        .size:           4
        .value_kind:     hidden_block_count_z
      - .offset:         220
        .size:           2
        .value_kind:     hidden_group_size_x
      - .offset:         222
        .size:           2
        .value_kind:     hidden_group_size_y
      - .offset:         224
        .size:           2
        .value_kind:     hidden_group_size_z
      - .offset:         226
        .size:           2
        .value_kind:     hidden_remainder_x
      - .offset:         228
        .size:           2
        .value_kind:     hidden_remainder_y
      - .offset:         230
        .size:           2
        .value_kind:     hidden_remainder_z
      - .offset:         248
        .size:           8
        .value_kind:     hidden_global_offset_x
      - .offset:         256
        .size:           8
        .value_kind:     hidden_global_offset_y
      - .offset:         264
        .size:           8
        .value_kind:     hidden_global_offset_z
      - .offset:         272
        .size:           2
        .value_kind:     hidden_grid_dims
    .group_segment_fixed_size: 18944
    .kernarg_segment_align: 8
    .kernarg_segment_size: 464
    .language:       OpenCL C
    .language_version:
      - 2
      - 0
    .max_flat_workgroup_size: 128
    .name:           _ZL15flash_attn_tileILi128ELi128ELi4ELi1ELb1EEvPKcS1_S1_S1_S1_PKiPfP15HIP_vector_typeIfLj2EEffffjfiS5_IjLj3EEiiiiiiiiiiiliiliiiiil
    .private_segment_fixed_size: 64
    .sgpr_count:     62
    .sgpr_spill_count: 0
    .symbol:         _ZL15flash_attn_tileILi128ELi128ELi4ELi1ELb1EEvPKcS1_S1_S1_S1_PKiPfP15HIP_vector_typeIfLj2EEffffjfiS5_IjLj3EEiiiiiiiiiiiliiliiiiil.kd
    .uniform_work_group_size: 1
    .uses_dynamic_stack: false
    .vgpr_count:     128
    .vgpr_spill_count: 12
    .wavefront_size: 64
  - .args:
      - .address_space:  global
        .offset:         0
        .size:           8
        .value_kind:     global_buffer
      - .address_space:  global
        .offset:         8
        .size:           8
        .value_kind:     global_buffer
      - .address_space:  global
        .offset:         16
        .size:           8
        .value_kind:     global_buffer
      - .address_space:  global
        .offset:         24
        .size:           8
        .value_kind:     global_buffer
      - .address_space:  global
        .offset:         32
        .size:           8
        .value_kind:     global_buffer
      - .address_space:  global
        .offset:         40
        .size:           8
        .value_kind:     global_buffer
      - .address_space:  global
        .offset:         48
        .size:           8
        .value_kind:     global_buffer
      - .address_space:  global
        .offset:         56
        .size:           8
        .value_kind:     global_buffer
      - .offset:         64
        .size:           4
        .value_kind:     by_value
      - .offset:         68
        .size:           4
        .value_kind:     by_value
      - .offset:         72
        .size:           4
        .value_kind:     by_value
      - .offset:         76
        .size:           4
        .value_kind:     by_value
      - .offset:         80
        .size:           4
        .value_kind:     by_value
      - .offset:         84
        .size:           4
        .value_kind:     by_value
      - .offset:         88
        .size:           4
        .value_kind:     by_value
      - .offset:         92
        .size:           12
        .value_kind:     by_value
      - .offset:         104
        .size:           4
        .value_kind:     by_value
      - .offset:         108
        .size:           4
        .value_kind:     by_value
      - .offset:         112
        .size:           4
        .value_kind:     by_value
      - .offset:         116
        .size:           4
        .value_kind:     by_value
      - .offset:         120
        .size:           4
        .value_kind:     by_value
      - .offset:         124
        .size:           4
        .value_kind:     by_value
      - .offset:         128
        .size:           4
        .value_kind:     by_value
      - .offset:         132
        .size:           4
        .value_kind:     by_value
      - .offset:         136
        .size:           4
        .value_kind:     by_value
      - .offset:         140
        .size:           4
        .value_kind:     by_value
      - .offset:         144
        .size:           4
        .value_kind:     by_value
      - .offset:         152
        .size:           8
        .value_kind:     by_value
      - .offset:         160
        .size:           4
        .value_kind:     by_value
      - .offset:         164
        .size:           4
        .value_kind:     by_value
      - .offset:         168
        .size:           8
        .value_kind:     by_value
      - .offset:         176
        .size:           4
        .value_kind:     by_value
      - .offset:         180
        .size:           4
        .value_kind:     by_value
      - .offset:         184
        .size:           4
        .value_kind:     by_value
      - .offset:         188
        .size:           4
        .value_kind:     by_value
      - .offset:         192
        .size:           4
        .value_kind:     by_value
      - .offset:         200
        .size:           8
        .value_kind:     by_value
      - .offset:         208
        .size:           4
        .value_kind:     hidden_block_count_x
      - .offset:         212
        .size:           4
        .value_kind:     hidden_block_count_y
      - .offset:         216
        .size:           4
        .value_kind:     hidden_block_count_z
      - .offset:         220
        .size:           2
        .value_kind:     hidden_group_size_x
      - .offset:         222
        .size:           2
        .value_kind:     hidden_group_size_y
      - .offset:         224
        .size:           2
        .value_kind:     hidden_group_size_z
      - .offset:         226
        .size:           2
        .value_kind:     hidden_remainder_x
      - .offset:         228
        .size:           2
        .value_kind:     hidden_remainder_y
      - .offset:         230
        .size:           2
        .value_kind:     hidden_remainder_z
      - .offset:         248
        .size:           8
        .value_kind:     hidden_global_offset_x
      - .offset:         256
        .size:           8
        .value_kind:     hidden_global_offset_y
      - .offset:         264
        .size:           8
        .value_kind:     hidden_global_offset_z
      - .offset:         272
        .size:           2
        .value_kind:     hidden_grid_dims
    .group_segment_fixed_size: 19520
    .kernarg_segment_align: 8
    .kernarg_segment_size: 464
    .language:       OpenCL C
    .language_version:
      - 2
      - 0
    .max_flat_workgroup_size: 256
    .name:           _ZL15flash_attn_tileILi128ELi128ELi2ELi1ELb1EEvPKcS1_S1_S1_S1_PKiPfP15HIP_vector_typeIfLj2EEffffjfiS5_IjLj3EEiiiiiiiiiiiliiliiiiil
    .private_segment_fixed_size: 32
    .sgpr_count:     58
    .sgpr_spill_count: 0
    .symbol:         _ZL15flash_attn_tileILi128ELi128ELi2ELi1ELb1EEvPKcS1_S1_S1_S1_PKiPfP15HIP_vector_typeIfLj2EEffffjfiS5_IjLj3EEiiiiiiiiiiiliiliiiiil.kd
    .uniform_work_group_size: 1
    .uses_dynamic_stack: false
    .vgpr_count:     84
    .vgpr_spill_count: 0
    .wavefront_size: 64
amdhsa.target:   amdgcn-amd-amdhsa--gfx906
amdhsa.version:
  - 1
  - 2
...

	.end_amdgpu_metadata
